;; amdgpu-corpus repo=ggml-org/llama.cpp kind=compiled arch=gfx950 opt=O3
	.amdgcn_target "amdgcn-amd-amdhsa--gfx950"
	.amdhsa_code_object_version 6
	.section	.text._ZL18flash_attn_ext_f16ILi64ELi64ELi16ELi1ELb0ELb0EEvPKcS1_S1_S1_S1_PKiPfP15HIP_vector_typeIfLj2EEffffjfiS5_IjLj3EEiiiiiiiiiiiliiliiiiil,"axG",@progbits,_ZL18flash_attn_ext_f16ILi64ELi64ELi16ELi1ELb0ELb0EEvPKcS1_S1_S1_S1_PKiPfP15HIP_vector_typeIfLj2EEffffjfiS5_IjLj3EEiiiiiiiiiiiliiliiiiil,comdat
	.globl	_ZL18flash_attn_ext_f16ILi64ELi64ELi16ELi1ELb0ELb0EEvPKcS1_S1_S1_S1_PKiPfP15HIP_vector_typeIfLj2EEffffjfiS5_IjLj3EEiiiiiiiiiiiliiliiiiil ; -- Begin function _ZL18flash_attn_ext_f16ILi64ELi64ELi16ELi1ELb0ELb0EEvPKcS1_S1_S1_S1_PKiPfP15HIP_vector_typeIfLj2EEffffjfiS5_IjLj3EEiiiiiiiiiiiliiliiiiil
	.p2align	8
	.type	_ZL18flash_attn_ext_f16ILi64ELi64ELi16ELi1ELb0ELb0EEvPKcS1_S1_S1_S1_PKiPfP15HIP_vector_typeIfLj2EEffffjfiS5_IjLj3EEiiiiiiiiiiiliiliiiiil,@function
_ZL18flash_attn_ext_f16ILi64ELi64ELi16ELi1ELb0ELb0EEvPKcS1_S1_S1_S1_PKiPfP15HIP_vector_typeIfLj2EEffffjfiS5_IjLj3EEiiiiiiiiiiiliiliiiiil: ; @_ZL18flash_attn_ext_f16ILi64ELi64ELi16ELi1ELb0ELb0EEvPKcS1_S1_S1_S1_PKiPfP15HIP_vector_typeIfLj2EEffffjfiS5_IjLj3EEiiiiiiiiiiiliiliiiiil
; %bb.0:
	s_load_dwordx2 s[10:11], s[0:1], 0x80
	s_load_dwordx4 s[52:55], s[0:1], 0x64
	s_mov_b32 s60, s2
                                        ; implicit-def: $vgpr159 : SGPR spill to VGPR lane
	s_load_dword s62, s[0:1], 0xd0
	s_mov_b32 s4, 0
	s_waitcnt lgkmcnt(0)
	s_abs_i32 s2, s11
	v_cvt_f32_u32_e32 v1, s2
	s_sub_i32 s6, 0, s2
	s_abs_i32 s5, s53
	s_xor_b32 s3, s53, s11
	v_rcp_iflag_f32_e32 v1, v1
	s_ashr_i32 s3, s3, 31
	v_mul_f32_e32 v1, 0x4f7ffffe, v1
	v_cvt_u32_f32_e32 v1, v1
	s_nop 0
	v_readfirstlane_b32 s7, v1
	s_mul_i32 s6, s6, s7
	s_mul_hi_u32 s6, s7, s6
	s_add_i32 s7, s7, s6
	s_mul_hi_u32 s6, s5, s7
	s_mul_i32 s7, s6, s2
	s_sub_i32 s5, s5, s7
	s_add_i32 s8, s6, 1
	s_sub_i32 s7, s5, s2
	s_cmp_ge_u32 s5, s2
	s_cselect_b32 s6, s8, s6
	s_cselect_b32 s5, s7, s5
	s_add_i32 s7, s6, 1
	s_cmp_ge_u32 s5, s2
	s_cselect_b32 s2, s7, s6
	s_add_i32 s5, s10, 63
	s_xor_b32 s2, s2, s3
	s_ashr_i32 s6, s5, 31
	s_sub_i32 s3, s2, s3
	s_lshr_b32 s2, s6, 26
	s_add_i32 s5, s5, s2
	s_add_i32 s2, s52, 15
	s_lshr_b32 s2, s2, 4
	s_ashr_i32 s72, s5, 6
	v_writelane_b32 v159, s2, 0
	s_mul_i32 s2, s2, s72
	v_writelane_b32 v159, s3, 1
	v_writelane_b32 v159, s2, 2
	s_mul_i32 s3, s2, s3
	s_mov_b32 s2, s10
	v_writelane_b32 v159, s2, 3
	s_nop 1
	v_writelane_b32 v159, s3, 4
	s_mul_i32 s2, s3, s11
	s_mul_i32 s8, s2, s54
	v_writelane_b32 v159, s3, 5
	s_ashr_i32 s9, s8, 31
	v_writelane_b32 v159, s2, 6
	s_mul_i32 s2, s9, s60
	s_mul_hi_u32 s3, s8, s60
	s_add_i32 s5, s3, s2
	s_cmp_lg_u64 s[4:5], 0
	s_mul_i32 s4, s8, s60
	s_cbranch_scc0 .LBB0_2
; %bb.1:
	s_add_u32 s2, s62, 0
	s_addc_u32 s3, 0, 0
	s_xor_b64 s[6:7], s[2:3], 0
	v_cvt_f32_u32_e32 v1, s6
	v_cvt_f32_u32_e32 v2, s7
	s_sub_u32 s12, 0, s6
	s_subb_u32 s13, 0, s7
	s_mov_b64 s[2:3], 0
	v_fmamk_f32 v1, v2, 0x4f800000, v1
	v_rcp_f32_e32 v1, v1
	s_nop 0
	v_mul_f32_e32 v1, 0x5f7ffffc, v1
	v_mul_f32_e32 v2, 0x2f800000, v1
	v_trunc_f32_e32 v2, v2
	v_fmamk_f32 v1, v2, 0xcf800000, v1
	v_cvt_u32_f32_e32 v2, v2
	v_cvt_u32_f32_e32 v1, v1
	v_readfirstlane_b32 s14, v2
	v_readfirstlane_b32 s10, v1
	s_mul_i32 s11, s12, s14
	s_mul_hi_u32 s16, s12, s10
	s_mul_i32 s15, s13, s10
	s_add_i32 s11, s16, s11
	s_add_i32 s11, s11, s15
	s_mul_i32 s17, s12, s10
	s_mul_i32 s16, s10, s11
	s_mul_hi_u32 s18, s10, s17
	s_mul_hi_u32 s15, s10, s11
	s_add_u32 s16, s18, s16
	s_addc_u32 s15, 0, s15
	s_mul_hi_u32 s19, s14, s17
	s_mul_i32 s17, s14, s17
	s_add_u32 s16, s16, s17
	s_mul_hi_u32 s18, s14, s11
	s_addc_u32 s15, s15, s19
	s_addc_u32 s16, s18, 0
	s_mul_i32 s11, s14, s11
	s_add_u32 s11, s15, s11
	s_addc_u32 s15, 0, s16
	s_add_u32 s16, s10, s11
	s_cselect_b64 s[10:11], -1, 0
	s_cmp_lg_u64 s[10:11], 0
	s_addc_u32 s14, s14, s15
	s_mul_i32 s10, s12, s14
	s_mul_hi_u32 s11, s12, s16
	s_add_i32 s10, s11, s10
	s_mul_i32 s13, s13, s16
	s_add_i32 s10, s10, s13
	s_mul_i32 s12, s12, s16
	s_mul_hi_u32 s13, s14, s12
	s_mul_i32 s15, s14, s12
	s_mul_i32 s18, s16, s10
	s_mul_hi_u32 s12, s16, s12
	s_mul_hi_u32 s17, s16, s10
	s_add_u32 s12, s12, s18
	s_addc_u32 s17, 0, s17
	s_add_u32 s12, s12, s15
	s_mul_hi_u32 s11, s14, s10
	s_addc_u32 s12, s17, s13
	s_addc_u32 s11, s11, 0
	s_mul_i32 s10, s14, s10
	s_add_u32 s10, s12, s10
	s_addc_u32 s12, 0, s11
	s_add_u32 s15, s16, s10
	s_cselect_b64 s[10:11], -1, 0
	s_cmp_lg_u64 s[10:11], 0
	s_addc_u32 s14, s14, s12
	s_ashr_i32 s10, s5, 31
	s_add_u32 s12, s4, s10
	s_mov_b32 s11, s10
	s_addc_u32 s13, s5, s10
	s_xor_b64 s[12:13], s[12:13], s[10:11]
	s_mul_i32 s16, s12, s14
	s_mul_hi_u32 s17, s12, s15
	s_mul_hi_u32 s5, s12, s14
	s_add_u32 s16, s17, s16
	s_addc_u32 s5, 0, s5
	s_mul_hi_u32 s18, s13, s15
	s_mul_i32 s15, s13, s15
	s_add_u32 s15, s16, s15
	s_mul_hi_u32 s17, s13, s14
	s_addc_u32 s5, s5, s18
	s_addc_u32 s15, s17, 0
	s_mul_i32 s14, s13, s14
	s_add_u32 s5, s5, s14
	s_addc_u32 s18, 0, s15
	s_mul_i32 s14, s6, s18
	s_mul_hi_u32 s15, s6, s5
	s_add_i32 s14, s15, s14
	s_mul_i32 s15, s7, s5
	s_add_i32 s19, s14, s15
	s_sub_i32 s16, s13, s19
	s_mul_i32 s14, s6, s5
	s_sub_u32 s12, s12, s14
	s_cselect_b64 s[14:15], -1, 0
	s_cmp_lg_u64 s[14:15], 0
	s_subb_u32 s20, s16, s7
	s_sub_u32 s21, s12, s6
	s_cselect_b64 s[16:17], -1, 0
	s_cmp_lg_u64 s[16:17], 0
	s_subb_u32 s16, s20, 0
	s_cmp_ge_u32 s16, s7
	s_cselect_b32 s17, -1, 0
	s_cmp_ge_u32 s21, s6
	s_cselect_b32 s20, -1, 0
	s_cmp_eq_u32 s16, s7
	s_cselect_b32 s16, s20, s17
	s_add_u32 s17, s5, 1
	s_addc_u32 s20, s18, 0
	s_add_u32 s21, s5, 2
	s_addc_u32 s22, s18, 0
	s_cmp_lg_u32 s16, 0
	s_cselect_b32 s16, s21, s17
	s_cselect_b32 s17, s22, s20
	s_cmp_lg_u64 s[14:15], 0
	s_subb_u32 s13, s13, s19
	s_cmp_ge_u32 s13, s7
	s_cselect_b32 s14, -1, 0
	s_cmp_ge_u32 s12, s6
	s_cselect_b32 s6, -1, 0
	s_cmp_eq_u32 s13, s7
	s_cselect_b32 s6, s6, s14
	s_cmp_lg_u32 s6, 0
	s_cselect_b32 s7, s17, s18
	s_cselect_b32 s6, s16, s5
	s_xor_b64 s[10:11], s[10:11], 0
	s_xor_b64 s[6:7], s[6:7], s[10:11]
	s_sub_u32 s76, s6, s10
	s_branch .LBB0_3
.LBB0_2:
	s_mov_b64 s[2:3], -1
                                        ; implicit-def: $sgpr76_sgpr77
.LBB0_3:
	s_load_dwordx2 s[6:7], s[0:1], 0x74
	v_cvt_f32_u32_e32 v1, s62
	s_andn2_b64 vcc, exec, s[2:3]
	s_waitcnt lgkmcnt(0)
	v_writelane_b32 v159, s6, 7
	s_nop 1
	v_writelane_b32 v159, s7, 8
	s_cbranch_vccnz .LBB0_5
; %bb.4:
	v_rcp_iflag_f32_e32 v2, v1
	s_sub_i32 s2, 0, s62
	v_mul_f32_e32 v2, 0x4f7ffffe, v2
	v_cvt_u32_f32_e32 v2, v2
	s_nop 0
	v_readfirstlane_b32 s3, v2
	s_mul_i32 s2, s2, s3
	s_mul_hi_u32 s2, s3, s2
	s_add_i32 s3, s3, s2
	s_mul_hi_u32 s2, s4, s3
	s_mul_i32 s5, s2, s62
	s_sub_i32 s4, s4, s5
	s_add_i32 s3, s2, 1
	s_sub_i32 s5, s4, s62
	s_cmp_ge_u32 s4, s62
	s_cselect_b32 s2, s3, s2
	s_cselect_b32 s4, s5, s4
	s_add_i32 s3, s2, 1
	s_cmp_ge_u32 s4, s62
	s_cselect_b32 s76, s3, s2
.LBB0_5:
	s_add_i32 s2, s60, 1
	s_mul_i32 s3, s9, s2
	s_mul_hi_u32 s4, s8, s2
	s_add_i32 s7, s4, s3
	s_mov_b32 s6, 0
	s_cmp_lg_u64 s[6:7], 0
	s_mul_i32 s6, s8, s2
	s_cbranch_scc0 .LBB0_196
; %bb.6:
	s_add_u32 s2, s62, 0
	s_addc_u32 s3, 0, 0
	s_xor_b64 s[4:5], s[2:3], 0
	v_cvt_f32_u32_e32 v2, s4
	v_cvt_f32_u32_e32 v3, s5
	s_sub_u32 s10, 0, s4
	s_subb_u32 s11, 0, s5
	v_fmamk_f32 v2, v3, 0x4f800000, v2
	v_rcp_f32_e32 v2, v2
	s_nop 0
	v_mul_f32_e32 v2, 0x5f7ffffc, v2
	v_mul_f32_e32 v3, 0x2f800000, v2
	v_trunc_f32_e32 v3, v3
	v_fmamk_f32 v2, v3, 0xcf800000, v2
	v_cvt_u32_f32_e32 v3, v3
	v_cvt_u32_f32_e32 v2, v2
	v_readfirstlane_b32 s12, v3
	v_readfirstlane_b32 s8, v2
	s_mul_i32 s9, s10, s12
	s_mul_hi_u32 s14, s10, s8
	s_mul_i32 s13, s11, s8
	s_add_i32 s9, s14, s9
	s_add_i32 s9, s9, s13
	s_mul_i32 s15, s10, s8
	s_mul_i32 s14, s8, s9
	s_mul_hi_u32 s16, s8, s15
	s_mul_hi_u32 s13, s8, s9
	s_add_u32 s14, s16, s14
	s_addc_u32 s13, 0, s13
	s_mul_hi_u32 s17, s12, s15
	s_mul_i32 s15, s12, s15
	s_add_u32 s14, s14, s15
	s_mul_hi_u32 s16, s12, s9
	s_addc_u32 s13, s13, s17
	s_addc_u32 s14, s16, 0
	s_mul_i32 s9, s12, s9
	s_add_u32 s9, s13, s9
	s_addc_u32 s13, 0, s14
	s_add_u32 s14, s8, s9
	s_cselect_b64 s[8:9], -1, 0
	s_cmp_lg_u64 s[8:9], 0
	s_addc_u32 s12, s12, s13
	s_mul_i32 s8, s10, s12
	s_mul_hi_u32 s9, s10, s14
	s_add_i32 s8, s9, s8
	s_mul_i32 s11, s11, s14
	s_add_i32 s8, s8, s11
	s_mul_i32 s10, s10, s14
	s_mul_hi_u32 s11, s12, s10
	s_mul_i32 s13, s12, s10
	s_mul_i32 s16, s14, s8
	s_mul_hi_u32 s10, s14, s10
	s_mul_hi_u32 s15, s14, s8
	s_add_u32 s10, s10, s16
	s_addc_u32 s15, 0, s15
	s_add_u32 s10, s10, s13
	s_mul_hi_u32 s9, s12, s8
	s_addc_u32 s10, s15, s11
	s_addc_u32 s9, s9, 0
	s_mul_i32 s8, s12, s8
	s_add_u32 s8, s10, s8
	s_addc_u32 s10, 0, s9
	s_add_u32 s13, s14, s8
	s_cselect_b64 s[8:9], -1, 0
	s_cmp_lg_u64 s[8:9], 0
	s_addc_u32 s12, s12, s10
	s_ashr_i32 s8, s7, 31
	s_add_u32 s10, s6, s8
	s_mov_b32 s9, s8
	s_addc_u32 s11, s7, s8
	s_xor_b64 s[10:11], s[10:11], s[8:9]
	s_mul_i32 s14, s10, s12
	s_mul_hi_u32 s15, s10, s13
	s_mul_hi_u32 s7, s10, s12
	s_add_u32 s14, s15, s14
	s_addc_u32 s7, 0, s7
	s_mul_hi_u32 s16, s11, s13
	s_mul_i32 s13, s11, s13
	s_add_u32 s13, s14, s13
	s_mul_hi_u32 s15, s11, s12
	s_addc_u32 s7, s7, s16
	s_addc_u32 s13, s15, 0
	s_mul_i32 s12, s11, s12
	s_add_u32 s7, s7, s12
	s_addc_u32 s16, 0, s13
	s_mul_i32 s12, s4, s16
	s_mul_hi_u32 s13, s4, s7
	s_add_i32 s12, s13, s12
	s_mul_i32 s13, s5, s7
	s_add_i32 s17, s12, s13
	s_sub_i32 s14, s11, s17
	s_mul_i32 s12, s4, s7
	s_sub_u32 s10, s10, s12
	s_cselect_b64 s[12:13], -1, 0
	s_cmp_lg_u64 s[12:13], 0
	s_subb_u32 s18, s14, s5
	s_sub_u32 s19, s10, s4
	s_cselect_b64 s[14:15], -1, 0
	s_cmp_lg_u64 s[14:15], 0
	s_subb_u32 s14, s18, 0
	s_cmp_ge_u32 s14, s5
	s_cselect_b32 s15, -1, 0
	s_cmp_ge_u32 s19, s4
	s_cselect_b32 s18, -1, 0
	s_cmp_eq_u32 s14, s5
	s_cselect_b32 s14, s18, s15
	s_add_u32 s15, s7, 1
	s_addc_u32 s18, s16, 0
	s_add_u32 s19, s7, 2
	s_addc_u32 s20, s16, 0
	s_cmp_lg_u32 s14, 0
	s_cselect_b32 s14, s19, s15
	s_cselect_b32 s15, s20, s18
	s_cmp_lg_u64 s[12:13], 0
	s_subb_u32 s11, s11, s17
	s_cmp_ge_u32 s11, s5
	s_cselect_b32 s12, -1, 0
	s_cmp_ge_u32 s10, s4
	s_cselect_b32 s4, -1, 0
	s_cmp_eq_u32 s11, s5
	s_cselect_b32 s4, s4, s12
	s_cmp_lg_u32 s4, 0
	s_cselect_b32 s5, s15, s16
	s_cselect_b32 s4, s14, s7
	s_xor_b64 s[8:9], s[8:9], 0
	s_xor_b64 s[4:5], s[4:5], s[8:9]
	s_sub_u32 s4, s4, s8
	v_writelane_b32 v159, s4, 9
	s_nop 1
	v_writelane_b32 v159, s5, 10
	s_load_dwordx2 s[66:67], s[0:1], 0x5c
	s_cbranch_execnz .LBB0_8
.LBB0_7:
	v_rcp_iflag_f32_e32 v1, v1
	s_sub_i32 s2, 0, s62
	v_mul_f32_e32 v1, 0x4f7ffffe, v1
	v_cvt_u32_f32_e32 v1, v1
	s_nop 0
	v_readfirstlane_b32 s3, v1
	s_mul_i32 s2, s2, s3
	s_mul_hi_u32 s2, s3, s2
	s_add_i32 s3, s3, s2
	s_mul_hi_u32 s2, s6, s3
	s_mul_i32 s4, s2, s62
	s_sub_i32 s4, s6, s4
	s_add_i32 s3, s2, 1
	s_sub_i32 s5, s4, s62
	s_cmp_ge_u32 s4, s62
	s_cselect_b32 s2, s3, s2
	s_cselect_b32 s4, s5, s4
	s_add_i32 s3, s2, 1
	s_cmp_ge_u32 s4, s62
	s_cselect_b32 s2, s3, s2
	v_writelane_b32 v159, s2, 9
	s_nop 1
	v_writelane_b32 v159, s3, 10
.LBB0_8:
	s_abs_i32 s83, s72
	v_cvt_f32_u32_e32 v1, s83
	s_load_dwordx16 s[36:51], s[0:1], 0x0
	s_load_dwordx4 s[12:15], s[0:1], 0x40
	s_load_dword s2, s[0:1], 0x50
	v_bfe_u32 v68, v0, 10, 10
	v_bfe_u32 v19, v0, 5, 5
	v_rcp_iflag_f32_e32 v1, v1
	s_waitcnt lgkmcnt(0)
	v_cvt_f16_f32_e32 v21, s12
	v_writelane_b32 v159, s2, 11
	s_load_dwordx2 s[2:3], s[0:1], 0x8c
	s_load_dwordx4 s[56:59], s[0:1], 0x98
	s_load_dwordx2 s[74:75], s[0:1], 0xa8
	s_load_dwordx2 s[18:19], s[0:1], 0xb8
	s_nop 0
	s_load_dwordx2 s[0:1], s[0:1], 0xc8
	v_mul_f32_e32 v1, 0x4f7ffffe, v1
	v_cvt_u32_f32_e32 v1, v1
	s_waitcnt lgkmcnt(0)
	s_ashr_i32 s64, s2, 2
	s_sub_i32 s2, 0, s83
	v_writelane_b32 v159, s0, 12
	s_ashr_i32 s68, s19, 1
	s_ashr_i32 s54, s58, 2
	v_writelane_b32 v159, s1, 13
	s_ashr_i32 s0, s55, 3
	v_writelane_b32 v159, s0, 14
	s_mov_b32 s1, s3
	v_readfirstlane_b32 s3, v1
	v_writelane_b32 v159, s0, 15
	s_mul_i32 s2, s2, s3
	s_mul_hi_u32 s2, s3, s2
	v_writelane_b32 v159, s1, 16
	s_ashr_i32 s1, s72, 31
	v_writelane_b32 v159, s1, 17
	s_abs_i32 s1, s76
	s_add_i32 s78, s3, s2
	s_mul_hi_u32 s2, s1, s78
	s_mul_i32 s2, s2, s83
	s_sub_i32 s1, s1, s2
	s_ashr_i32 s0, s76, 31
	s_sub_i32 s2, s1, s83
	s_cmp_ge_u32 s1, s83
	s_cselect_b32 s1, s2, s1
	s_sub_i32 s2, s1, s83
	s_cmp_ge_u32 s1, s83
	s_cselect_b32 s1, s2, s1
	s_xor_b32 s1, s1, s0
	s_sub_i32 s30, s1, s0
	v_readlane_b32 s0, v159, 9
	s_mov_b32 s6, s0
	s_sub_i32 s0, s0, s76
	s_add_i32 s4, s0, s30
	s_min_i32 s61, s72, s4
	s_cmp_gt_i32 s6, s76
	v_readlane_b32 s1, v159, 10
	s_cselect_b64 s[2:3], -1, 0
	s_cmp_le_i32 s6, s76
	s_cselect_b64 s[0:1], -1, 0
	s_cmp_gt_i32 s72, s4
	s_cselect_b64 s[4:5], -1, 0
	s_or_b64 s[0:1], s[4:5], s[0:1]
	s_mov_b32 s85, 0
	s_and_b64 vcc, exec, s[0:1]
	v_lshl_add_u32 v1, v68, 1, v19
	v_and_b32_e32 v18, 31, v0
	v_lshlrev_b32_e32 v70, 2, v68
	v_lshlrev_b32_e32 v69, 4, v68
	v_mbcnt_lo_u32_b32 v71, -1, 0
	s_cbranch_vccz .LBB0_11
; %bb.9:
	s_andn2_b64 vcc, exec, s[2:3]
	s_cbranch_vccz .LBB0_172
.LBB0_10:
	s_endpgm
.LBB0_11:
	s_cmp_lg_u64 s[42:43], 0
	v_writelane_b32 v159, s62, 18
	s_cselect_b64 s[0:1], -1, 0
	v_writelane_b32 v159, s0, 19
	s_cmp_eq_u64 s[44:45], 0
	s_mov_b64 s[2:3], s[14:15]
	v_writelane_b32 v159, s1, 20
	s_mul_i32 s0, s52, s53
	v_writelane_b32 v159, s0, 21
	s_cselect_b64 s[0:1], -1, 0
	v_writelane_b32 v159, s0, 22
	v_and_b32_e32 v2, 0x3f0, v70
	v_and_b32_e32 v4, 15, v0
	v_writelane_b32 v159, s1, 23
	s_mov_b32 s1, s13
	v_writelane_b32 v159, s0, 24
	v_lshrrev_b32_e32 v7, 1, v0
	v_mul_u32_u24_e32 v5, 0x90, v4
	v_writelane_b32 v159, s1, 25
	v_writelane_b32 v159, s2, 26
	;; [unrolled: 1-line block ×3, first 2 shown]
	s_movk_i32 s2, 0x90
	v_mad_u32_u24 v3, v2, s2, 0
	v_and_b32_e32 v7, 0x78, v7
	v_and_b32_e32 v20, 0x3ff, v0
	v_add3_u32 v73, v3, v5, v7
	v_mul_u32_u24_e32 v3, 0x90, v68
	v_lshlrev_b32_e32 v24, 1, v20
	v_add3_u32 v74, 0, v3, v24
	v_and_b32_e32 v3, 48, v69
	v_mad_u32_u24 v8, v3, s2, 0
	v_add3_u32 v79, v8, v5, v7
	v_lshrrev_b32_e32 v5, 2, v0
	v_and_b32_e32 v5, 60, v5
	v_add_u32_e32 v80, v5, v3
	v_add_u16_e32 v3, v5, v3
	v_or_b32_e32 v2, v2, v4
	v_lshrrev_b16_e32 v3, 1, v3
	v_bfe_u32 v6, v0, 3, 7
	v_mul_u32_u24_e32 v2, 0x90, v2
	v_lshlrev_b32_e32 v3, 2, v3
	v_cmp_nle_f32_e64 s[0:1], s13, 0
	v_add3_u32 v81, 0, v2, v3
	v_lshlrev_b32_e32 v2, 1, v6
	v_writelane_b32 v159, s0, 28
	s_cmp_lg_u64 s[46:47], 0
	v_and_b32_e32 v3, 60, v2
	v_or_b32_e32 v5, 2, v2
	v_or_b32_e32 v2, 3, v2
	v_writelane_b32 v159, s1, 29
	s_cselect_b64 s[0:1], -1, 0
	v_lshl_add_u32 v77, v68, 3, v6
	v_mul_u32_u24_e32 v2, 0x90, v2
	v_lshlrev_b32_e32 v6, 1, v4
	v_writelane_b32 v159, s0, 30
	v_add3_u32 v84, v8, v2, v6
	v_bfe_u32 v2, v0, 10, 2
	v_writelane_b32 v159, s1, 31
	v_cmp_eq_u32_e64 s[2:3], 0, v2
	v_mul_u32_u24_e32 v3, 0x90, v3
	v_add3_u32 v82, v8, v3, v6
	v_writelane_b32 v159, s2, 32
	s_movk_i32 s12, 0x3c0
	v_mul_u32_u24_e32 v5, 0x90, v5
	v_writelane_b32 v159, s3, 33
	v_cmp_ne_u32_e64 s[2:3], 0, v2
	v_or_b32_e32 v2, v70, v20
	v_lshlrev_b32_e32 v22, 3, v2
	v_or_b32_e32 v2, v69, v4
	v_mul_u32_u24_e32 v2, 0x90, v2
	v_add3_u32 v85, 0, v2, v7
	v_lshrrev_b32_e32 v2, 10, v0
	v_bfe_u32 v2, v2, 1, 9
	v_add_u32_e32 v86, v2, v19
	v_lshlrev_b32_e32 v2, 2, v86
	v_and_b32_e32 v3, 15, v86
	v_add_u32_e32 v87, 2, v86
	v_writelane_b32 v159, s2, 34
	v_and_or_b32 v3, v2, s12, v3
	v_lshlrev_b32_e32 v2, 2, v87
	v_and_b32_e32 v4, 15, v87
	s_movk_i32 s12, 0x7c0
	v_add_u32_e32 v88, 4, v86
	v_add3_u32 v83, v8, v5, v6
	v_writelane_b32 v159, s3, 35
	s_lshl_b32 s84, s60, 4
	v_and_or_b32 v4, v2, s12, v4
	v_lshlrev_b32_e32 v2, 2, v88
	v_and_b32_e32 v5, 15, v88
	v_add_u32_e32 v89, 6, v86
	s_ashr_i32 s69, s68, 31
	s_ashr_i32 s65, s64, 31
	;; [unrolled: 1-line block ×3, first 2 shown]
	v_writelane_b32 v159, s60, 36
	s_lshl_b64 s[2:3], s[84:85], 3
	v_and_or_b32 v5, v2, s12, v5
	v_lshlrev_b32_e32 v2, 2, v89
	v_and_b32_e32 v6, 15, v89
	v_add_u32_e32 v90, 8, v86
	s_mov_b64 s[86:87], src_private_base
	s_add_u32 s2, s50, s2
	v_and_or_b32 v6, v2, s12, v6
	v_lshlrev_b32_e32 v2, 2, v90
	v_and_b32_e32 v7, 15, v90
	v_add_u32_e32 v91, 10, v86
	v_readlane_b32 s16, v159, 6
	s_addc_u32 s3, s51, s3
	v_and_or_b32 v7, v2, s12, v7
	v_lshlrev_b32_e32 v2, 2, v91
	v_and_b32_e32 v8, 15, v91
	s_abs_i32 s86, s16
	v_and_or_b32 v8, v2, s12, v8
	v_cvt_f32_u32_e32 v2, s86
	v_lshlrev_b32_e32 v10, 2, v20
	v_and_b32_e32 v26, 28, v10
	v_readlane_b32 s15, v159, 5
	v_rcp_iflag_f32_e32 v2, v2
	v_mul_u32_u24_e32 v9, 0x90, v77
	v_lshlrev_b32_e32 v10, 2, v26
	v_add_u32_e32 v92, 12, v86
	v_mul_f32_e32 v2, 0x4f7ffffe, v2
	v_cvt_u32_f32_e32 v2, v2
	s_abs_i32 s58, s15
	v_add3_u32 v78, 0, v9, v10
	v_lshlrev_b32_e32 v9, 2, v92
	v_and_b32_e32 v10, 15, v92
	v_add_u32_e32 v93, 14, v86
	v_cvt_f32_u32_e32 v12, s58
	v_and_or_b32 v9, v9, s12, v10
	v_lshlrev_b32_e32 v10, 2, v93
	v_and_b32_e32 v11, 15, v93
	v_and_or_b32 v10, v10, s12, v11
	s_sub_i32 s12, 0, s86
	v_readfirstlane_b32 s13, v2
	s_mul_i32 s12, s12, s13
	v_rcp_iflag_f32_e32 v2, v12
	s_mul_hi_u32 s12, s13, s12
	s_add_i32 s12, s13, s12
	v_writelane_b32 v159, s12, 37
	v_mul_f32_e32 v2, 0x4f7ffffe, v2
	v_readlane_b32 s14, v159, 2
	s_abs_i32 s60, s14
	v_cvt_u32_f32_e32 v2, v2
	v_cvt_f32_u32_e32 v11, s60
	s_abs_i32 s96, s18
	s_sub_i32 s12, 0, s58
	v_readfirstlane_b32 s13, v2
	v_rcp_iflag_f32_e32 v2, v11
	v_cvt_f32_u32_e32 v11, s96
	s_mul_i32 s12, s12, s13
	s_mov_b32 s20, s18
	v_mul_f32_e32 v2, 0x4f7ffffe, v2
	v_cvt_u32_f32_e32 v2, v2
	v_rcp_iflag_f32_e32 v11, v11
	s_mul_hi_u32 s12, s13, s12
	v_writelane_b32 v159, s20, 38
	s_add_i32 s12, s13, s12
	v_readfirstlane_b32 s13, v2
	v_writelane_b32 v159, s21, 39
	v_mul_f32_e32 v2, 0x4f7ffffe, v11
	v_writelane_b32 v159, s12, 40
	s_sub_i32 s12, 0, s60
	v_cvt_u32_f32_e32 v2, v2
	s_mul_i32 s12, s12, s13
	s_mul_hi_u32 s12, s13, s12
	s_add_i32 s12, s13, s12
	v_writelane_b32 v159, s12, 41
	s_sub_i32 s12, 0, s96
	v_readfirstlane_b32 s13, v2
	s_mul_i32 s12, s12, s13
	s_mul_hi_u32 s12, s13, s12
	s_add_i32 s12, s13, s12
	v_writelane_b32 v159, s12, 42
	s_lshl_b32 s12, s53, 5
	v_writelane_b32 v159, s12, 43
	s_ashr_i32 s12, s16, 31
	v_writelane_b32 v159, s12, 44
	s_ashr_i32 s12, s15, 31
	v_mov_b32_e32 v23, 0
	v_writelane_b32 v159, s12, 45
	s_ashr_i32 s12, s14, 31
	v_writelane_b32 v159, s12, 46
	v_lshl_add_u64 v[38:39], s[2:3], 0, v[22:23]
	v_cmp_gt_u32_e64 s[2:3], 16, v20
	v_mul_lo_u32 v28, s64, v77
	v_mul_lo_u32 v32, s54, v77
	v_writelane_b32 v159, s2, 47
	v_lshl_add_u32 v30, s64, 5, v28
	v_lshl_add_u32 v34, s54, 5, v32
	v_mul_u32_u24_e32 v97, 0x90, v3
	v_and_b32_e32 v3, 7, v0
	v_writelane_b32 v159, s3, 48
	s_lshl_b64 s[2:3], s[68:69], 1
	s_mov_b32 s0, 0x10001
	v_ashrrev_i32_e32 v29, 31, v28
	v_ashrrev_i32_e32 v31, 31, v30
	;; [unrolled: 1-line block ×4, first 2 shown]
	v_add_u32_e32 v11, v69, v20
	v_lshlrev_b32_e32 v36, 4, v3
                                        ; implicit-def: $vgpr3
	v_writelane_b32 v159, s2, 49
	v_mul_lo_u32 v27, v21, s0
	v_lshl_add_u32 v72, v18, 2, 0
	v_cmp_gt_u32_e64 s[0:1], 64, v20
	v_add_u32_e32 v75, 4, v68
	v_add_u32_e32 v76, 0x240, v74
	v_cmp_gt_u32_e64 s[28:29], 64, v77
	v_cmp_gt_u32_e64 s[4:5], 32, v77
	;; [unrolled: 1-line block ×5, first 2 shown]
	v_mov_b32_e32 v2, v23
	v_add_u32_e32 v94, 8, v68
	v_mul_u32_u24_e32 v95, 0x90, v11
	v_add_u32_e32 v96, 0x480, v74
	v_mul_u32_u24_e32 v98, 0x90, v4
	v_mul_u32_u24_e32 v99, 0x90, v5
	v_mul_u32_u24_e32 v100, 0x90, v6
	v_mul_u32_u24_e32 v101, 0x90, v7
	v_mul_u32_u24_e32 v102, 0x90, v8
	v_mul_u32_u24_e32 v103, 0x90, v9
	v_mul_u32_u24_e32 v104, 0x90, v10
	v_add_u32_e32 v105, 12, v68
	v_add_u32_e32 v106, 0x6c0, v74
	;; [unrolled: 1-line block ×3, first 2 shown]
	v_mov_b32_e32 v25, v23
	v_mov_b32_e32 v37, v23
	v_add_u32_e32 v108, 0x1200, v78
	v_or_b32_e32 v109, 1, v80
	v_or_b32_e32 v110, 2, v80
	;; [unrolled: 1-line block ×3, first 2 shown]
	v_mul_u32_u24_e32 v112, 0x90, v1
	s_mov_b32 s97, 0x42b17218
	v_add_u32_e32 v113, 8, v1
	s_mov_b32 s53, 0x3fb8aa3b
	v_mov_b32_e32 v114, 0x3e91f4c4
	s_mov_b32 s77, 0xc2ce8ed0
	v_mov_b32_e32 v115, 0x37000000
	v_mov_b32_e32 v116, 0x7f800000
	s_mov_b32 s34, 0xc1a00000
	v_mov_b32_e32 v117, 0x7fc00000
	s_mov_b32 s33, 0x5040100
	v_mov_b32_e32 v3, v23
	v_mov_b32_e32 v4, v23
	;; [unrolled: 1-line block ×3, first 2 shown]
	v_mbcnt_hi_u32_b32 v118, -1, v71
	v_mov_b32_e32 v119, 0
	v_lshl_add_u64 v[40:41], v[32:33], 2, s[40:41]
	v_lshl_add_u64 v[42:43], v[34:35], 2, s[40:41]
	;; [unrolled: 1-line block ×4, first 2 shown]
	v_cmp_gt_u32_e64 s[16:17], 61, v80
	v_writelane_b32 v159, s3, 50
	s_lshl_b64 s[98:99], s[54:55], 8
	s_lshl_b64 s[80:81], s[64:65], 8
	s_mov_b64 s[88:89], 0x80
	v_writelane_b32 v159, s78, 51
	s_branch .LBB0_14
.LBB0_12:                               ;   in Loop: Header=BB0_14 Depth=1
	s_or_b64 exec, exec, s[20:21]
	s_barrier
.LBB0_13:                               ;   in Loop: Header=BB0_14 Depth=1
	s_add_i32 s2, s76, s72
	s_abs_i32 s12, s2
	s_mul_hi_u32 s13, s12, s78
	s_mul_i32 s13, s13, s83
	s_sub_i32 s12, s12, s13
	s_ashr_i32 s3, s2, 31
	s_sub_i32 s13, s12, s83
	s_cmp_ge_u32 s12, s83
	s_cselect_b32 s12, s13, s12
	s_sub_i32 s13, s12, s83
	s_cmp_ge_u32 s12, s83
	s_cselect_b32 s12, s13, s12
	s_xor_b32 s12, s12, s3
	s_sub_i32 s3, s3, s12
	s_add_i32 s76, s2, s3
	v_readlane_b32 s2, v159, 9
	s_sub_i32 s12, s2, s76
	s_min_i32 s61, s72, s12
	v_readlane_b32 s3, v159, 10
	s_cmp_gt_i32 s2, s76
	s_cselect_b64 s[2:3], -1, 0
	s_cmp_le_i32 s72, s12
	s_cselect_b64 s[12:13], -1, 0
	s_and_b64 s[12:13], s[12:13], s[2:3]
	s_mov_b32 s30, 0
	s_and_b64 vcc, exec, s[12:13]
	s_cbranch_vccz .LBB0_171
.LBB0_14:                               ; =>This Loop Header: Depth=1
                                        ;     Child Loop BB0_111 Depth 2
                                        ;     Child Loop BB0_31 Depth 2
	s_ashr_i32 s2, s76, 31
	v_readlane_b32 s3, v159, 44
	s_xor_b32 s2, s2, s3
	s_abs_i32 s3, s76
	v_readlane_b32 s12, v159, 37
	s_mul_hi_u32 s12, s3, s12
	s_mul_i32 s13, s12, s86
	s_sub_i32 s3, s3, s13
	s_add_i32 s13, s12, 1
	s_sub_i32 s14, s3, s86
	s_cmp_ge_u32 s3, s86
	s_cselect_b32 s12, s13, s12
	s_cselect_b32 s3, s14, s3
	s_add_i32 s13, s12, 1
	s_cmp_ge_u32 s3, s86
	s_cselect_b32 s3, s13, s12
	s_xor_b32 s3, s3, s2
	s_sub_i32 s12, s3, s2
	v_readlane_b32 s2, v159, 19
	v_readlane_b32 s3, v159, 20
	s_ashr_i32 s13, s12, 31
	s_andn2_b64 vcc, exec, s[2:3]
	s_mov_b64 s[92:93], 0
	s_cbranch_vccnz .LBB0_16
; %bb.15:                               ;   in Loop: Header=BB0_14 Depth=1
	s_abs_i32 s2, s12
	v_readlane_b32 s3, v159, 42
	s_mul_hi_u32 s3, s2, s3
	s_mul_i32 s3, s3, s96
	s_sub_i32 s2, s2, s3
	s_sub_i32 s3, s2, s96
	s_cmp_ge_u32 s2, s96
	s_cselect_b32 s2, s3, s2
	s_sub_i32 s3, s2, s96
	s_cmp_ge_u32 s2, s96
	s_cselect_b32 s2, s3, s2
	s_xor_b32 s2, s2, s13
	s_sub_i32 s2, s2, s13
	s_ashr_i32 s3, s2, 31
	v_readlane_b32 s18, v159, 12
	v_readlane_b32 s19, v159, 13
	s_mul_i32 s3, s18, s3
	s_mul_hi_u32 s14, s18, s2
	s_add_i32 s3, s14, s3
	s_mul_i32 s14, s19, s2
	s_add_i32 s3, s3, s14
	s_mul_i32 s2, s18, s2
	s_add_u32 s92, s42, s2
	s_addc_u32 s93, s43, s3
.LBB0_16:                               ;   in Loop: Header=BB0_14 Depth=1
	v_readlane_b32 s2, v159, 6
	s_mul_i32 s2, s12, s2
	s_sub_i32 s2, s76, s2
	s_ashr_i32 s3, s2, 31
	v_readlane_b32 s14, v159, 45
	s_xor_b32 s3, s3, s14
	s_abs_i32 s14, s2
	v_readlane_b32 s15, v159, 40
	s_mul_hi_u32 s15, s14, s15
	s_mul_i32 s18, s15, s58
	s_sub_i32 s14, s14, s18
	s_add_i32 s18, s15, 1
	s_sub_i32 s19, s14, s58
	s_cmp_ge_u32 s14, s58
	s_cselect_b32 s15, s18, s15
	s_cselect_b32 s14, s19, s14
	s_add_i32 s18, s15, 1
	s_cmp_ge_u32 s14, s58
	s_cselect_b32 s14, s18, s15
	s_xor_b32 s14, s14, s3
	s_sub_i32 s14, s14, s3
	v_readlane_b32 s3, v159, 5
	s_mul_i32 s3, s14, s3
	s_sub_i32 s2, s2, s3
	s_ashr_i32 s3, s2, 31
	v_readlane_b32 s15, v159, 46
	s_xor_b32 s3, s3, s15
	s_abs_i32 s15, s2
	v_readlane_b32 s18, v159, 41
	s_mul_hi_u32 s18, s15, s18
	s_mul_i32 s19, s18, s60
	s_sub_i32 s15, s15, s19
	s_add_i32 s19, s18, 1
	s_sub_i32 s20, s15, s60
	s_cmp_ge_u32 s15, s60
	s_cselect_b32 s18, s19, s18
	s_cselect_b32 s15, s20, s15
	s_add_i32 s19, s18, 1
	s_cmp_ge_u32 s15, s60
	s_cselect_b32 s15, s19, s18
	s_xor_b32 s15, s15, s3
	s_sub_i32 s3, s15, s3
	v_readlane_b32 s15, v159, 1
	v_readlane_b32 s18, v159, 28
	s_mul_i32 s15, s14, s15
	v_readlane_b32 s19, v159, 29
	s_add_i32 s24, s15, s3
	s_andn2_b64 vcc, exec, s[18:19]
	v_mov_b32_e32 v48, 1.0
	s_cbranch_vccnz .LBB0_18
; %bb.17:                               ;   in Loop: Header=BB0_14 Depth=1
	v_readlane_b32 s15, v159, 11
	v_readlane_b32 s20, v159, 24
	v_readlane_b32 s22, v159, 26
	v_mov_b32_e32 v6, s15
	v_sub_co_u32_e32 v6, vcc, s24, v6
	s_add_i32 s15, s24, 1
	v_lshlrev_b32_e32 v6, 1, v6
	v_mov_b32_e32 v8, s15
	v_or_b32_e32 v6, 1, v6
	v_cndmask_b32_e32 v6, v6, v8, vcc
	v_readlane_b32 s23, v159, 27
	v_cvt_f32_i32_e32 v6, v6
	v_mov_b32_e32 v8, s22
	v_mov_b32_e32 v7, s23
	v_cndmask_b32_e32 v7, v7, v8, vcc
	v_cmp_neq_f32_e32 vcc, 1.0, v7
	s_mov_b32 s15, 0x3f2aaaab
	s_movk_i32 s18, 0x204
	v_cndmask_b32_e32 v22, 1.0, v6, vcc
	v_cmp_neq_f32_e32 vcc, 0, v22
	v_readlane_b32 s21, v159, 25
	v_cmp_gt_f32_e64 s[22:23], 0, v22
	v_cndmask_b32_e32 v52, 1.0, v7, vcc
	v_frexp_mant_f32_e64 v6, |v52|
	v_cmp_gt_f32_e32 vcc, s15, v6
	s_mov_b32 s15, 0x3f317218
	s_nop 0
	v_cndmask_b32_e64 v7, 1.0, 2.0, vcc
	v_mul_f32_e32 v6, v6, v7
	v_add_f32_e32 v9, 1.0, v6
	v_rcp_f32_e32 v14, v9
	v_add_f32_e32 v7, -1.0, v9
	v_sub_f32_e32 v11, v6, v7
	v_add_f32_e32 v7, -1.0, v6
	v_mul_f32_e32 v15, v7, v14
	v_mul_f32_e32 v8, v9, v15
	v_fma_f32 v10, v15, v9, -v8
	v_fmac_f32_e32 v10, v15, v11
	v_add_f32_e32 v6, v8, v10
	v_sub_f32_e32 v9, v7, v6
	v_pk_add_f32 v[12:13], v[6:7], v[8:9] neg_lo:[0,1] neg_hi:[0,1]
	v_mov_b32_e32 v11, v6
	v_pk_add_f32 v[6:7], v[12:13], v[10:11] neg_lo:[0,1] neg_hi:[0,1]
	s_nop 0
	v_add_f32_e32 v6, v6, v7
	v_add_f32_e32 v6, v9, v6
	v_mul_f32_e32 v7, v14, v6
	v_add_f32_e32 v6, v15, v7
	v_sub_f32_e32 v8, v6, v15
	v_sub_f32_e32 v16, v7, v8
	v_mul_f32_e32 v7, v6, v6
	v_fma_f32 v9, v6, v6, -v7
	v_add_f32_e32 v8, v16, v16
	v_fmac_f32_e32 v9, v6, v8
	v_add_f32_e32 v8, v7, v9
	v_fmamk_f32 v10, v8, 0x3e76c4e1, v114
	v_fmaak_f32 v10, v8, v10, 0x3ecccdef
	v_sub_f32_e32 v7, v8, v7
	v_sub_f32_e32 v17, v9, v7
	v_mul_f32_e32 v7, v8, v10
	v_fma_f32 v9, v8, v10, -v7
	v_fmac_f32_e32 v9, v17, v10
	v_add_f32_e32 v10, v7, v9
	v_add_f32_e32 v11, 0x3f2aaaaa, v10
	v_sub_f32_e32 v7, v10, v7
	v_sub_f32_e32 v7, v9, v7
	v_add_f32_e32 v9, 0xbf2aaaaa, v11
	v_add_f32_e32 v7, 0x31739010, v7
	v_sub_f32_e32 v9, v10, v9
	v_pk_mul_f32 v[12:13], v[6:7], v[8:9]
	v_pk_add_f32 v[14:15], v[6:7], v[8:9]
	v_fma_f32 v10, v8, v6, -v12
	v_fmac_f32_e32 v10, v8, v16
	v_mov_b32_e32 v13, v15
	v_fmac_f32_e32 v10, v17, v6
	v_pk_add_f32 v[8:9], v[12:13], v[10:11]
	v_ldexp_f32 v48, v16, 1
	v_sub_f32_e32 v7, v8, v12
	v_sub_f32_e32 v7, v10, v7
	;; [unrolled: 1-line block ×3, first 2 shown]
	v_add_f32_e32 v14, v15, v10
	v_pk_mul_f32 v[10:11], v[8:9], v[8:9] op_sel:[0,1] op_sel_hi:[1,0]
	v_cvt_f64_f32_e64 v[12:13], |v52|
	v_frexp_exp_i32_f64_e32 v11, v[12:13]
	v_subbrev_co_u32_e32 v11, vcc, 0, v11, vcc
	v_cvt_f32_i32_e32 v11, v11
	v_fma_f32 v12, v8, v9, -v10
	v_fmac_f32_e32 v12, v8, v14
	v_fmac_f32_e32 v12, v7, v9
	v_mul_f32_e32 v8, 0x3f317218, v11
	v_fma_f32 v14, v11, s15, -v8
	v_fmac_f32_e32 v14, 0xb102e308, v11
	v_ldexp_f32 v15, v6, 1
	v_add_f32_e32 v9, v10, v12
	v_pk_add_f32 v[6:7], v[8:9], v[14:15]
	v_mov_b32_e32 v16, v9
	v_mov_b32_e32 v17, v7
	;; [unrolled: 1-line block ×3, first 2 shown]
	v_pk_add_f32 v[10:11], v[16:17], v[10:11] neg_lo:[0,1] neg_hi:[0,1]
	v_mov_b32_e32 v13, v9
	v_pk_add_f32 v[10:11], v[12:13], v[10:11] neg_lo:[0,1] neg_hi:[0,1]
	v_mov_b32_e32 v15, v6
	v_add_f32_e32 v9, v48, v10
	v_add_f32_e32 v9, v9, v11
	v_pk_add_f32 v[10:11], v[6:7], v[8:9] neg_lo:[0,1] neg_hi:[0,1]
	v_pk_add_f32 v[12:13], v[6:7], v[8:9]
	v_mov_b32_e32 v50, v7
	v_mov_b32_e32 v11, v13
	v_pk_add_f32 v[16:17], v[14:15], v[10:11] neg_lo:[0,1] neg_hi:[0,1]
	v_pk_add_f32 v[10:11], v[14:15], v[10:11]
	v_mov_b32_e32 v8, v9
	v_pk_add_f32 v[14:15], v[10:11], v[6:7] op_sel:[1,0] op_sel_hi:[0,1] neg_lo:[0,1] neg_hi:[0,1]
	v_pk_add_f32 v[48:49], v[12:13], v[14:15] op_sel_hi:[1,0] neg_lo:[0,1] neg_hi:[0,1]
	v_mov_b32_e32 v12, v13
	v_mov_b32_e32 v13, v11
	;; [unrolled: 1-line block ×3, first 2 shown]
	v_pk_add_f32 v[12:13], v[12:13], v[50:51] neg_lo:[0,1] neg_hi:[0,1]
	v_mov_b32_e32 v9, v6
	v_pk_add_f32 v[6:7], v[8:9], v[12:13] neg_lo:[0,1] neg_hi:[0,1]
	v_mov_b32_e32 v48, v16
	v_pk_add_f32 v[8:9], v[48:49], v[6:7]
	v_mov_b32_e32 v17, v11
	v_pk_add_f32 v[12:13], v[8:9], v[8:9] op_sel:[0,1] op_sel_hi:[1,0]
	s_mov_b32 s15, 0x7f800000
	v_pk_add_f32 v[10:11], v[10:11], v[12:13] op_sel:[1,0] op_sel_hi:[0,1]
	v_mov_b32_e32 v9, v10
	v_pk_add_f32 v[14:15], v[8:9], v[16:17] neg_lo:[0,1] neg_hi:[0,1]
	v_mov_b32_e32 v7, v12
	v_sub_f32_e32 v8, v8, v14
	v_pk_add_f32 v[6:7], v[6:7], v[14:15] neg_lo:[0,1] neg_hi:[0,1]
	v_sub_f32_e32 v8, v16, v8
	v_add_f32_e32 v6, v6, v8
	v_add_f32_e32 v6, v6, v7
	;; [unrolled: 1-line block ×3, first 2 shown]
	v_sub_f32_e32 v8, v7, v10
	v_sub_f32_e32 v6, v6, v8
	v_mul_f32_e32 v8, v22, v7
	v_fma_f32 v7, v22, v7, -v8
	v_fmac_f32_e32 v7, v22, v6
	v_add_f32_e32 v6, v8, v7
	v_cmp_class_f32_e64 vcc, v8, s18
	v_sub_f32_e32 v9, v6, v8
	v_sub_f32_e32 v7, v7, v9
	v_cndmask_b32_e32 v6, v6, v8, vcc
	v_cmp_eq_f32_e32 vcc, s97, v6
	s_nop 1
	v_cndmask_b32_e32 v8, 0, v115, vcc
	v_sub_f32_e32 v9, v6, v8
	v_mul_f32_e32 v10, 0x3fb8aa3b, v9
	v_fma_f32 v11, v9, s53, -v10
	v_rndne_f32_e32 v12, v10
	v_fmac_f32_e32 v11, 0x32a5705f, v9
	v_sub_f32_e32 v10, v10, v12
	v_add_f32_e32 v10, v10, v11
	v_exp_f32_e32 v10, v10
	v_cvt_i32_f32_e32 v11, v12
	v_cmp_neq_f32_e64 vcc, |v6|, s15
	s_brev_b32 s15, -2
	s_nop 0
	v_cndmask_b32_e32 v6, 0, v7, vcc
	v_ldexp_f32 v7, v10, v11
	v_cmp_ngt_f32_e32 vcc, s77, v9
	v_add_f32_e32 v6, v8, v6
	s_nop 0
	v_cndmask_b32_e32 v7, 0, v7, vcc
	v_cmp_nlt_f32_e32 vcc, s97, v9
	s_nop 1
	v_cndmask_b32_e32 v7, v116, v7, vcc
	v_fma_f32 v6, v7, v6, v7
	v_cmp_class_f32_e64 vcc, v7, s18
	v_cmp_class_f32_e64 s[18:19], v52, s18
	s_nop 0
	v_cndmask_b32_e32 v6, v6, v7, vcc
	v_trunc_f32_e32 v7, v22
	v_cmp_eq_f32_e32 vcc, v7, v22
	v_mul_f32_e32 v7, 0.5, v22
	v_trunc_f32_e32 v8, v7
	v_cmp_neq_f32_e64 s[20:21], v8, v7
	s_and_b64 s[20:21], vcc, s[20:21]
	s_nop 0
	v_cndmask_b32_e64 v7, 1.0, v52, s[20:21]
	v_bfi_b32 v6, s15, v6, v7
	v_cndmask_b32_e32 v7, v117, v6, vcc
	v_cmp_gt_f32_e32 vcc, 0, v52
	v_cndmask_b32_e64 v8, 0, v52, s[20:21]
	s_nop 0
	v_cndmask_b32_e32 v6, v6, v7, vcc
	v_cmp_eq_f32_e32 vcc, 0, v52
	s_xor_b64 s[22:23], s[22:23], vcc
	v_cndmask_b32_e64 v7, v116, 0, s[22:23]
	v_bfi_b32 v7, s15, v7, v8
	s_or_b64 vcc, vcc, s[18:19]
	v_cndmask_b32_e32 v6, v6, v7, vcc
	v_cmp_o_f32_e32 vcc, v52, v52
	s_nop 1
	v_cndmask_b32_e32 v48, v117, v6, vcc
.LBB0_18:                               ;   in Loop: Header=BB0_14 Depth=1
	v_readlane_b32 s15, v159, 2
	s_mul_i32 s3, s3, s15
	s_sub_i32 s2, s2, s3
	s_ashr_i32 s3, s2, 31
	v_readlane_b32 s15, v159, 17
	s_abs_i32 s2, s2
	s_xor_b32 s3, s3, s15
	s_mul_hi_u32 s15, s2, s78
	s_mul_i32 s18, s15, s83
	s_sub_i32 s2, s2, s18
	s_add_i32 s18, s15, 1
	s_sub_i32 s19, s2, s83
	s_cmp_ge_u32 s2, s83
	s_cselect_b32 s15, s18, s15
	s_cselect_b32 s2, s19, s2
	s_add_i32 s18, s15, 1
	s_cmp_ge_u32 s2, s83
	s_cselect_b32 s2, s18, s15
	v_readlane_b32 s18, v159, 30
	s_xor_b32 s2, s2, s3
	v_readlane_b32 s19, v159, 31
	s_andn2_b64 vcc, exec, s[18:19]
	s_sub_i32 s19, s2, s3
	s_cbranch_vccnz .LBB0_20
; %bb.19:                               ;   in Loop: Header=BB0_14 Depth=1
	v_readlane_b32 s2, v159, 0
	s_mul_i32 s2, s12, s2
	s_add_i32 s2, s19, s2
	s_ashr_i32 s3, s2, 31
	s_lshl_b64 s[2:3], s[2:3], 2
	s_add_u32 s2, s46, s2
	s_addc_u32 s3, s47, s3
	global_load_dword v6, v23, s[2:3]
	s_waitcnt vmcnt(0)
	v_readfirstlane_b32 s2, v6
	s_ashr_i32 s3, s2, 31
	s_lshr_b32 s3, s3, 26
	s_add_i32 s2, s2, s3
	s_ashr_i32 s2, s2, 6
	s_min_i32 s61, s61, s2
.LBB0_20:                               ;   in Loop: Header=BB0_14 Depth=1
	v_readlane_b32 s2, v159, 21
	s_mul_i32 s2, s2, s12
	s_add_i32 s2, s24, s2
	s_lshl_b32 s84, s2, 5
	s_lshl_b64 s[2:3], s[84:85], 3
	s_add_u32 s2, s48, s2
	s_mul_i32 s15, s74, s13
	s_mul_hi_u32 s18, s74, s12
	s_addc_u32 s3, s49, s3
	s_add_i32 s15, s18, s15
	s_mul_i32 s18, s75, s12
	s_add_i32 s15, s15, s18
	s_mul_i32 s84, s74, s12
	s_add_u32 s20, s40, s84
	s_mul_i32 s35, s14, s59
	s_addc_u32 s21, s41, s15
	s_ashr_i32 s18, s35, 31
	s_add_u32 s62, s20, s35
	s_addc_u32 s63, s21, s18
	s_ashr_i32 s25, s24, 31
	s_lshl_b64 s[20:21], s[24:25], 2
	s_add_u32 s22, s44, s20
	s_addc_u32 s23, s45, s21
	v_readlane_b32 s20, v159, 22
	v_readlane_b32 s21, v159, 23
	s_and_b64 s[20:21], s[20:21], exec
	s_cselect_b32 s91, 0, s23
	s_cselect_b32 s90, 0, s22
	v_readlane_b32 s22, v159, 7
	v_readlane_b32 s23, v159, 8
	s_mul_i32 s20, s12, s23
	s_ashr_i32 s21, s20, 31
	s_add_u32 s20, s36, s20
	s_mul_i32 s22, s24, s22
	s_addc_u32 s21, s37, s21
	s_ashr_i32 s23, s22, 31
	s_add_u32 s94, s20, s22
	s_mul_i32 s13, s56, s13
	s_mul_hi_u32 s20, s56, s12
	s_addc_u32 s95, s21, s23
	s_add_i32 s13, s20, s13
	s_mul_i32 s20, s57, s12
	s_add_i32 s70, s13, s20
	v_readlane_b32 s20, v159, 15
	s_mul_i32 s71, s56, s12
	v_readlane_b32 s21, v159, 16
	s_add_u32 s12, s38, s71
	s_mul_i32 s73, s14, s21
	s_addc_u32 s13, s39, s70
	s_ashr_i32 s82, s73, 31
	s_add_u32 s69, s12, s73
	s_addc_u32 s14, s13, s82
	s_cmp_lg_u32 s30, 0
	s_cbranch_scc0 .LBB0_39
; %bb.21:                               ;   in Loop: Header=BB0_14 Depth=1
	s_lshl_b32 s12, s19, 4
	v_add_u32_e32 v6, s12, v1
	v_cmp_le_i32_e32 vcc, s52, v6
	s_and_saveexec_b64 s[20:21], vcc
	s_xor_b64 s[20:21], exec, s[20:21]
; %bb.22:                               ;   in Loop: Header=BB0_14 Depth=1
	v_add_u32_e32 v6, v72, v112
	ds_write_b32 v6, v23
                                        ; implicit-def: $vgpr6
; %bb.23:                               ;   in Loop: Header=BB0_14 Depth=1
	s_andn2_saveexec_b64 s[20:21], s[20:21]
	s_cbranch_execz .LBB0_25
; %bb.24:                               ;   in Loop: Header=BB0_14 Depth=1
	v_readlane_b32 s13, v159, 14
	s_nop 1
	v_mad_u64_u32 v[6:7], s[22:23], v6, s13, v[18:19]
	v_ashrrev_i32_e32 v7, 31, v6
	v_lshl_add_u64 v[6:7], v[6:7], 3, s[94:95]
	global_load_dwordx2 v[6:7], v[6:7], off
	s_waitcnt vmcnt(0)
	v_cvt_pk_f16_f32 v6, v6, v7
	v_pk_mul_f16 v6, v6, v27
	v_add_u32_e32 v7, v72, v112
	ds_write_b32 v7, v6
.LBB0_25:                               ;   in Loop: Header=BB0_14 Depth=1
	s_or_b64 exec, exec, s[20:21]
	v_add_u32_e32 v6, s12, v113
	v_cmp_le_i32_e32 vcc, s52, v6
	s_and_saveexec_b64 s[20:21], vcc
	s_xor_b64 s[20:21], exec, s[20:21]
; %bb.26:                               ;   in Loop: Header=BB0_14 Depth=1
	v_add_u32_e32 v6, v72, v112
	ds_write_b32 v6, v23 offset:1152
                                        ; implicit-def: $vgpr6
; %bb.27:                               ;   in Loop: Header=BB0_14 Depth=1
	s_andn2_saveexec_b64 s[20:21], s[20:21]
	s_cbranch_execz .LBB0_29
; %bb.28:                               ;   in Loop: Header=BB0_14 Depth=1
	v_readlane_b32 s13, v159, 14
	s_nop 1
	v_mad_u64_u32 v[6:7], s[22:23], v6, s13, v[18:19]
	v_ashrrev_i32_e32 v7, 31, v6
	v_lshl_add_u64 v[6:7], v[6:7], 3, s[94:95]
	global_load_dwordx2 v[6:7], v[6:7], off
	s_waitcnt vmcnt(0)
	v_cvt_pk_f16_f32 v6, v6, v7
	v_pk_mul_f16 v6, v6, v27
	v_add_u32_e32 v7, v72, v112
	ds_write_b32 v7, v6 offset:1152
.LBB0_29:                               ;   in Loop: Header=BB0_14 Depth=1
	s_or_b64 exec, exec, s[20:21]
	s_waitcnt lgkmcnt(0)
	s_barrier
	ds_read2_b64 v[10:13], v73 offset1:4
	ds_read2_b64 v[6:9], v73 offset0:8 offset1:12
	s_add_i32 s13, s61, -1
	s_cmp_ge_i32 s30, s13
	s_waitcnt lgkmcnt(0)
	s_barrier
	s_cbranch_scc1 .LBB0_40
; %bb.30:                               ;   in Loop: Header=BB0_14 Depth=1
	v_add_u32_e32 v14, s12, v68
	v_mul_hi_u32 v15, s66, v14
	v_add_u32_e32 v15, v14, v15
	v_lshrrev_b32_e32 v15, s67, v15
	v_mul_lo_u32 v15, v15, s52
	v_sub_u32_e32 v14, v14, v15
	v_mad_i64_i32 v[52:53], s[20:21], v14, s68, 0
	v_add_u32_e32 v14, s12, v75
	v_mul_hi_u32 v15, s66, v14
	v_add_u32_e32 v15, v14, v15
	v_lshrrev_b32_e32 v15, s67, v15
	v_mul_lo_u32 v15, v15, s52
	v_sub_u32_e32 v14, v14, v15
	v_mad_i64_i32 v[54:55], s[20:21], v14, s68, 0
	;; [unrolled: 7-line block ×4, first 2 shown]
	v_and_b32_e32 v14, 64, v118
	v_add_u32_e32 v14, 64, v14
	v_xor_b32_e32 v15, 32, v118
	v_cmp_lt_i32_e32 vcc, v15, v14
	s_cmp_lg_u64 s[92:93], 0
	v_lshlrev_b32_e32 v22, 1, v20
	v_cndmask_b32_e32 v15, v118, v15, vcc
	v_lshlrev_b32_e32 v122, 2, v15
	v_xor_b32_e32 v15, 16, v118
	v_cmp_lt_i32_e32 vcc, v15, v14
	s_cselect_b64 s[22:23], -1, 0
	v_lshl_add_u64 v[50:51], s[92:93], 0, v[22:23]
	v_cndmask_b32_e32 v14, v118, v15, vcc
	v_lshlrev_b32_e32 v123, 2, v14
	v_mov_b32_e32 v60, v48
	v_mov_b32_e32 v61, v48
	s_lshl_b32 s24, s30, 6
	v_mov_b32_e32 v63, 0
	v_mov_b32_e32 v125, 0xfeffffff
	;; [unrolled: 1-line block ×10, first 2 shown]
.LBB0_31:                               ;   Parent Loop BB0_14 Depth=1
                                        ; =>  This Inner Loop Header: Depth=2
	v_cndmask_b32_e64 v14, 0, 1, s[22:23]
	v_cmp_ne_u32_e64 s[20:21], 1, v14
	s_andn2_b64 vcc, exec, s[22:23]
	s_ashr_i32 s25, s24, 31
	s_cbranch_vccnz .LBB0_35
; %bb.32:                               ;   in Loop: Header=BB0_31 Depth=2
	v_mov_b32_e32 v14, 0
	v_mov_b32_e32 v15, 0
	;; [unrolled: 1-line block ×4, first 2 shown]
	s_and_saveexec_b64 s[26:27], s[0:1]
	s_cbranch_execz .LBB0_34
; %bb.33:                               ;   in Loop: Header=BB0_31 Depth=2
	v_lshl_add_u64 v[14:15], s[24:25], 1, v[50:51]
	v_lshl_add_u64 v[16:17], v[52:53], 1, v[14:15]
	;; [unrolled: 1-line block ×5, first 2 shown]
	global_load_ushort v14, v[16:17], off
	global_load_ushort v15, v[126:127], off
	s_nop 0
	global_load_ushort v16, v[128:129], off
	global_load_ushort v17, v[130:131], off
.LBB0_34:                               ;   in Loop: Header=BB0_31 Depth=2
	s_or_b64 exec, exec, s[26:27]
	s_waitcnt vmcnt(3)
	ds_write_b16 v74, v14 offset:9216
	s_waitcnt vmcnt(2)
	ds_write_b16 v76, v15 offset:9216
	;; [unrolled: 2-line block ×4, first 2 shown]
.LBB0_35:                               ;   in Loop: Header=BB0_31 Depth=2
	s_mul_hi_i32 s27, s24, s64
	s_mul_i32 s26, s24, s64
	s_lshl_b64 s[26:27], s[26:27], 2
	s_add_u32 s26, s69, s26
	s_addc_u32 s27, s14, s27
	v_lshl_add_u64 v[14:15], v[28:29], 2, s[26:27]
	v_lshlrev_b32_e32 v22, 2, v26
	v_lshl_add_u64 v[14:15], v[14:15], 0, v[22:23]
	v_mov_b32_e32 v49, s87
	v_cndmask_b32_e64 v15, v49, v15, s[28:29]
	v_cndmask_b32_e64 v14, v119, v14, s[28:29]
	scratch_store_dwordx4 off, v[2:5], off
	flat_load_dwordx4 v[14:17], v[14:15]
	v_lshl_add_u64 v[126:127], v[30:31], 2, s[26:27]
	v_lshl_add_u64 v[126:127], v[126:127], 0, v[22:23]
	v_cndmask_b32_e64 v127, v49, v127, s[4:5]
	v_cndmask_b32_e64 v126, v119, v126, s[4:5]
	s_and_b64 vcc, exec, s[20:21]
	s_waitcnt vmcnt(0) lgkmcnt(0)
	ds_write_b128 v78, v[14:17]
	flat_load_dwordx4 v[14:17], v[126:127]
	s_waitcnt vmcnt(0) lgkmcnt(0)
	ds_write_b128 v108, v[14:17]
	s_waitcnt lgkmcnt(0)
	s_barrier
	ds_read2_b64 v[14:17], v79 offset1:4
	s_waitcnt lgkmcnt(0)
	v_mfma_f32_16x16x16_f16 v[126:129], v[14:15], v[10:11], 0
	v_mfma_f32_16x16x16_f16 v[14:17], v[16:17], v[12:13], v[126:129]
	s_nop 6
	ds_read2_b64 v[126:129], v79 offset0:8 offset1:12
	s_waitcnt lgkmcnt(0)
	v_mfma_f32_16x16x16_f16 v[14:17], v[126:127], v[6:7], v[14:17]
	s_barrier
	v_mfma_f32_16x16x16_f16 v[14:17], v[128:129], v[8:9], v[14:17]
	s_cbranch_vccnz .LBB0_37
; %bb.36:                               ;   in Loop: Header=BB0_31 Depth=2
	v_add_u32_e32 v49, 0x2400, v81
	ds_read2_b32 v[126:127], v49 offset1:1
	v_mov_b32_e32 v49, v48
	s_waitcnt lgkmcnt(0)
	v_cvt_f32_f16_e32 v128, v126
	v_cvt_f32_f16_e32 v130, v127
	v_cvt_f32_f16_sdwa v131, v127 dst_sel:DWORD dst_unused:UNUSED_PAD src0_sel:WORD_1
	v_cvt_f32_f16_sdwa v129, v126 dst_sel:DWORD dst_unused:UNUSED_PAD src0_sel:WORD_1
	v_pk_fma_f32 v[16:17], v[48:49], v[130:131], v[16:17]
	v_pk_fma_f32 v[14:15], v[60:61], v[128:129], v[14:15]
.LBB0_37:                               ;   in Loop: Header=BB0_31 Depth=2
	s_mul_hi_i32 s21, s24, s54
	s_mul_i32 s20, s24, s54
	s_lshl_b64 s[20:21], s[20:21], 2
	s_add_u32 s20, s62, s20
	s_addc_u32 s21, s63, s21
	v_lshl_add_u64 v[126:127], v[32:33], 2, s[20:21]
	v_lshl_add_u64 v[126:127], v[126:127], 0, v[22:23]
	v_mov_b32_e32 v49, s87
	v_cndmask_b32_e64 v127, v49, v127, s[28:29]
	v_cndmask_b32_e64 v126, v119, v126, s[28:29]
	scratch_store_dwordx4 off, v[2:5], off
	flat_load_dwordx4 v[126:129], v[126:127]
	v_add_f32_e32 v130, 0x40051340, v14
	v_max_f32_e32 v131, v125, v125
	v_max_f32_e32 v130, v131, v130
	v_cndmask_b32_e64 v130, v125, v130, s[6:7]
	v_add_f32_e32 v132, 0x40051340, v15
	v_max_f32_e32 v131, v130, v130
	v_max_f32_e32 v131, v131, v132
	v_cndmask_b32_e64 v130, v130, v131, s[8:9]
	;; [unrolled: 4-line block ×4, first 2 shown]
	ds_bpermute_b32 v134, v122, v132
	v_max_f32_e32 v132, v132, v132
	v_mov_b32_e32 v130, s85
	v_mov_b32_e32 v131, s85
	;; [unrolled: 1-line block ×3, first 2 shown]
	s_waitcnt lgkmcnt(0)
	v_max_f32_e32 v134, v134, v134
	v_max_f32_e32 v132, v132, v134
	ds_bpermute_b32 v136, v123, v132
	v_lshl_add_u64 v[134:135], v[34:35], 2, s[20:21]
	v_lshl_add_u64 v[134:135], v[134:135], 0, v[22:23]
	v_cndmask_b32_e64 v135, v49, v135, s[4:5]
	v_cndmask_b32_e64 v134, v119, v134, s[4:5]
	s_waitcnt lgkmcnt(0)
	v_max_f32_e32 v22, v136, v136
	v_max_f32_e32 v49, v132, v22
	v_sub_f32_e32 v22, v14, v49
	v_sub_f32_e32 v132, v15, v49
	;; [unrolled: 1-line block ×5, first 2 shown]
	v_mul_f32_e32 v125, 0x3fb8aa3b, v22
	v_mul_f32_e32 v139, 0x3fb8aa3b, v132
	v_fma_f32 v143, v22, s53, -v125
	v_rndne_f32_e32 v144, v125
	v_mul_f32_e32 v140, 0x3fb8aa3b, v136
	v_fma_f32 v145, v132, s53, -v139
	v_rndne_f32_e32 v146, v139
	v_fmac_f32_e32 v143, 0x32a5705f, v22
	v_sub_f32_e32 v125, v125, v144
	v_mul_f32_e32 v141, 0x3fb8aa3b, v137
	v_fma_f32 v147, v136, s53, -v140
	v_rndne_f32_e32 v148, v140
	v_fmac_f32_e32 v145, 0x32a5705f, v132
	v_add_f32_e32 v125, v125, v143
	v_mul_f32_e32 v142, 0x3fb8aa3b, v138
	v_fma_f32 v149, v137, s53, -v141
	v_rndne_f32_e32 v150, v141
	v_fmac_f32_e32 v147, 0x32a5705f, v136
	v_exp_f32_e32 v125, v125
	v_fma_f32 v151, v138, s53, -v142
	v_rndne_f32_e32 v152, v142
	v_fmac_f32_e32 v149, 0x32a5705f, v137
	v_fmac_f32_e32 v151, 0x32a5705f, v138
	v_cmp_ngt_f32_e32 vcc, s77, v22
	s_add_i32 s30, s30, 1
	s_add_i32 s24, s24, 64
	s_cmp_lt_i32 s30, s13
	s_waitcnt vmcnt(0)
	ds_write_b128 v78, v[126:129]
	flat_load_dwordx4 v[14:17], v[134:135]
	v_sub_f32_e32 v127, v139, v146
	v_cvt_i32_f32_e32 v126, v144
	v_sub_f32_e32 v129, v140, v148
	v_add_f32_e32 v127, v127, v145
	v_cvt_i32_f32_e32 v128, v146
	v_sub_f32_e32 v135, v141, v150
	v_add_f32_e32 v129, v129, v147
	v_exp_f32_e32 v127, v127
	v_cvt_i32_f32_e32 v134, v148
	v_sub_f32_e32 v140, v142, v152
	v_add_f32_e32 v135, v135, v149
	v_exp_f32_e32 v129, v129
	v_cvt_i32_f32_e32 v139, v150
	v_add_f32_e32 v140, v140, v151
	v_exp_f32_e32 v135, v135
	v_cvt_i32_f32_e32 v141, v152
	v_exp_f32_e32 v140, v140
	v_ldexp_f32 v125, v125, v126
	v_ldexp_f32 v126, v127, v128
	v_cndmask_b32_e32 v125, 0, v125, vcc
	v_cmp_ngt_f32_e32 vcc, s77, v132
	v_ldexp_f32 v127, v129, v134
	v_ldexp_f32 v128, v135, v139
	v_cndmask_b32_e32 v126, 0, v126, vcc
	v_cmp_ngt_f32_e32 vcc, s77, v136
	v_ldexp_f32 v129, v140, v141
	s_waitcnt vmcnt(0) lgkmcnt(0)
	ds_write_b128 v108, v[14:17]
	v_cndmask_b32_e32 v127, 0, v127, vcc
	v_cmp_ngt_f32_e32 vcc, s77, v137
	s_waitcnt lgkmcnt(0)
	s_barrier
	v_cndmask_b32_e32 v128, 0, v128, vcc
	v_cmp_ngt_f32_e32 vcc, s77, v138
	s_nop 1
	v_cndmask_b32_e32 v129, 0, v129, vcc
	v_cmp_nlt_f32_e32 vcc, s97, v22
	s_nop 1
	v_cndmask_b32_e32 v22, v116, v125, vcc
	v_cmp_nlt_f32_e32 vcc, s97, v132
	v_cndmask_b32_e64 v22, 0, v22, s[6:7]
	s_nop 0
	v_cndmask_b32_e32 v132, v116, v126, vcc
	v_cmp_nlt_f32_e32 vcc, s97, v136
	v_cndmask_b32_e64 v125, v131, v132, s[8:9]
	;; [unrolled: 4-line block ×3, first 2 shown]
	s_nop 0
	v_cndmask_b32_e32 v140, v116, v128, vcc
	v_cmp_nlt_f32_e32 vcc, s97, v138
	s_nop 1
	v_cndmask_b32_e32 v128, v116, v129, vcc
	v_cmp_le_f32_e32 vcc, s34, v138
	v_cvt_pk_f16_f32 v138, v22, v125
	v_cndmask_b32_e64 v129, v133, v140, s[16:17]
	v_cndmask_b32_e32 v141, 0, v128, vcc
	v_cvt_f16_f32_e32 v130, v141
	v_add_f32_e32 v128, v132, v22
	v_cndmask_b32_e64 v22, v22, v128, s[8:9]
	v_add_f32_e32 v125, v22, v127
	v_cndmask_b32_e64 v22, v22, v125, s[10:11]
	v_mul_u32_u24_e32 v125, 0x10001, v130
	v_pk_mul_f16 v63, v63, v125
	v_pk_mul_f16 v121, v121, v125
	;; [unrolled: 1-line block ×3, first 2 shown]
	v_cvt_pk_f16_f32 v139, v126, v129
	v_pk_mul_f16 v129, v67, v125
	v_pk_mul_f16 v131, v66, v125
	;; [unrolled: 1-line block ×4, first 2 shown]
	v_cvt_f32_f16_e32 v64, v63
	v_cvt_f32_f16_sdwa v65, v63 dst_sel:DWORD dst_unused:UNUSED_PAD src0_sel:WORD_1
	v_cvt_f32_f16_e32 v66, v121
	v_cvt_f32_f16_sdwa v67, v121 dst_sel:DWORD dst_unused:UNUSED_PAD src0_sel:WORD_1
	;; [unrolled: 2-line block ×3, first 2 shown]
	ds_read_u16 v14, v82 offset:144
	ds_read_u16 v16, v82
	ds_read_u16 v63, v82 offset:32
	ds_read_u16 v120, v82 offset:176
	;; [unrolled: 1-line block ×6, first 2 shown]
	ds_read_u16 v15, v83
	ds_read_u16 v17, v84
	ds_read_u16 v142, v83 offset:32
	ds_read_u16 v143, v84 offset:32
	;; [unrolled: 1-line block ×6, first 2 shown]
	s_waitcnt lgkmcnt(6)
	v_perm_b32 v15, v17, v15, s33
	v_perm_b32 v14, v14, v16, s33
	s_waitcnt lgkmcnt(4)
	v_perm_b32 v17, v143, v142, s33
	v_perm_b32 v16, v120, v63, s33
	v_cvt_f32_f16_e32 v128, v129
	v_cvt_f32_f16_sdwa v129, v129 dst_sel:DWORD dst_unused:UNUSED_PAD src0_sel:WORD_1
	v_mfma_f32_16x16x16_f16 v[64:67], v[14:15], v[138:139], v[64:67]
	s_waitcnt lgkmcnt(2)
	v_perm_b32 v15, v145, v144, s33
	v_perm_b32 v14, v134, v121, s33
	v_pk_mul_f16 v62, v62, v125
	v_mfma_f32_16x16x16_f16 v[126:129], v[16:17], v[138:139], v[126:129]
	s_waitcnt lgkmcnt(0)
	v_perm_b32 v17, v146, v147, s33
	v_perm_b32 v16, v136, v137, s33
	v_cvt_f32_f16_e32 v130, v131
	v_cvt_f32_f16_sdwa v131, v131 dst_sel:DWORD dst_unused:UNUSED_PAD src0_sel:WORD_1
	v_cvt_f32_f16_e32 v132, v133
	v_cvt_f32_f16_sdwa v133, v133 dst_sel:DWORD dst_unused:UNUSED_PAD src0_sel:WORD_1
	;; [unrolled: 2-line block ×4, first 2 shown]
	v_mfma_f32_16x16x16_f16 v[130:133], v[14:15], v[138:139], v[130:133]
	v_add_f32_e32 v14, v22, v140
	v_cndmask_b32_e64 v14, v22, v14, s[16:17]
	v_fmac_f32_e32 v14, v124, v141
	v_mfma_f32_16x16x16_f16 v[134:137], v[16:17], v[138:139], v[134:137]
	v_cvt_pk_f16_f32 v63, v64, v65
	v_cvt_pk_f16_f32 v121, v66, v67
	;; [unrolled: 1-line block ×6, first 2 shown]
	s_nop 1
	v_cvt_pk_f16_f32 v64, v134, v135
	v_cvt_pk_f16_f32 v62, v136, v137
	s_barrier
	s_cbranch_scc0 .LBB0_41
; %bb.38:                               ;   in Loop: Header=BB0_31 Depth=2
	v_mov_b32_e32 v124, v14
	v_mov_b32_e32 v125, v49
	s_branch .LBB0_31
.LBB0_39:                               ;   in Loop: Header=BB0_14 Depth=1
	s_cbranch_execz .LBB0_13
	s_branch .LBB0_98
.LBB0_40:                               ;   in Loop: Header=BB0_14 Depth=1
	v_mov_b32_e32 v49, 0xfeffffff
	v_mov_b32_e32 v14, 0
	;; [unrolled: 1-line block ×10, first 2 shown]
.LBB0_41:                               ;   in Loop: Header=BB0_14 Depth=1
	s_lshl_b32 s24, s30, 6
	v_readlane_b32 s20, v159, 3
	s_sub_i32 s13, s20, s24
	s_cmp_lg_u64 s[92:93], 0
	s_cselect_b64 s[26:27], -1, 0
	s_ashr_i32 s25, s24, 31
	s_cmp_eq_u64 s[92:93], 0
	v_readlane_b32 s21, v159, 4
	s_cbranch_scc1 .LBB0_47
; %bb.42:                               ;   in Loop: Header=BB0_14 Depth=1
	v_cmp_le_i32_e32 vcc, s13, v20
	s_and_saveexec_b64 s[20:21], vcc
	s_xor_b64 s[20:21], exec, s[20:21]
	s_cbranch_execz .LBB0_44
; %bb.43:                               ;   in Loop: Header=BB0_14 Depth=1
	ds_write_b16 v74, v23 offset:9216
	ds_write_b16 v76, v23 offset:9216
.LBB0_44:                               ;   in Loop: Header=BB0_14 Depth=1
	s_or_saveexec_b64 s[20:21], s[20:21]
	v_mov_b32_e32 v15, 0
	v_mov_b32_e32 v16, 0
	s_xor_b64 exec, exec, s[20:21]
	s_cbranch_execz .LBB0_46
; %bb.45:                               ;   in Loop: Header=BB0_14 Depth=1
	s_lshl_b64 s[22:23], s[24:25], 1
	s_add_u32 s22, s92, s22
	s_addc_u32 s23, s93, s23
	v_lshlrev_b32_e32 v22, 1, v20
	v_add_u32_e32 v15, s12, v68
	v_lshl_add_u64 v[16:17], s[22:23], 0, v[22:23]
	v_mul_hi_u32 v22, s66, v15
	v_add_u32_e32 v22, v15, v22
	v_lshrrev_b32_e32 v22, s67, v22
	v_mul_lo_u32 v22, v22, s52
	v_sub_u32_e32 v15, v15, v22
	v_mad_i64_i32 v[50:51], s[22:23], v15, s68, 0
	v_add_u32_e32 v15, s12, v75
	v_mul_hi_u32 v22, s66, v15
	v_add_u32_e32 v22, v15, v22
	v_lshrrev_b32_e32 v22, s67, v22
	v_mul_lo_u32 v22, v22, s52
	v_sub_u32_e32 v15, v15, v22
	v_mad_i64_i32 v[52:53], s[22:23], v15, s68, 0
	v_add_u32_e32 v15, s12, v94
	;; [unrolled: 7-line block ×3, first 2 shown]
	v_mul_hi_u32 v22, s66, v15
	v_add_u32_e32 v22, v15, v22
	v_lshrrev_b32_e32 v22, s67, v22
	v_mul_lo_u32 v22, v22, s52
	v_sub_u32_e32 v15, v15, v22
	v_mad_i64_i32 v[56:57], s[22:23], v15, s68, 0
	v_lshl_add_u64 v[50:51], v[50:51], 1, v[16:17]
	v_lshl_add_u64 v[52:53], v[52:53], 1, v[16:17]
	;; [unrolled: 1-line block ×4, first 2 shown]
	global_load_ushort v22, v[50:51], off
	s_nop 0
	global_load_ushort v50, v[52:53], off
	global_load_ushort v15, v[54:55], off
	s_nop 0
	global_load_ushort v16, v[16:17], off
	s_waitcnt vmcnt(3)
	ds_write_b16 v74, v22 offset:9216
	s_waitcnt vmcnt(2)
	ds_write_b16 v76, v50 offset:9216
.LBB0_46:                               ;   in Loop: Header=BB0_14 Depth=1
	s_or_b64 exec, exec, s[20:21]
	s_waitcnt vmcnt(1)
	ds_write_b16 v96, v15 offset:9216
	s_waitcnt vmcnt(0)
	ds_write_b16 v106, v16 offset:9216
.LBB0_47:                               ;   in Loop: Header=BB0_14 Depth=1
	s_mul_hi_i32 s21, s24, s64
	s_mul_i32 s20, s24, s64
	s_lshl_b64 s[20:21], s[20:21], 2
	s_add_u32 s20, s69, s20
	s_addc_u32 s21, s14, s21
	v_lshl_add_u64 v[16:17], v[28:29], 2, s[20:21]
	v_lshlrev_b32_e32 v22, 2, v26
	v_lshl_add_u64 v[16:17], v[16:17], 0, v[22:23]
	v_mov_b32_e32 v15, s87
	v_cmp_gt_i32_e64 s[22:23], s13, v77
	scratch_store_dwordx4 off, v[2:5], off
	s_andn2_b64 vcc, exec, s[26:27]
	v_cndmask_b32_e64 v17, v15, v17, s[22:23]
	v_cndmask_b32_e64 v16, v119, v16, s[22:23]
	flat_load_dwordx4 v[50:53], v[16:17]
	v_lshl_add_u64 v[16:17], v[30:31], 2, s[20:21]
	v_lshl_add_u64 v[16:17], v[16:17], 0, v[22:23]
	v_cmp_gt_i32_e64 s[20:21], s13, v107
	s_waitcnt vmcnt(0) lgkmcnt(0)
	ds_write_b128 v78, v[50:53]
	v_cndmask_b32_e64 v17, v15, v17, s[20:21]
	v_cndmask_b32_e64 v16, v119, v16, s[20:21]
	flat_load_dwordx4 v[50:53], v[16:17]
	s_waitcnt vmcnt(0) lgkmcnt(0)
	ds_write_b128 v108, v[50:53]
	s_waitcnt lgkmcnt(0)
	s_barrier
	ds_read2_b64 v[50:53], v79 offset1:4
	s_waitcnt lgkmcnt(0)
	v_mfma_f32_16x16x16_f16 v[54:57], v[50:51], v[10:11], 0
	v_mfma_f32_16x16x16_f16 v[10:13], v[52:53], v[12:13], v[54:57]
	ds_read2_b64 v[50:53], v79 offset0:8 offset1:12
	s_waitcnt lgkmcnt(0)
	s_barrier
	v_mfma_f32_16x16x16_f16 v[10:13], v[50:51], v[6:7], v[10:13]
	v_mfma_f32_16x16x16_f16 v[6:9], v[52:53], v[8:9], v[10:13]
	s_cbranch_vccnz .LBB0_49
; %bb.48:                               ;   in Loop: Header=BB0_14 Depth=1
	s_nop 5
	v_add_u32_e32 v10, 0x2400, v81
	ds_read2_b32 v[10:11], v10 offset1:1
	s_waitcnt lgkmcnt(0)
	v_cvt_f32_f16_e32 v12, v10
	v_cvt_f32_f16_e32 v16, v11
	v_cvt_f32_f16_sdwa v17, v11 dst_sel:DWORD dst_unused:UNUSED_PAD src0_sel:WORD_1
	v_cvt_f32_f16_sdwa v13, v10 dst_sel:DWORD dst_unused:UNUSED_PAD src0_sel:WORD_1
	v_pk_fma_f32 v[8:9], v[48:49], v[16:17], v[8:9] op_sel_hi:[0,1,1]
	v_pk_fma_f32 v[6:7], v[48:49], v[12:13], v[6:7] op_sel_hi:[0,1,1]
.LBB0_49:                               ;   in Loop: Header=BB0_14 Depth=1
	s_mul_hi_i32 s25, s24, s54
	s_mul_i32 s24, s24, s54
	s_lshl_b64 s[24:25], s[24:25], 2
	s_add_u32 s78, s62, s24
	s_addc_u32 s79, s63, s25
	s_nop 0
	v_lshl_add_u64 v[10:11], v[32:33], 2, s[78:79]
	v_lshl_add_u64 v[10:11], v[10:11], 0, v[22:23]
	v_mov_b32_e32 v54, s87
	v_cndmask_b32_e64 v11, v54, v11, s[22:23]
	v_cndmask_b32_e64 v10, v119, v10, s[22:23]
	scratch_store_dwordx4 off, v[2:5], off
	flat_load_dwordx4 v[10:13], v[10:11]
	v_add_f32_e32 v50, 0x40051340, v6
	v_max_f32_e32 v51, v49, v49
	v_and_b32_e32 v52, 64, v118
	v_xor_b32_e32 v57, 32, v118
	v_max_f32_e32 v50, v51, v50
	v_add_u32_e32 v51, 64, v52
	v_cmp_gt_u32_e64 s[22:23], s13, v80
	v_cmp_lt_i32_e32 vcc, v57, v51
	v_add_f32_e32 v53, 0x40051340, v7
	v_cndmask_b32_e64 v50, v49, v50, s[22:23]
	v_cndmask_b32_e32 v52, v118, v57, vcc
	v_max_f32_e32 v57, v50, v50
	v_max_f32_e32 v53, v57, v53
	v_cmp_gt_u32_e32 vcc, s13, v109
	v_add_f32_e32 v55, 0x40051340, v8
	v_cmp_gt_u32_e64 s[24:25], s13, v110
	v_cndmask_b32_e32 v50, v50, v53, vcc
	v_max_f32_e32 v53, v50, v50
	v_max_f32_e32 v53, v53, v55
	v_cndmask_b32_e64 v50, v50, v53, s[24:25]
	v_add_f32_e32 v56, 0x40051340, v9
	v_max_f32_e32 v53, v50, v50
	v_max_f32_e32 v53, v53, v56
	v_cmp_gt_u32_e64 s[26:27], s13, v111
	v_lshlrev_b32_e32 v52, 2, v52
	v_xor_b32_e32 v58, 16, v118
	v_cndmask_b32_e64 v50, v50, v53, s[26:27]
	ds_bpermute_b32 v55, v52, v50
	v_cmp_lt_i32_e64 s[30:31], v58, v51
	v_max_f32_e32 v50, v50, v50
	v_mov_b32_e32 v15, s85
	v_cndmask_b32_e64 v51, v118, v58, s[30:31]
	v_lshlrev_b32_e32 v53, 2, v51
	s_waitcnt lgkmcnt(0)
	v_max_f32_e32 v51, v55, v55
	v_max_f32_e32 v56, v50, v51
	ds_bpermute_b32 v57, v53, v56
	v_lshl_add_u64 v[50:51], v[34:35], 2, s[78:79]
	v_lshl_add_u64 v[50:51], v[50:51], 0, v[22:23]
	v_cndmask_b32_e64 v55, v54, v51, s[20:21]
	v_cndmask_b32_e64 v54, v119, v50, s[20:21]
	s_waitcnt lgkmcnt(0)
	v_max_f32_e32 v22, v57, v57
	v_max_f32_e32 v50, v56, v22
	v_sub_f32_e32 v22, v6, v50
	v_sub_f32_e32 v51, v7, v50
	;; [unrolled: 1-line block ×5, first 2 shown]
	v_mul_f32_e32 v58, 0x3fb8aa3b, v22
	v_mul_f32_e32 v59, 0x3fb8aa3b, v51
	;; [unrolled: 1-line block ×4, first 2 shown]
	v_fma_f32 v123, v22, s53, -v58
	v_rndne_f32_e32 v124, v58
	v_mul_f32_e32 v60, 0x3fb8aa3b, v56
	v_fma_f32 v125, v51, s53, -v59
	v_rndne_f32_e32 v126, v59
	v_fmac_f32_e32 v123, 0x32a5705f, v22
	v_fma_f32 v127, v56, s53, -v60
	v_fmac_f32_e32 v125, 0x32a5705f, v51
	v_sub_f32_e32 v59, v59, v126
	v_fmac_f32_e32 v127, 0x32a5705f, v56
	v_add_f32_e32 v59, v59, v125
	v_exp_f32_e32 v59, v59
	v_cmp_ngt_f32_e64 s[20:21], s77, v22
	v_mov_b32_e32 v16, s85
	v_mov_b32_e32 v17, s85
	s_cmp_lg_u64 s[90:91], 0
	s_waitcnt vmcnt(0)
	ds_write_b128 v78, v[10:13]
	flat_load_dwordx4 v[6:9], v[54:55]
	v_fma_f32 v11, v57, s53, -v61
	v_rndne_f32_e32 v12, v61
	v_fma_f32 v13, v49, s53, -v122
	v_rndne_f32_e32 v54, v122
	v_sub_f32_e32 v55, v58, v124
	v_rndne_f32_e32 v10, v60
	v_fmac_f32_e32 v11, 0x32a5705f, v57
	v_sub_f32_e32 v61, v61, v12
	v_fmac_f32_e32 v13, 0x32a5705f, v49
	v_sub_f32_e32 v122, v122, v54
	v_add_f32_e32 v55, v55, v123
	v_cvt_i32_f32_e32 v58, v124
	v_sub_f32_e32 v60, v60, v10
	v_add_f32_e32 v11, v61, v11
	v_add_f32_e32 v13, v122, v13
	v_exp_f32_e32 v55, v55
	v_cvt_i32_f32_e32 v124, v126
	v_cvt_i32_f32_e32 v12, v12
	;; [unrolled: 1-line block ×3, first 2 shown]
	v_add_f32_e32 v60, v60, v127
	v_exp_f32_e32 v11, v11
	v_exp_f32_e32 v13, v13
	v_cvt_i32_f32_e32 v10, v10
	v_exp_f32_e32 v60, v60
	v_ldexp_f32 v55, v55, v58
	v_ldexp_f32 v58, v59, v124
	;; [unrolled: 1-line block ×4, first 2 shown]
	v_cndmask_b32_e64 v13, 0, v55, s[20:21]
	v_cmp_ngt_f32_e64 s[20:21], s77, v51
	v_ldexp_f32 v10, v60, v10
	s_waitcnt vmcnt(0) lgkmcnt(0)
	ds_write_b128 v108, v[6:9]
	v_cndmask_b32_e64 v54, 0, v58, s[20:21]
	v_cmp_ngt_f32_e64 s[20:21], s77, v56
	s_waitcnt lgkmcnt(0)
	s_barrier
	v_cndmask_b32_e64 v10, 0, v10, s[20:21]
	v_cmp_ngt_f32_e64 s[20:21], s77, v57
	s_nop 1
	v_cndmask_b32_e64 v11, 0, v11, s[20:21]
	v_cmp_ngt_f32_e64 s[20:21], s77, v49
	s_nop 1
	v_cndmask_b32_e64 v12, 0, v12, s[20:21]
	v_cmp_nlt_f32_e64 s[20:21], s97, v22
	s_nop 1
	v_cndmask_b32_e64 v13, v116, v13, s[20:21]
	v_cmp_nlt_f32_e64 s[20:21], s97, v51
	;; [unrolled: 3-line block ×4, first 2 shown]
	v_cndmask_b32_e64 v10, 0, v13, s[22:23]
	v_readlane_b32 s22, v159, 32
	v_cndmask_b32_e64 v54, v116, v11, s[20:21]
	v_cmp_nlt_f32_e64 s[20:21], s97, v49
	v_cndmask_b32_e32 v11, v15, v22, vcc
	v_cndmask_b32_e64 v13, v17, v54, s[26:27]
	v_cndmask_b32_e64 v55, v116, v12, s[20:21]
	v_cmp_le_f32_e64 s[20:21], s34, v49
	v_cndmask_b32_e64 v12, v16, v51, s[24:25]
	v_add_f32_e32 v16, v22, v10
	v_cndmask_b32_e64 v15, 0, v55, s[20:21]
	v_cvt_f16_f32_e32 v17, v15
	v_cndmask_b32_e32 v16, v10, v16, vcc
	v_add_f32_e32 v22, v16, v51
	v_cndmask_b32_e64 v16, v16, v22, s[24:25]
	v_add_f32_e32 v22, v16, v54
	v_mul_u32_u24_e32 v17, 0x10001, v17
	v_cndmask_b32_e64 v49, v16, v22, s[26:27]
	v_pk_mul_f16 v16, v63, v17
	v_pk_mul_f16 v22, v121, v17
	;; [unrolled: 1-line block ×8, first 2 shown]
	v_fmac_f32_e32 v49, v14, v15
	ds_read_u16 v6, v82 offset:144
	ds_read_u16 v8, v82
	ds_read_u16 v9, v82 offset:32
	ds_read_u16 v61, v82 offset:176
	;; [unrolled: 1-line block ×6, first 2 shown]
	ds_read_u16 v7, v83
	ds_read_u16 v66, v83 offset:32
	ds_read_u16 v15, v84
	ds_read_u16 v67, v84 offset:32
	ds_read_u16 v120, v83 offset:64
	;; [unrolled: 1-line block ×5, first 2 shown]
	s_waitcnt lgkmcnt(5)
	v_perm_b32 v7, v15, v7, s33
	v_perm_b32 v6, v6, v8, s33
	v_cvt_f32_f16_e32 v14, v16
	v_cvt_f32_f16_sdwa v15, v16 dst_sel:DWORD dst_unused:UNUSED_PAD src0_sel:WORD_1
	v_cvt_f32_f16_e32 v16, v22
	v_cvt_f32_f16_sdwa v17, v22 dst_sel:DWORD dst_unused:UNUSED_PAD src0_sel:WORD_1
	v_cvt_pk_f16_f32 v55, v12, v13
	v_cvt_pk_f16_f32 v54, v10, v11
	s_waitcnt lgkmcnt(4)
	v_perm_b32 v11, v67, v66, s33
	v_perm_b32 v10, v61, v9, s33
	v_mfma_f32_16x16x16_f16 v[12:15], v[6:7], v[54:55], v[14:17]
	v_cvt_f32_f16_e32 v6, v51
	v_cvt_f32_f16_sdwa v7, v51 dst_sel:DWORD dst_unused:UNUSED_PAD src0_sel:WORD_1
	v_cvt_f32_f16_e32 v8, v56
	v_cvt_f32_f16_sdwa v9, v56 dst_sel:DWORD dst_unused:UNUSED_PAD src0_sel:WORD_1
	v_perm_b32 v56, v64, v65, s33
	s_nop 2
	v_cvt_f16_f32_e32 v14, v14
	v_cvt_f16_f32_e32 v15, v15
	;; [unrolled: 1-line block ×4, first 2 shown]
	s_cselect_b64 s[20:21], -1, 0
	v_perm_b32 v22, v15, v14, s33
	v_mfma_f32_16x16x16_f16 v[14:17], v[10:11], v[54:55], v[6:9]
	s_waitcnt lgkmcnt(2)
	v_perm_b32 v11, v121, v120, s33
	v_perm_b32 v10, v63, v62, s33
	v_readlane_b32 s23, v159, 33
	v_cvt_f32_f16_e32 v6, v57
	v_cvt_f32_f16_sdwa v7, v57 dst_sel:DWORD dst_unused:UNUSED_PAD src0_sel:WORD_1
	v_cvt_f32_f16_e32 v8, v58
	v_cvt_f32_f16_sdwa v9, v58 dst_sel:DWORD dst_unused:UNUSED_PAD src0_sel:WORD_1
	v_cvt_f16_f32_e32 v16, v16
	v_cvt_f16_f32_e32 v17, v17
	v_mfma_f32_16x16x16_f16 v[6:9], v[10:11], v[54:55], v[6:9]
	s_waitcnt lgkmcnt(0)
	v_perm_b32 v57, v122, v123, s33
	v_perm_b32 v16, v17, v16, s33
	v_cvt_f32_f16_e32 v10, v60
	v_cvt_f32_f16_sdwa v11, v60 dst_sel:DWORD dst_unused:UNUSED_PAD src0_sel:WORD_1
	s_nop 2
	v_cvt_f16_f32_e32 v17, v8
	v_cvt_f16_f32_e32 v51, v9
	v_cvt_f32_f16_e32 v8, v59
	v_cvt_f32_f16_sdwa v9, v59 dst_sel:DWORD dst_unused:UNUSED_PAD src0_sel:WORD_1
	v_cvt_f16_f32_e32 v58, v14
	v_perm_b32 v17, v51, v17, s33
	ds_bpermute_b32 v51, v52, v49
	v_mfma_f32_16x16x16_f16 v[8:11], v[56:57], v[54:55], v[8:11]
	v_cvt_f16_f32_e32 v62, v15
	v_cvt_f16_f32_e32 v59, v6
	;; [unrolled: 1-line block ×3, first 2 shown]
	s_waitcnt lgkmcnt(0)
	v_add_f32_e32 v49, v49, v51
	ds_bpermute_b32 v51, v53, v49
	s_nop 1
	v_cvt_f16_f32_e32 v55, v8
	v_cvt_f16_f32_e32 v10, v10
	;; [unrolled: 1-line block ×4, first 2 shown]
	s_waitcnt lgkmcnt(0)
	v_add_f32_e32 v51, v49, v51
	s_and_b64 s[22:23], s[22:23], s[20:21]
	v_perm_b32 v10, v11, v10, s33
	v_perm_b32 v11, v66, v61, s33
	;; [unrolled: 1-line block ×5, first 2 shown]
	s_barrier
	s_and_saveexec_b64 s[20:21], s[22:23]
	s_cbranch_execz .LBB0_51
; %bb.50:                               ;   in Loop: Header=BB0_14 Depth=1
	global_load_dword v11, v23, s[90:91]
	v_cvt_pk_f16_f32 v49, v12, v13
	v_max_f32_e32 v12, v50, v50
	v_cvt_pk_f16_f32 v14, v14, v15
	v_cvt_pk_f16_f32 v6, v6, v7
	;; [unrolled: 1-line block ×3, first 2 shown]
	s_waitcnt vmcnt(0)
	v_max_f32_e32 v13, v11, v11
	v_max_f32_e32 v12, v12, v13
	v_sub_f32_e32 v13, v50, v12
	v_sub_f32_e32 v11, v11, v12
	v_mul_f32_e32 v15, 0x3fb8aa3b, v13
	v_mul_f32_e32 v50, 0x3fb8aa3b, v11
	v_fma_f32 v54, v13, s53, -v15
	v_rndne_f32_e32 v55, v15
	v_fma_f32 v56, v11, s53, -v50
	v_rndne_f32_e32 v57, v50
	v_fmac_f32_e32 v54, 0x32a5705f, v13
	v_sub_f32_e32 v15, v15, v55
	v_fmac_f32_e32 v56, 0x32a5705f, v11
	v_sub_f32_e32 v50, v50, v57
	v_add_f32_e32 v15, v15, v54
	v_cvt_i32_f32_e32 v55, v55
	v_add_f32_e32 v50, v50, v56
	v_exp_f32_e32 v15, v15
	v_cvt_i32_f32_e32 v57, v57
	v_exp_f32_e32 v50, v50
	v_cmp_ngt_f32_e32 vcc, s77, v13
	v_ldexp_f32 v8, v15, v55
	v_ldexp_f32 v9, v50, v57
	v_cndmask_b32_e32 v8, 0, v8, vcc
	v_cmp_ngt_f32_e32 vcc, s77, v11
	s_nop 1
	v_cndmask_b32_e32 v9, 0, v9, vcc
	v_cmp_nlt_f32_e32 vcc, s97, v13
	s_nop 1
	v_cndmask_b32_e32 v8, v116, v8, vcc
	v_cmp_le_f32_e32 vcc, s34, v13
	s_nop 1
	v_cndmask_b32_e32 v8, 0, v8, vcc
	v_cvt_f16_f32_e32 v15, v8
	v_cmp_nlt_f32_e32 vcc, s97, v11
	s_nop 1
	v_cndmask_b32_e32 v13, v116, v9, vcc
	v_fmac_f32_e32 v13, v51, v8
	v_mul_u32_u24_e32 v8, 0x10001, v15
	v_pk_mul_f16 v11, v49, v8
	v_pk_mul_f16 v22, v22, v8
	;; [unrolled: 1-line block ×8, first 2 shown]
	v_mov_b64_e32 v[50:51], v[12:13]
.LBB0_51:                               ;   in Loop: Header=BB0_14 Depth=1
	s_or_b64 exec, exec, s[20:21]
	s_mov_b64 s[20:21], exec
	v_readlane_b32 s22, v159, 47
	v_readlane_b32 s23, v159, 48
	s_and_b64 s[22:23], s[20:21], s[22:23]
	v_readlane_b32 s78, v159, 51
	s_mov_b64 exec, s[22:23]
; %bb.52:                               ;   in Loop: Header=BB0_14 Depth=1
	v_add_u32_e32 v6, 0, v95
	ds_write2_b32 v6, v50, v51 offset0:32 offset1:33
; %bb.53:                               ;   in Loop: Header=BB0_14 Depth=1
	s_or_b64 exec, exec, s[20:21]
	s_waitcnt lgkmcnt(0)
	s_barrier
	s_mov_b64 s[20:21], exec
	v_readlane_b32 s22, v159, 34
	v_readlane_b32 s23, v159, 35
	s_and_b64 s[22:23], s[20:21], s[22:23]
	s_xor_b64 s[20:21], s[22:23], s[20:21]
	s_mov_b64 exec, s[22:23]
	s_cbranch_execz .LBB0_55
; %bb.54:                               ;   in Loop: Header=BB0_14 Depth=1
	s_barrier
                                        ; implicit-def: $vgpr52
                                        ; implicit-def: $vgpr53
.LBB0_55:                               ;   in Loop: Header=BB0_14 Depth=1
	s_andn2_saveexec_b64 s[20:21], s[20:21]
	s_cbranch_execz .LBB0_59
; %bb.56:                               ;   in Loop: Header=BB0_14 Depth=1
	v_add_u32_e32 v7, 0, v95
	ds_read_b64 v[8:9], v7 offset:128
	s_waitcnt lgkmcnt(0)
	s_barrier
	ds_bpermute_b32 v6, v52, v8
	v_max_f32_e32 v12, v8, v8
	s_waitcnt lgkmcnt(0)
	v_max_f32_e32 v6, v6, v6
	v_max_f32_e32 v6, v12, v6
	ds_bpermute_b32 v12, v53, v6
	s_waitcnt lgkmcnt(0)
	v_max_f32_e32 v12, v12, v12
	v_max_f32_e32 v6, v6, v12
	v_sub_f32_e32 v8, v8, v6
	v_mul_f32_e32 v12, 0x3fb8aa3b, v8
	v_fma_f32 v13, v8, s53, -v12
	v_rndne_f32_e32 v14, v12
	v_fmac_f32_e32 v13, 0x32a5705f, v8
	v_sub_f32_e32 v12, v12, v14
	v_add_f32_e32 v12, v12, v13
	v_cvt_i32_f32_e32 v14, v14
	v_exp_f32_e32 v12, v12
	v_cmp_ngt_f32_e32 vcc, s77, v8
	v_ldexp_f32 v12, v12, v14
	s_nop 0
	v_cndmask_b32_e32 v12, 0, v12, vcc
	v_cmp_nlt_f32_e32 vcc, s97, v8
	s_nop 1
	v_cndmask_b32_e32 v8, v116, v12, vcc
	v_mul_f32_e32 v12, v9, v8
	ds_bpermute_b32 v12, v52, v12
	s_waitcnt lgkmcnt(0)
	v_fmac_f32_e32 v12, v9, v8
	ds_bpermute_b32 v9, v53, v12
	s_waitcnt lgkmcnt(0)
	v_add_f32_e32 v9, v12, v9
	ds_write_b64 v7, v[8:9] offset:128
	s_mov_b64 s[22:23], exec
	v_readlane_b32 s24, v159, 47
	v_readlane_b32 s25, v159, 48
	s_and_b64 s[24:25], s[22:23], s[24:25]
	s_mov_b64 exec, s[24:25]
	s_cbranch_execz .LBB0_58
; %bb.57:                               ;   in Loop: Header=BB0_14 Depth=1
	v_mov_b32_e32 v7, v9
	global_store_dwordx2 v[38:39], v[6:7], off
.LBB0_58:                               ;   in Loop: Header=BB0_14 Depth=1
	s_or_b64 exec, exec, s[22:23]
.LBB0_59:                               ;   in Loop: Header=BB0_14 Depth=1
	s_or_b64 exec, exec, s[20:21]
	ds_write2_b32 v85, v11, v22 offset1:1
	ds_write2_b32 v85, v49, v16 offset0:8 offset1:9
	ds_write2_b32 v85, v54, v17 offset0:16 offset1:17
	;; [unrolled: 1-line block ×3, first 2 shown]
	s_waitcnt lgkmcnt(0)
	s_barrier
	s_mov_b64 s[20:21], exec
	v_readlane_b32 s22, v159, 32
	v_readlane_b32 s23, v159, 33
	s_and_b64 s[22:23], s[20:21], s[22:23]
	s_mov_b64 exec, s[22:23]
	s_cbranch_execz .LBB0_97
; %bb.60:                               ;   in Loop: Header=BB0_14 Depth=1
	v_add_u32_e32 v7, s12, v86
	v_cmp_gt_i32_e32 vcc, s52, v7
	v_mov_b32_e32 v6, 0x47
	s_and_saveexec_b64 s[22:23], vcc
	s_cbranch_execz .LBB0_62
; %bb.61:                               ;   in Loop: Header=BB0_14 Depth=1
	v_readlane_b32 s13, v159, 43
	v_add_u32_e32 v12, v72, v97
	v_add_u32_e32 v8, 0, v97
	v_mul_lo_u32 v16, s13, v7
	ds_read2st64_b32 v[6:7], v12 offset1:9
	v_add_u32_e32 v10, 0x80, v8
	ds_read2st64_b32 v[8:9], v10 offset1:9
	ds_read2st64_b32 v[10:11], v10 offset0:18 offset1:27
	ds_read2st64_b32 v[12:13], v12 offset0:18 offset1:27
	v_or_b32_e32 v16, v16, v18
	v_ashrrev_i32_e32 v17, 31, v16
	s_waitcnt lgkmcnt(3)
	v_cvt_f32_f16_e32 v14, v6
	v_cvt_f32_f16_sdwa v15, v6 dst_sel:DWORD dst_unused:UNUSED_PAD src0_sel:WORD_1
	v_cvt_f32_f16_e32 v6, v7
	v_cvt_f32_f16_sdwa v7, v7 dst_sel:DWORD dst_unused:UNUSED_PAD src0_sel:WORD_1
	s_waitcnt lgkmcnt(0)
	v_cvt_f32_f16_e32 v50, v12
	v_cvt_f32_f16_sdwa v51, v12 dst_sel:DWORD dst_unused:UNUSED_PAD src0_sel:WORD_1
	v_cvt_f32_f16_e32 v12, v13
	v_cvt_f32_f16_sdwa v13, v13 dst_sel:DWORD dst_unused:UNUSED_PAD src0_sel:WORD_1
	v_pk_fma_f32 v[14:15], v[8:9], v[14:15], 0 op_sel_hi:[0,1,0]
	v_mov_b32_e32 v8, v9
	v_pk_fma_f32 v[6:7], v[8:9], v[6:7], v[14:15] op_sel_hi:[0,1,1]
	v_pk_fma_f32 v[6:7], v[10:11], v[50:51], v[6:7] op_sel_hi:[0,1,1]
	v_mov_b32_e32 v8, v11
	v_lshl_add_u64 v[16:17], v[16:17], 3, s[2:3]
	v_pk_fma_f32 v[6:7], v[8:9], v[12:13], v[6:7] op_sel_hi:[0,1,1]
	global_store_dwordx2 v[16:17], v[6:7], off
	v_mov_b32_e32 v6, 0
.LBB0_62:                               ;   in Loop: Header=BB0_14 Depth=1
	s_or_b64 exec, exec, s[22:23]
	s_movk_i32 s13, 0x47
	v_cmp_gt_i32_e32 vcc, s13, v6
	s_mov_b64 s[22:23], -1
	s_and_saveexec_b64 s[24:25], vcc
; %bb.63:                               ;   in Loop: Header=BB0_14 Depth=1
	v_cmp_eq_u32_e32 vcc, 0, v6
	s_orn2_b64 s[22:23], vcc, exec
; %bb.64:                               ;   in Loop: Header=BB0_14 Depth=1
	s_or_b64 exec, exec, s[24:25]
	s_and_b64 exec, exec, s[22:23]
	s_cbranch_execz .LBB0_97
; %bb.65:                               ;   in Loop: Header=BB0_14 Depth=1
	v_add_u32_e32 v7, s12, v87
	v_cmp_gt_i32_e32 vcc, s52, v7
	v_mov_b32_e32 v6, 0x47
	s_and_saveexec_b64 s[22:23], vcc
	s_cbranch_execz .LBB0_67
; %bb.66:                               ;   in Loop: Header=BB0_14 Depth=1
	v_readlane_b32 s13, v159, 43
	v_add_u32_e32 v12, v72, v98
	v_add_u32_e32 v8, 0, v98
	v_mul_lo_u32 v16, s13, v7
	ds_read2st64_b32 v[6:7], v12 offset1:9
	v_add_u32_e32 v10, 0x80, v8
	ds_read2st64_b32 v[8:9], v10 offset1:9
	ds_read2st64_b32 v[10:11], v10 offset0:18 offset1:27
	ds_read2st64_b32 v[12:13], v12 offset0:18 offset1:27
	v_or_b32_e32 v16, v16, v18
	v_ashrrev_i32_e32 v17, 31, v16
	s_waitcnt lgkmcnt(3)
	v_cvt_f32_f16_e32 v14, v6
	v_cvt_f32_f16_sdwa v15, v6 dst_sel:DWORD dst_unused:UNUSED_PAD src0_sel:WORD_1
	v_cvt_f32_f16_e32 v6, v7
	v_cvt_f32_f16_sdwa v7, v7 dst_sel:DWORD dst_unused:UNUSED_PAD src0_sel:WORD_1
	s_waitcnt lgkmcnt(0)
	v_cvt_f32_f16_e32 v50, v12
	v_cvt_f32_f16_sdwa v51, v12 dst_sel:DWORD dst_unused:UNUSED_PAD src0_sel:WORD_1
	v_cvt_f32_f16_e32 v12, v13
	v_cvt_f32_f16_sdwa v13, v13 dst_sel:DWORD dst_unused:UNUSED_PAD src0_sel:WORD_1
	v_pk_fma_f32 v[14:15], v[8:9], v[14:15], 0 op_sel_hi:[0,1,0]
	v_mov_b32_e32 v8, v9
	v_pk_fma_f32 v[6:7], v[8:9], v[6:7], v[14:15] op_sel_hi:[0,1,1]
	v_pk_fma_f32 v[6:7], v[10:11], v[50:51], v[6:7] op_sel_hi:[0,1,1]
	v_mov_b32_e32 v8, v11
	v_lshl_add_u64 v[16:17], v[16:17], 3, s[2:3]
	v_pk_fma_f32 v[6:7], v[8:9], v[12:13], v[6:7] op_sel_hi:[0,1,1]
	global_store_dwordx2 v[16:17], v[6:7], off
	v_mov_b32_e32 v6, 0
.LBB0_67:                               ;   in Loop: Header=BB0_14 Depth=1
	s_or_b64 exec, exec, s[22:23]
	s_movk_i32 s13, 0x47
	v_cmp_gt_i32_e32 vcc, s13, v6
	s_mov_b64 s[22:23], -1
	s_and_saveexec_b64 s[24:25], vcc
; %bb.68:                               ;   in Loop: Header=BB0_14 Depth=1
	v_cmp_eq_u32_e32 vcc, 0, v6
	s_orn2_b64 s[22:23], vcc, exec
; %bb.69:                               ;   in Loop: Header=BB0_14 Depth=1
	s_or_b64 exec, exec, s[24:25]
	s_and_b64 exec, exec, s[22:23]
	;; [unrolled: 50-line block ×7, first 2 shown]
	s_cbranch_execz .LBB0_97
; %bb.95:                               ;   in Loop: Header=BB0_14 Depth=1
	v_add_u32_e32 v6, s12, v93
	v_cmp_gt_i32_e32 vcc, s52, v6
	s_and_b64 exec, exec, vcc
	s_cbranch_execz .LBB0_97
; %bb.96:                               ;   in Loop: Header=BB0_14 Depth=1
	v_readlane_b32 s12, v159, 43
	v_add_u32_e32 v12, v72, v104
	v_add_u32_e32 v8, 0, v104
	v_mul_lo_u32 v16, s12, v6
	ds_read2st64_b32 v[6:7], v12 offset1:9
	v_add_u32_e32 v10, 0x80, v8
	ds_read2st64_b32 v[8:9], v10 offset1:9
	ds_read2st64_b32 v[10:11], v10 offset0:18 offset1:27
	ds_read2st64_b32 v[12:13], v12 offset0:18 offset1:27
	v_or_b32_e32 v16, v16, v18
	v_ashrrev_i32_e32 v17, 31, v16
	s_waitcnt lgkmcnt(3)
	v_cvt_f32_f16_e32 v14, v6
	v_cvt_f32_f16_sdwa v15, v6 dst_sel:DWORD dst_unused:UNUSED_PAD src0_sel:WORD_1
	v_cvt_f32_f16_e32 v6, v7
	v_cvt_f32_f16_sdwa v7, v7 dst_sel:DWORD dst_unused:UNUSED_PAD src0_sel:WORD_1
	s_waitcnt lgkmcnt(0)
	v_cvt_f32_f16_e32 v50, v12
	v_cvt_f32_f16_sdwa v51, v12 dst_sel:DWORD dst_unused:UNUSED_PAD src0_sel:WORD_1
	v_cvt_f32_f16_e32 v12, v13
	v_cvt_f32_f16_sdwa v13, v13 dst_sel:DWORD dst_unused:UNUSED_PAD src0_sel:WORD_1
	v_pk_fma_f32 v[14:15], v[8:9], v[14:15], 0 op_sel_hi:[0,1,0]
	v_mov_b32_e32 v8, v9
	v_pk_fma_f32 v[6:7], v[8:9], v[6:7], v[14:15] op_sel_hi:[0,1,1]
	v_pk_fma_f32 v[6:7], v[10:11], v[50:51], v[6:7] op_sel_hi:[0,1,1]
	v_mov_b32_e32 v8, v11
	v_lshl_add_u64 v[16:17], v[16:17], 3, s[2:3]
	v_pk_fma_f32 v[6:7], v[8:9], v[12:13], v[6:7] op_sel_hi:[0,1,1]
	global_store_dwordx2 v[16:17], v[6:7], off
.LBB0_97:                               ;   in Loop: Header=BB0_14 Depth=1
	s_or_b64 exec, exec, s[20:21]
	s_barrier
	s_branch .LBB0_13
.LBB0_98:                               ;   in Loop: Header=BB0_14 Depth=1
	s_lshl_b32 s19, s19, 4
	v_add_u32_e32 v6, s19, v1
	v_cmp_le_i32_e32 vcc, s52, v6
	s_and_saveexec_b64 s[12:13], vcc
	s_xor_b64 s[20:21], exec, s[12:13]
; %bb.99:                               ;   in Loop: Header=BB0_14 Depth=1
	v_add_u32_e32 v6, v72, v112
	ds_write_b32 v6, v23
                                        ; implicit-def: $vgpr6
; %bb.100:                              ;   in Loop: Header=BB0_14 Depth=1
	s_andn2_saveexec_b64 s[20:21], s[20:21]
	s_cbranch_execz .LBB0_102
; %bb.101:                              ;   in Loop: Header=BB0_14 Depth=1
	v_readlane_b32 s12, v159, 14
	s_nop 1
	v_mad_u64_u32 v[6:7], s[12:13], v6, s12, v[18:19]
	v_ashrrev_i32_e32 v7, 31, v6
	v_lshl_add_u64 v[6:7], v[6:7], 3, s[94:95]
	global_load_dwordx2 v[6:7], v[6:7], off
	s_waitcnt vmcnt(0)
	v_cvt_pk_f16_f32 v6, v6, v7
	v_pk_mul_f16 v6, v6, v27
	v_add_u32_e32 v7, v72, v112
	ds_write_b32 v7, v6
.LBB0_102:                              ;   in Loop: Header=BB0_14 Depth=1
	s_or_b64 exec, exec, s[20:21]
	v_add_u32_e32 v6, s19, v113
	v_cmp_le_i32_e32 vcc, s52, v6
	s_and_saveexec_b64 s[12:13], vcc
	s_xor_b64 s[20:21], exec, s[12:13]
; %bb.103:                              ;   in Loop: Header=BB0_14 Depth=1
	v_add_u32_e32 v6, v72, v112
	ds_write_b32 v6, v23 offset:1152
                                        ; implicit-def: $vgpr6
; %bb.104:                              ;   in Loop: Header=BB0_14 Depth=1
	s_andn2_saveexec_b64 s[20:21], s[20:21]
	s_cbranch_execz .LBB0_106
; %bb.105:                              ;   in Loop: Header=BB0_14 Depth=1
	v_readlane_b32 s12, v159, 14
	s_nop 1
	v_mad_u64_u32 v[6:7], s[12:13], v6, s12, v[18:19]
	v_ashrrev_i32_e32 v7, 31, v6
	v_lshl_add_u64 v[6:7], v[6:7], 3, s[94:95]
	global_load_dwordx2 v[6:7], v[6:7], off
	s_waitcnt vmcnt(0)
	v_cvt_pk_f16_f32 v6, v6, v7
	v_pk_mul_f16 v6, v6, v27
	v_add_u32_e32 v7, v72, v112
	ds_write_b32 v7, v6 offset:1152
.LBB0_106:                              ;   in Loop: Header=BB0_14 Depth=1
	s_or_b64 exec, exec, s[20:21]
	s_waitcnt lgkmcnt(0)
	s_barrier
	ds_read2_b64 v[10:13], v73 offset1:4
	ds_read2_b64 v[6:9], v73 offset0:8 offset1:12
	s_cmp_lt_i32 s61, 2
	s_waitcnt lgkmcnt(0)
	s_barrier
	s_cbranch_scc1 .LBB0_115
; %bb.107:                              ;   in Loop: Header=BB0_14 Depth=1
	v_add_u32_e32 v14, s19, v68
	v_mul_hi_u32 v15, s66, v14
	v_add_u32_e32 v15, v14, v15
	v_lshrrev_b32_e32 v15, s67, v15
	v_mul_lo_u32 v15, v15, s52
	v_sub_u32_e32 v16, v14, v15
	v_add_u32_e32 v14, s19, v75
	v_mul_hi_u32 v15, s66, v14
	v_add_u32_e32 v15, v14, v15
	v_lshrrev_b32_e32 v15, s67, v15
	v_mul_lo_u32 v15, v15, s52
	v_sub_u32_e32 v17, v14, v15
	;; [unrolled: 6-line block ×4, first 2 shown]
	v_and_b32_e32 v14, 64, v118
	v_add_u32_e32 v14, 64, v14
	v_xor_b32_e32 v15, 32, v118
	v_cmp_lt_i32_e32 vcc, v15, v14
	v_readlane_b32 s20, v159, 49
	s_add_i32 s12, s61, -1
	v_cndmask_b32_e32 v15, v118, v15, vcc
	v_lshlrev_b32_e32 v22, 2, v15
	v_xor_b32_e32 v15, 16, v118
	v_cmp_lt_i32_e32 vcc, v15, v14
	v_readlane_b32 s21, v159, 50
	s_mov_b32 s24, s20
	v_cndmask_b32_e32 v14, v118, v15, vcc
	v_lshlrev_b32_e32 v128, 2, v14
	v_mov_b64_e32 v[14:15], s[92:93]
	s_cmp_lg_u64 s[92:93], 0
	v_mad_i64_i32 v[52:53], s[20:21], s24, v16, v[14:15]
	v_mad_i64_i32 v[54:55], s[20:21], s24, v17, v[14:15]
	;; [unrolled: 1-line block ×4, first 2 shown]
	s_cselect_b64 s[22:23], -1, 0
	s_add_u32 s20, s84, s35
	s_addc_u32 s21, s15, s18
	v_lshl_add_u64 v[60:61], v[40:41], 0, s[20:21]
	v_lshl_add_u64 v[62:63], v[42:43], 0, s[20:21]
	s_add_u32 s20, s71, s73
	s_addc_u32 s21, s70, s82
	v_mov_b32_e32 v50, v48
	v_mov_b32_e32 v51, v48
	v_lshl_add_u64 v[64:65], v[44:45], 0, s[20:21]
	v_lshl_add_u64 v[66:67], v[46:47], 0, s[20:21]
	v_mov_b32_e32 v121, 0
	v_mov_b32_e32 v130, 0xfeffffff
	;; [unrolled: 1-line block ×3, first 2 shown]
	s_mov_b32 s13, s12
	v_mov_b32_e32 v127, 0
	v_mov_b32_e32 v126, 0
	v_mov_b32_e32 v125, 0
	v_mov_b32_e32 v124, 0
	v_mov_b32_e32 v123, 0
	v_mov_b32_e32 v122, 0
	v_mov_b32_e32 v120, 0
	v_cndmask_b32_e64 v14, 0, 1, s[22:23]
	v_cmp_ne_u32_e64 s[20:21], 1, v14
	s_andn2_b64 vcc, exec, s[22:23]
	s_cbranch_vccnz .LBB0_111
.LBB0_108:                              ;   in Loop: Header=BB0_14 Depth=1
	v_mov_b32_e32 v14, 0
	v_mov_b32_e32 v15, 0
	v_mov_b32_e32 v16, 0
	v_mov_b32_e32 v17, 0
	s_and_saveexec_b64 s[24:25], s[0:1]
	s_cbranch_execz .LBB0_110
; %bb.109:                              ;   in Loop: Header=BB0_14 Depth=1
	v_lshl_add_u64 v[14:15], v[52:53], 0, v[24:25]
	v_lshl_add_u64 v[16:17], v[54:55], 0, v[24:25]
	global_load_ushort v14, v[14:15], off
	v_lshl_add_u64 v[132:133], v[58:59], 0, v[24:25]
	global_load_ushort v15, v[16:17], off
	;; [unrolled: 2-line block ×3, first 2 shown]
	s_nop 0
	global_load_ushort v17, v[132:133], off
.LBB0_110:                              ;   in Loop: Header=BB0_14 Depth=1
	s_or_b64 exec, exec, s[24:25]
	s_waitcnt vmcnt(3)
	ds_write_b16 v74, v14 offset:9216
	s_waitcnt vmcnt(2)
	ds_write_b16 v76, v15 offset:9216
	;; [unrolled: 2-line block ×4, first 2 shown]
.LBB0_111:                              ;   Parent Loop BB0_14 Depth=1
                                        ; =>  This Inner Loop Header: Depth=2
	v_lshl_add_u64 v[14:15], v[64:65], 0, v[36:37]
	v_mov_b32_e32 v49, s87
	v_cndmask_b32_e64 v15, v49, v15, s[28:29]
	v_cndmask_b32_e64 v14, v119, v14, s[28:29]
	scratch_store_dwordx4 off, v[2:5], off
	flat_load_dwordx4 v[14:17], v[14:15]
	v_lshl_add_u64 v[132:133], v[66:67], 0, v[36:37]
	v_cndmask_b32_e64 v133, v49, v133, s[4:5]
	v_cndmask_b32_e64 v132, v119, v132, s[4:5]
	s_and_b64 vcc, exec, s[20:21]
	s_waitcnt vmcnt(0) lgkmcnt(0)
	ds_write_b128 v78, v[14:17]
	flat_load_dwordx4 v[14:17], v[132:133]
	s_waitcnt vmcnt(0) lgkmcnt(0)
	ds_write_b128 v108, v[14:17]
	s_waitcnt lgkmcnt(0)
	s_barrier
	ds_read2_b64 v[14:17], v79 offset1:4
	s_waitcnt lgkmcnt(0)
	v_mfma_f32_16x16x16_f16 v[132:135], v[14:15], v[10:11], 0
	v_mfma_f32_16x16x16_f16 v[14:17], v[16:17], v[12:13], v[132:135]
	s_nop 6
	ds_read2_b64 v[132:135], v79 offset0:8 offset1:12
	s_waitcnt lgkmcnt(0)
	v_mfma_f32_16x16x16_f16 v[14:17], v[132:133], v[6:7], v[14:17]
	s_barrier
	v_mfma_f32_16x16x16_f16 v[14:17], v[134:135], v[8:9], v[14:17]
	s_cbranch_vccnz .LBB0_113
; %bb.112:                              ;   in Loop: Header=BB0_111 Depth=2
	v_add_u32_e32 v49, 0x2400, v81
	ds_read2_b32 v[132:133], v49 offset1:1
	v_mov_b32_e32 v49, v48
	s_waitcnt lgkmcnt(0)
	v_cvt_f32_f16_e32 v134, v132
	v_cvt_f32_f16_e32 v136, v133
	v_cvt_f32_f16_sdwa v137, v133 dst_sel:DWORD dst_unused:UNUSED_PAD src0_sel:WORD_1
	v_cvt_f32_f16_sdwa v135, v132 dst_sel:DWORD dst_unused:UNUSED_PAD src0_sel:WORD_1
	v_pk_fma_f32 v[16:17], v[48:49], v[136:137], v[16:17]
	v_pk_fma_f32 v[14:15], v[50:51], v[134:135], v[14:15]
.LBB0_113:                              ;   in Loop: Header=BB0_111 Depth=2
	v_lshl_add_u64 v[132:133], v[60:61], 0, v[36:37]
	v_mov_b32_e32 v49, s87
	v_cndmask_b32_e64 v133, v49, v133, s[28:29]
	v_cndmask_b32_e64 v132, v119, v132, s[28:29]
	scratch_store_dwordx4 off, v[2:5], off
	flat_load_dwordx4 v[132:135], v[132:133]
	v_add_f32_e32 v131, 0x40051340, v14
	v_max_f32_e32 v136, v130, v130
	v_max_f32_e32 v131, v136, v131
	v_cndmask_b32_e64 v131, v130, v131, s[6:7]
	v_add_f32_e32 v137, 0x40051340, v15
	v_max_f32_e32 v136, v131, v131
	v_max_f32_e32 v136, v136, v137
	v_cndmask_b32_e64 v131, v131, v136, s[8:9]
	;; [unrolled: 4-line block ×4, first 2 shown]
	ds_bpermute_b32 v138, v22, v137
	v_max_f32_e32 v137, v137, v137
	v_mov_b32_e32 v131, s85
	v_mov_b32_e32 v136, s85
	s_add_i32 s13, s13, -1
	s_waitcnt lgkmcnt(0)
	v_max_f32_e32 v138, v138, v138
	v_max_f32_e32 v140, v137, v138
	ds_bpermute_b32 v141, v128, v140
	v_lshl_add_u64 v[138:139], v[62:63], 0, v[36:37]
	v_cndmask_b32_e64 v139, v49, v139, s[4:5]
	v_cndmask_b32_e64 v138, v119, v138, s[4:5]
	v_mov_b32_e32 v137, s85
	s_waitcnt lgkmcnt(0)
	v_max_f32_e32 v49, v141, v141
	v_max_f32_e32 v49, v140, v49
	v_sub_f32_e32 v140, v14, v49
	v_mul_f32_e32 v14, 0x3fb8aa3b, v140
	v_sub_f32_e32 v141, v15, v49
	v_rndne_f32_e32 v15, v14
	v_sub_f32_e32 v142, v16, v49
	v_sub_f32_e32 v143, v17, v49
	v_fma_f32 v148, v140, s53, -v14
	v_sub_f32_e32 v157, v14, v15
	v_cvt_i32_f32_e32 v158, v15
	v_sub_f32_e32 v144, v130, v49
	v_mul_f32_e32 v130, 0x3fb8aa3b, v141
	v_mul_f32_e32 v145, 0x3fb8aa3b, v142
	;; [unrolled: 1-line block ×3, first 2 shown]
	v_fma_f32 v149, v141, s53, -v130
	v_rndne_f32_e32 v150, v130
	v_fma_f32 v151, v142, s53, -v145
	v_rndne_f32_e32 v152, v145
	;; [unrolled: 2-line block ×3, first 2 shown]
	v_fmac_f32_e32 v148, 0x32a5705f, v140
	v_fmac_f32_e32 v149, 0x32a5705f, v141
	v_sub_f32_e32 v130, v130, v150
	v_fmac_f32_e32 v151, 0x32a5705f, v142
	v_fmac_f32_e32 v153, 0x32a5705f, v143
	v_mul_f32_e32 v147, 0x3fb8aa3b, v144
	v_add_f32_e32 v130, v130, v149
	v_fma_f32 v155, v144, s53, -v147
	v_rndne_f32_e32 v156, v147
	v_exp_f32_e32 v130, v130
	v_fmac_f32_e32 v155, 0x32a5705f, v144
	v_cmp_ngt_f32_e32 vcc, s77, v140
	v_lshl_add_u64 v[52:53], v[52:53], 0, s[88:89]
	v_lshl_add_u64 v[54:55], v[54:55], 0, s[88:89]
	;; [unrolled: 1-line block ×7, first 2 shown]
	s_cmp_lg_u32 s13, 0
	v_lshl_add_u64 v[66:67], v[66:67], 0, s[80:81]
	s_waitcnt vmcnt(0)
	ds_write_b128 v78, v[132:135]
	flat_load_dwordx4 v[14:17], v[138:139]
	v_sub_f32_e32 v133, v145, v152
	v_sub_f32_e32 v135, v146, v154
	v_add_f32_e32 v146, v157, v148
	v_add_f32_e32 v133, v133, v151
	;; [unrolled: 1-line block ×3, first 2 shown]
	v_exp_f32_e32 v146, v146
	v_cvt_i32_f32_e32 v132, v150
	v_cvt_i32_f32_e32 v134, v152
	;; [unrolled: 1-line block ×3, first 2 shown]
	v_exp_f32_e32 v133, v133
	v_exp_f32_e32 v135, v135
	v_sub_f32_e32 v139, v147, v156
	v_add_f32_e32 v139, v139, v155
	v_cvt_i32_f32_e32 v145, v156
	v_exp_f32_e32 v139, v139
	v_ldexp_f32 v146, v146, v158
	v_ldexp_f32 v130, v130, v132
	;; [unrolled: 1-line block ×4, first 2 shown]
	v_cndmask_b32_e32 v135, 0, v146, vcc
	v_cmp_ngt_f32_e32 vcc, s77, v141
	v_ldexp_f32 v134, v139, v145
	s_waitcnt vmcnt(0) lgkmcnt(0)
	ds_write_b128 v108, v[14:17]
	v_cndmask_b32_e32 v130, 0, v130, vcc
	v_cmp_ngt_f32_e32 vcc, s77, v142
	s_waitcnt lgkmcnt(0)
	s_barrier
	v_cndmask_b32_e32 v132, 0, v132, vcc
	v_cmp_ngt_f32_e32 vcc, s77, v143
	s_nop 1
	v_cndmask_b32_e32 v133, 0, v133, vcc
	v_cmp_ngt_f32_e32 vcc, s77, v144
	s_nop 1
	v_cndmask_b32_e32 v134, 0, v134, vcc
	v_cmp_nlt_f32_e32 vcc, s97, v140
	s_nop 1
	v_cndmask_b32_e32 v135, v116, v135, vcc
	v_cmp_nlt_f32_e32 vcc, s97, v141
	;; [unrolled: 3-line block ×3, first 2 shown]
	v_cndmask_b32_e64 v130, 0, v135, s[6:7]
	v_cndmask_b32_e64 v131, v131, v138, s[8:9]
	v_cndmask_b32_e32 v139, v116, v132, vcc
	v_cmp_nlt_f32_e32 vcc, s97, v143
	v_cvt_pk_f16_f32 v142, v130, v131
	v_cndmask_b32_e64 v132, v136, v139, s[10:11]
	v_cndmask_b32_e32 v145, v116, v133, vcc
	v_cmp_nlt_f32_e32 vcc, s97, v144
	s_nop 1
	v_cndmask_b32_e32 v133, v116, v134, vcc
	v_cmp_le_f32_e32 vcc, s34, v144
	v_cndmask_b32_e64 v134, v137, v145, s[16:17]
	v_cvt_pk_f16_f32 v143, v132, v134
	v_cndmask_b32_e32 v144, 0, v133, vcc
	v_cvt_f16_f32_e32 v135, v144
	v_add_f32_e32 v133, v138, v130
	v_cndmask_b32_e64 v130, v130, v133, s[8:9]
	v_add_f32_e32 v131, v130, v139
	v_cndmask_b32_e64 v146, v130, v131, s[10:11]
	v_mul_u32_u24_e32 v130, 0x10001, v135
	ds_read_u16 v14, v82 offset:144
	ds_read_u16 v16, v82
	ds_read_u16 v134, v82 offset:32
	ds_read_u16 v136, v82 offset:176
	;; [unrolled: 1-line block ×6, first 2 shown]
	ds_read_u16 v15, v83
	ds_read_u16 v17, v84
	ds_read_u16 v140, v83 offset:32
	ds_read_u16 v141, v84 offset:32
	;; [unrolled: 1-line block ×6, first 2 shown]
	v_pk_mul_f16 v121, v121, v130
	v_pk_mul_f16 v127, v127, v130
	;; [unrolled: 1-line block ×4, first 2 shown]
	s_waitcnt lgkmcnt(6)
	v_perm_b32 v15, v17, v15, s33
	v_perm_b32 v14, v14, v16, s33
	s_waitcnt lgkmcnt(4)
	v_perm_b32 v17, v141, v140, s33
	v_perm_b32 v16, v136, v134, s33
	v_pk_mul_f16 v132, v124, v130
	v_pk_mul_f16 v133, v123, v130
	;; [unrolled: 1-line block ×4, first 2 shown]
	v_cvt_f32_f16_e32 v120, v121
	v_cvt_f32_f16_sdwa v121, v121 dst_sel:DWORD dst_unused:UNUSED_PAD src0_sel:WORD_1
	v_cvt_f32_f16_e32 v122, v127
	v_cvt_f32_f16_sdwa v123, v127 dst_sel:DWORD dst_unused:UNUSED_PAD src0_sel:WORD_1
	;; [unrolled: 2-line block ×4, first 2 shown]
	v_mfma_f32_16x16x16_f16 v[120:123], v[14:15], v[142:143], v[120:123]
	s_waitcnt lgkmcnt(2)
	v_perm_b32 v15, v150, v149, s33
	v_perm_b32 v14, v139, v138, s33
	v_cvt_f32_f16_e32 v130, v132
	v_mfma_f32_16x16x16_f16 v[138:141], v[16:17], v[142:143], v[124:127]
	s_waitcnt lgkmcnt(0)
	v_perm_b32 v17, v151, v152, s33
	v_perm_b32 v16, v147, v148, s33
	v_cvt_f32_f16_sdwa v131, v132 dst_sel:DWORD dst_unused:UNUSED_PAD src0_sel:WORD_1
	v_cvt_f32_f16_e32 v132, v133
	v_cvt_f32_f16_sdwa v133, v133 dst_sel:DWORD dst_unused:UNUSED_PAD src0_sel:WORD_1
	v_cvt_f32_f16_e32 v134, v135
	;; [unrolled: 2-line block ×3, first 2 shown]
	v_cvt_f32_f16_sdwa v137, v137 dst_sel:DWORD dst_unused:UNUSED_PAD src0_sel:WORD_1
	v_mfma_f32_16x16x16_f16 v[130:133], v[14:15], v[142:143], v[130:133]
	v_add_f32_e32 v14, v146, v145
	v_cndmask_b32_e64 v14, v146, v14, s[16:17]
	v_fmac_f32_e32 v14, v129, v144
	v_mfma_f32_16x16x16_f16 v[134:137], v[16:17], v[142:143], v[134:137]
	v_cvt_pk_f16_f32 v121, v120, v121
	v_cvt_pk_f16_f32 v127, v122, v123
	;; [unrolled: 1-line block ×6, first 2 shown]
	s_nop 1
	v_cvt_pk_f16_f32 v122, v134, v135
	v_cvt_pk_f16_f32 v120, v136, v137
	s_barrier
	s_cbranch_scc0 .LBB0_116
; %bb.114:                              ;   in Loop: Header=BB0_111 Depth=2
	v_mov_b32_e32 v129, v14
	v_mov_b32_e32 v130, v49
	v_cndmask_b32_e64 v14, 0, 1, s[22:23]
	v_cmp_ne_u32_e64 s[20:21], 1, v14
	s_andn2_b64 vcc, exec, s[22:23]
	s_cbranch_vccz .LBB0_108
	s_branch .LBB0_111
.LBB0_115:                              ;   in Loop: Header=BB0_14 Depth=1
	v_mov_b32_e32 v49, 0xfeffffff
	s_mov_b32 s84, 0
	v_mov_b32_e32 v14, 0
	v_mov_b32_e32 v120, 0
	;; [unrolled: 1-line block ×9, first 2 shown]
	s_branch .LBB0_117
.LBB0_116:                              ;   in Loop: Header=BB0_14 Depth=1
	s_lshl_b32 s84, s12, 6
.LBB0_117:                              ;   in Loop: Header=BB0_14 Depth=1
	v_readlane_b32 s12, v159, 3
	s_sub_i32 s12, s12, s84
	s_cmp_lg_u64 s[92:93], 0
	s_cselect_b64 s[24:25], -1, 0
	s_cmp_eq_u64 s[92:93], 0
	v_readlane_b32 s13, v159, 4
	s_cbranch_scc1 .LBB0_123
; %bb.118:                              ;   in Loop: Header=BB0_14 Depth=1
	v_cmp_le_i32_e32 vcc, s12, v20
	s_and_saveexec_b64 s[20:21], vcc
	s_xor_b64 s[20:21], exec, s[20:21]
	s_cbranch_execz .LBB0_120
; %bb.119:                              ;   in Loop: Header=BB0_14 Depth=1
	ds_write_b16 v74, v23 offset:9216
	ds_write_b16 v76, v23 offset:9216
.LBB0_120:                              ;   in Loop: Header=BB0_14 Depth=1
	s_or_saveexec_b64 s[20:21], s[20:21]
	v_mov_b32_e32 v15, 0
	v_mov_b32_e32 v16, 0
	s_xor_b64 exec, exec, s[20:21]
	s_cbranch_execz .LBB0_122
; %bb.121:                              ;   in Loop: Header=BB0_14 Depth=1
	s_lshl_b64 s[22:23], s[84:85], 1
	s_add_u32 s22, s92, s22
	s_addc_u32 s23, s93, s23
	v_lshlrev_b32_e32 v22, 1, v20
	v_add_u32_e32 v15, s19, v68
	v_lshl_add_u64 v[16:17], s[22:23], 0, v[22:23]
	v_mul_hi_u32 v22, s66, v15
	v_add_u32_e32 v22, v15, v22
	v_lshrrev_b32_e32 v22, s67, v22
	v_mul_lo_u32 v22, v22, s52
	v_sub_u32_e32 v15, v15, v22
	v_mad_i64_i32 v[50:51], s[22:23], v15, s68, 0
	v_add_u32_e32 v15, s19, v75
	v_mul_hi_u32 v22, s66, v15
	v_add_u32_e32 v22, v15, v22
	v_lshrrev_b32_e32 v22, s67, v22
	v_mul_lo_u32 v22, v22, s52
	v_sub_u32_e32 v15, v15, v22
	v_mad_i64_i32 v[52:53], s[22:23], v15, s68, 0
	v_add_u32_e32 v15, s19, v94
	;; [unrolled: 7-line block ×3, first 2 shown]
	v_mul_hi_u32 v22, s66, v15
	v_add_u32_e32 v22, v15, v22
	v_lshrrev_b32_e32 v22, s67, v22
	v_mul_lo_u32 v22, v22, s52
	v_sub_u32_e32 v15, v15, v22
	v_mad_i64_i32 v[56:57], s[22:23], v15, s68, 0
	v_lshl_add_u64 v[50:51], v[50:51], 1, v[16:17]
	v_lshl_add_u64 v[52:53], v[52:53], 1, v[16:17]
	;; [unrolled: 1-line block ×4, first 2 shown]
	global_load_ushort v22, v[50:51], off
	s_nop 0
	global_load_ushort v50, v[52:53], off
	global_load_ushort v15, v[54:55], off
	s_nop 0
	global_load_ushort v16, v[16:17], off
	s_waitcnt vmcnt(3)
	ds_write_b16 v74, v22 offset:9216
	s_waitcnt vmcnt(2)
	ds_write_b16 v76, v50 offset:9216
.LBB0_122:                              ;   in Loop: Header=BB0_14 Depth=1
	s_or_b64 exec, exec, s[20:21]
	s_waitcnt vmcnt(1)
	ds_write_b16 v96, v15 offset:9216
	s_waitcnt vmcnt(0)
	ds_write_b16 v106, v16 offset:9216
.LBB0_123:                              ;   in Loop: Header=BB0_14 Depth=1
	s_mul_i32 s13, s84, s65
	s_mul_hi_u32 s15, s84, s64
	s_add_i32 s21, s15, s13
	s_mul_i32 s20, s84, s64
	s_lshl_b64 s[20:21], s[20:21], 2
	s_add_u32 s20, s69, s20
	s_addc_u32 s21, s14, s21
	v_lshl_add_u64 v[16:17], v[28:29], 2, s[20:21]
	v_lshlrev_b32_e32 v22, 2, v26
	v_lshl_add_u64 v[16:17], v[16:17], 0, v[22:23]
	v_mov_b32_e32 v15, s87
	v_cmp_gt_i32_e64 s[22:23], s12, v77
	scratch_store_dwordx4 off, v[2:5], off
	s_andn2_b64 vcc, exec, s[24:25]
	v_cndmask_b32_e64 v17, v15, v17, s[22:23]
	v_cndmask_b32_e64 v16, v119, v16, s[22:23]
	flat_load_dwordx4 v[50:53], v[16:17]
	v_lshl_add_u64 v[16:17], v[30:31], 2, s[20:21]
	v_lshl_add_u64 v[16:17], v[16:17], 0, v[22:23]
	v_cmp_gt_i32_e64 s[20:21], s12, v107
	s_waitcnt vmcnt(0) lgkmcnt(0)
	ds_write_b128 v78, v[50:53]
	v_cndmask_b32_e64 v17, v15, v17, s[20:21]
	v_cndmask_b32_e64 v16, v119, v16, s[20:21]
	flat_load_dwordx4 v[50:53], v[16:17]
	s_waitcnt vmcnt(0) lgkmcnt(0)
	ds_write_b128 v108, v[50:53]
	s_waitcnt lgkmcnt(0)
	s_barrier
	ds_read2_b64 v[50:53], v79 offset1:4
	s_waitcnt lgkmcnt(0)
	v_mfma_f32_16x16x16_f16 v[54:57], v[50:51], v[10:11], 0
	v_mfma_f32_16x16x16_f16 v[10:13], v[52:53], v[12:13], v[54:57]
	ds_read2_b64 v[50:53], v79 offset0:8 offset1:12
	s_waitcnt lgkmcnt(0)
	s_barrier
	v_mfma_f32_16x16x16_f16 v[10:13], v[50:51], v[6:7], v[10:13]
	v_mfma_f32_16x16x16_f16 v[6:9], v[52:53], v[8:9], v[10:13]
	s_cbranch_vccnz .LBB0_125
; %bb.124:                              ;   in Loop: Header=BB0_14 Depth=1
	s_nop 5
	v_add_u32_e32 v10, 0x2400, v81
	ds_read2_b32 v[10:11], v10 offset1:1
	s_waitcnt lgkmcnt(0)
	v_cvt_f32_f16_e32 v12, v10
	v_cvt_f32_f16_e32 v16, v11
	v_cvt_f32_f16_sdwa v17, v11 dst_sel:DWORD dst_unused:UNUSED_PAD src0_sel:WORD_1
	v_cvt_f32_f16_sdwa v13, v10 dst_sel:DWORD dst_unused:UNUSED_PAD src0_sel:WORD_1
	v_pk_fma_f32 v[8:9], v[48:49], v[16:17], v[8:9] op_sel_hi:[0,1,1]
	v_pk_fma_f32 v[6:7], v[48:49], v[12:13], v[6:7] op_sel_hi:[0,1,1]
.LBB0_125:                              ;   in Loop: Header=BB0_14 Depth=1
	s_mul_i32 s13, s84, s55
	s_mul_hi_u32 s14, s84, s54
	s_add_i32 s15, s14, s13
	s_mul_i32 s14, s84, s54
	s_lshl_b64 s[14:15], s[14:15], 2
	s_add_u32 s14, s62, s14
	s_addc_u32 s15, s63, s15
	v_lshl_add_u64 v[10:11], v[32:33], 2, s[14:15]
	v_lshl_add_u64 v[10:11], v[10:11], 0, v[22:23]
	v_mov_b32_e32 v48, s87
	v_cndmask_b32_e64 v11, v48, v11, s[22:23]
	v_cndmask_b32_e64 v10, v119, v10, s[22:23]
	scratch_store_dwordx4 off, v[2:5], off
	flat_load_dwordx4 v[10:13], v[10:11]
	v_add_f32_e32 v50, 0x40051340, v6
	v_max_f32_e32 v51, v49, v49
	v_and_b32_e32 v55, 64, v118
	v_xor_b32_e32 v56, 32, v118
	v_max_f32_e32 v50, v51, v50
	v_add_u32_e32 v51, 64, v55
	v_cmp_gt_u32_e64 s[22:23], s12, v80
	v_cmp_lt_i32_e32 vcc, v56, v51
	v_add_f32_e32 v52, 0x40051340, v7
	v_cndmask_b32_e64 v55, v49, v50, s[22:23]
	v_cndmask_b32_e32 v50, v118, v56, vcc
	v_max_f32_e32 v56, v55, v55
	v_max_f32_e32 v52, v56, v52
	v_cmp_gt_u32_e32 vcc, s12, v109
	v_add_f32_e32 v53, 0x40051340, v8
	v_cmp_gt_u32_e64 s[24:25], s12, v110
	v_cndmask_b32_e32 v52, v55, v52, vcc
	v_max_f32_e32 v55, v52, v52
	v_max_f32_e32 v53, v55, v53
	v_cndmask_b32_e64 v52, v52, v53, s[24:25]
	v_add_f32_e32 v54, 0x40051340, v9
	v_max_f32_e32 v53, v52, v52
	v_max_f32_e32 v53, v53, v54
	v_cmp_gt_u32_e64 s[26:27], s12, v111
	v_lshlrev_b32_e32 v50, 2, v50
	v_xor_b32_e32 v57, 16, v118
	v_cndmask_b32_e64 v52, v52, v53, s[26:27]
	ds_bpermute_b32 v53, v50, v52
	v_cmp_lt_i32_e64 s[30:31], v57, v51
	v_max_f32_e32 v52, v52, v52
	v_mov_b32_e32 v15, s85
	v_cndmask_b32_e64 v51, v118, v57, s[30:31]
	s_waitcnt lgkmcnt(0)
	v_max_f32_e32 v53, v53, v53
	v_lshlrev_b32_e32 v51, 2, v51
	v_max_f32_e32 v54, v52, v53
	ds_bpermute_b32 v55, v51, v54
	v_lshl_add_u64 v[52:53], v[34:35], 2, s[14:15]
	v_lshl_add_u64 v[52:53], v[52:53], 0, v[22:23]
	v_cndmask_b32_e64 v53, v48, v53, s[20:21]
	v_cndmask_b32_e64 v52, v119, v52, s[20:21]
	s_waitcnt lgkmcnt(0)
	v_max_f32_e32 v22, v55, v55
	v_max_f32_e32 v48, v54, v22
	v_sub_f32_e32 v22, v6, v48
	v_sub_f32_e32 v54, v7, v48
	v_sub_f32_e32 v55, v8, v48
	v_sub_f32_e32 v56, v9, v48
	v_mul_f32_e32 v57, 0x3fb8aa3b, v22
	v_sub_f32_e32 v49, v49, v48
	v_mul_f32_e32 v58, 0x3fb8aa3b, v54
	v_mul_f32_e32 v59, 0x3fb8aa3b, v55
	v_mul_f32_e32 v60, 0x3fb8aa3b, v56
	v_fma_f32 v62, v22, s53, -v57
	v_rndne_f32_e32 v63, v57
	v_mul_f32_e32 v61, 0x3fb8aa3b, v49
	v_fma_f32 v64, v54, s53, -v58
	v_rndne_f32_e32 v65, v58
	v_fmac_f32_e32 v62, 0x32a5705f, v22
	v_sub_f32_e32 v57, v57, v63
	v_fmac_f32_e32 v64, 0x32a5705f, v54
	v_sub_f32_e32 v58, v58, v65
	v_add_f32_e32 v57, v57, v62
	v_cvt_i32_f32_e32 v63, v63
	v_add_f32_e32 v58, v58, v64
	v_exp_f32_e32 v57, v57
	v_cvt_i32_f32_e32 v65, v65
	v_exp_f32_e32 v58, v58
	v_cmp_ngt_f32_e64 s[20:21], s77, v22
	v_ldexp_f32 v57, v57, v63
	v_mov_b32_e32 v16, s85
	v_ldexp_f32 v58, v58, v65
	v_mov_b32_e32 v17, s85
	s_cmp_lg_u64 s[90:91], 0
	v_readlane_b32 s14, v159, 32
	s_cselect_b64 s[12:13], -1, 0
	v_readlane_b32 s15, v159, 33
	s_and_b64 s[12:13], s[14:15], s[12:13]
	s_waitcnt vmcnt(0)
	ds_write_b128 v78, v[10:13]
	flat_load_dwordx4 v[6:9], v[52:53]
	v_fma_f32 v10, v55, s53, -v59
	v_rndne_f32_e32 v11, v59
	v_fma_f32 v12, v56, s53, -v60
	v_rndne_f32_e32 v13, v60
	;; [unrolled: 2-line block ×3, first 2 shown]
	v_fmac_f32_e32 v10, 0x32a5705f, v55
	v_sub_f32_e32 v59, v59, v11
	v_fmac_f32_e32 v12, 0x32a5705f, v56
	v_sub_f32_e32 v60, v60, v13
	;; [unrolled: 2-line block ×3, first 2 shown]
	v_add_f32_e32 v10, v59, v10
	v_add_f32_e32 v12, v60, v12
	v_cvt_i32_f32_e32 v11, v11
	v_cvt_i32_f32_e32 v13, v13
	v_add_f32_e32 v52, v61, v52
	v_exp_f32_e32 v10, v10
	v_exp_f32_e32 v12, v12
	v_cvt_i32_f32_e32 v53, v53
	v_exp_f32_e32 v52, v52
	v_ldexp_f32 v10, v10, v11
	v_ldexp_f32 v11, v12, v13
	v_cndmask_b32_e64 v13, 0, v57, s[20:21]
	v_cmp_ngt_f32_e64 s[20:21], s77, v54
	v_ldexp_f32 v12, v52, v53
	s_waitcnt vmcnt(0) lgkmcnt(0)
	ds_write_b128 v108, v[6:9]
	v_cndmask_b32_e64 v52, 0, v58, s[20:21]
	v_cmp_ngt_f32_e64 s[20:21], s77, v55
	s_waitcnt lgkmcnt(0)
	s_barrier
	v_cndmask_b32_e64 v10, 0, v10, s[20:21]
	v_cmp_ngt_f32_e64 s[20:21], s77, v56
	s_nop 1
	v_cndmask_b32_e64 v11, 0, v11, s[20:21]
	v_cmp_ngt_f32_e64 s[20:21], s77, v49
	s_nop 1
	v_cndmask_b32_e64 v12, 0, v12, s[20:21]
	v_cmp_nlt_f32_e64 s[20:21], s97, v22
	s_nop 1
	v_cndmask_b32_e64 v13, v116, v13, s[20:21]
	v_cmp_nlt_f32_e64 s[20:21], s97, v54
	;; [unrolled: 3-line block ×4, first 2 shown]
	v_cndmask_b32_e64 v10, 0, v13, s[22:23]
	s_nop 0
	v_cndmask_b32_e64 v53, v116, v11, s[20:21]
	v_cmp_nlt_f32_e64 s[20:21], s97, v49
	v_cndmask_b32_e32 v11, v15, v22, vcc
	v_cndmask_b32_e64 v13, v17, v53, s[26:27]
	v_cndmask_b32_e64 v54, v116, v12, s[20:21]
	v_cmp_le_f32_e64 s[20:21], s34, v49
	v_cndmask_b32_e64 v12, v16, v52, s[24:25]
	v_add_f32_e32 v16, v22, v10
	v_cndmask_b32_e64 v15, 0, v54, s[20:21]
	v_cvt_f16_f32_e32 v17, v15
	v_cndmask_b32_e32 v16, v10, v16, vcc
	v_add_f32_e32 v22, v16, v52
	v_cndmask_b32_e64 v16, v16, v22, s[24:25]
	v_add_f32_e32 v22, v16, v53
	v_mul_u32_u24_e32 v49, 0x10001, v17
	v_cndmask_b32_e64 v56, v16, v22, s[26:27]
	v_pk_mul_f16 v16, v121, v49
	v_pk_mul_f16 v58, v122, v49
	v_fmac_f32_e32 v56, v14, v15
	ds_read_u16 v6, v82 offset:144
	ds_read_u16 v8, v82
	ds_read_u16 v9, v82 offset:32
	ds_read_u16 v59, v82 offset:176
	;; [unrolled: 1-line block ×6, first 2 shown]
	ds_read_u16 v7, v83
	ds_read_u16 v64, v83 offset:32
	ds_read_u16 v15, v84
	ds_read_u16 v65, v84 offset:32
	ds_read_u16 v66, v83 offset:64
	;; [unrolled: 1-line block ×5, first 2 shown]
	v_pk_mul_f16 v17, v127, v49
	s_waitcnt lgkmcnt(5)
	v_perm_b32 v7, v15, v7, s33
	v_perm_b32 v6, v6, v8, s33
	v_cvt_f32_f16_e32 v14, v16
	v_cvt_f32_f16_sdwa v15, v16 dst_sel:DWORD dst_unused:UNUSED_PAD src0_sel:WORD_1
	v_cvt_f32_f16_e32 v16, v17
	v_cvt_f32_f16_sdwa v17, v17 dst_sel:DWORD dst_unused:UNUSED_PAD src0_sel:WORD_1
	v_cvt_pk_f16_f32 v53, v12, v13
	v_cvt_pk_f16_f32 v52, v10, v11
	v_pk_mul_f16 v22, v126, v49
	v_pk_mul_f16 v54, v125, v49
	v_mfma_f32_16x16x16_f16 v[12:15], v[6:7], v[52:53], v[14:17]
	s_waitcnt lgkmcnt(4)
	v_perm_b32 v11, v65, v64, s33
	v_perm_b32 v10, v59, v9, s33
	v_cvt_f32_f16_e32 v6, v22
	v_cvt_f32_f16_sdwa v7, v22 dst_sel:DWORD dst_unused:UNUSED_PAD src0_sel:WORD_1
	v_cvt_f32_f16_e32 v8, v54
	s_nop 1
	v_cvt_f16_f32_e32 v14, v14
	v_cvt_f16_f32_e32 v15, v15
	v_cvt_f32_f16_sdwa v9, v54 dst_sel:DWORD dst_unused:UNUSED_PAD src0_sel:WORD_1
	v_pk_mul_f16 v55, v124, v49
	v_pk_mul_f16 v57, v123, v49
	v_perm_b32 v22, v15, v14, s33
	v_mfma_f32_16x16x16_f16 v[14:17], v[10:11], v[52:53], v[6:9]
	s_waitcnt lgkmcnt(2)
	v_perm_b32 v11, v67, v66, s33
	v_perm_b32 v10, v61, v60, s33
	v_pk_mul_f16 v49, v120, v49
	v_cvt_f32_f16_e32 v6, v55
	v_cvt_f32_f16_sdwa v7, v55 dst_sel:DWORD dst_unused:UNUSED_PAD src0_sel:WORD_1
	v_cvt_f32_f16_e32 v8, v57
	v_cvt_f32_f16_sdwa v9, v57 dst_sel:DWORD dst_unused:UNUSED_PAD src0_sel:WORD_1
	v_cvt_f16_f32_e32 v16, v16
	v_cvt_f16_f32_e32 v17, v17
	v_mfma_f32_16x16x16_f16 v[6:9], v[10:11], v[52:53], v[6:9]
	s_waitcnt lgkmcnt(0)
	v_perm_b32 v55, v121, v122, s33
	v_perm_b32 v54, v62, v63, s33
	;; [unrolled: 1-line block ×3, first 2 shown]
	v_cvt_f32_f16_e32 v10, v49
	s_nop 2
	v_cvt_f16_f32_e32 v17, v8
	v_cvt_f16_f32_e32 v61, v9
	v_cvt_f32_f16_e32 v8, v58
	v_cvt_f32_f16_sdwa v9, v58 dst_sel:DWORD dst_unused:UNUSED_PAD src0_sel:WORD_1
	v_cvt_f32_f16_sdwa v11, v49 dst_sel:DWORD dst_unused:UNUSED_PAD src0_sel:WORD_1
	ds_bpermute_b32 v49, v50, v56
	v_cvt_f16_f32_e32 v59, v12
	v_mfma_f32_16x16x16_f16 v[8:11], v[54:55], v[52:53], v[8:11]
	v_cvt_f16_f32_e32 v64, v13
	s_waitcnt lgkmcnt(0)
	v_add_f32_e32 v49, v56, v49
	ds_bpermute_b32 v52, v51, v49
	v_cvt_f16_f32_e32 v57, v14
	v_cvt_f16_f32_e32 v60, v15
	;; [unrolled: 1-line block ×8, first 2 shown]
	v_perm_b32 v17, v61, v17, s33
	s_waitcnt lgkmcnt(0)
	v_add_f32_e32 v49, v49, v52
	v_perm_b32 v10, v11, v10, s33
	v_perm_b32 v11, v64, v59, s33
	;; [unrolled: 1-line block ×5, first 2 shown]
	s_barrier
	s_and_saveexec_b64 s[20:21], s[12:13]
	s_cbranch_execz .LBB0_127
; %bb.126:                              ;   in Loop: Header=BB0_14 Depth=1
	global_load_dword v11, v23, s[90:91]
	v_cvt_pk_f16_f32 v52, v12, v13
	v_max_f32_e32 v12, v48, v48
	v_cvt_pk_f16_f32 v14, v14, v15
	v_cvt_pk_f16_f32 v6, v6, v7
	;; [unrolled: 1-line block ×3, first 2 shown]
	s_waitcnt vmcnt(0)
	v_max_f32_e32 v13, v11, v11
	v_max_f32_e32 v12, v12, v13
	v_sub_f32_e32 v13, v48, v12
	v_sub_f32_e32 v11, v11, v12
	v_mul_f32_e32 v15, 0x3fb8aa3b, v13
	v_mul_f32_e32 v48, 0x3fb8aa3b, v11
	v_fma_f32 v53, v13, s53, -v15
	v_rndne_f32_e32 v54, v15
	v_fma_f32 v55, v11, s53, -v48
	v_rndne_f32_e32 v56, v48
	v_fmac_f32_e32 v53, 0x32a5705f, v13
	v_sub_f32_e32 v15, v15, v54
	v_fmac_f32_e32 v55, 0x32a5705f, v11
	v_sub_f32_e32 v48, v48, v56
	v_add_f32_e32 v15, v15, v53
	v_cvt_i32_f32_e32 v54, v54
	v_add_f32_e32 v48, v48, v55
	v_exp_f32_e32 v15, v15
	v_cvt_i32_f32_e32 v56, v56
	v_exp_f32_e32 v48, v48
	v_cmp_ngt_f32_e32 vcc, s77, v13
	v_ldexp_f32 v8, v15, v54
	v_ldexp_f32 v9, v48, v56
	v_cndmask_b32_e32 v8, 0, v8, vcc
	v_cmp_ngt_f32_e32 vcc, s77, v11
	s_nop 1
	v_cndmask_b32_e32 v9, 0, v9, vcc
	v_cmp_nlt_f32_e32 vcc, s97, v13
	s_nop 1
	v_cndmask_b32_e32 v8, v116, v8, vcc
	v_cmp_le_f32_e32 vcc, s34, v13
	s_nop 1
	v_cndmask_b32_e32 v8, 0, v8, vcc
	v_cvt_f16_f32_e32 v15, v8
	v_cmp_nlt_f32_e32 vcc, s97, v11
	s_nop 1
	v_cndmask_b32_e32 v13, v116, v9, vcc
	v_fmac_f32_e32 v13, v49, v8
	v_mul_u32_u24_e32 v8, 0x10001, v15
	v_pk_mul_f16 v11, v52, v8
	v_pk_mul_f16 v22, v22, v8
	;; [unrolled: 1-line block ×8, first 2 shown]
	v_mov_b64_e32 v[48:49], v[12:13]
.LBB0_127:                              ;   in Loop: Header=BB0_14 Depth=1
	s_or_b64 exec, exec, s[20:21]
	s_mov_b64 s[20:21], exec
	v_readlane_b32 s12, v159, 47
	v_readlane_b32 s13, v159, 48
	s_and_b64 s[12:13], s[20:21], s[12:13]
	s_mov_b64 exec, s[12:13]
; %bb.128:                              ;   in Loop: Header=BB0_14 Depth=1
	v_add_u32_e32 v6, 0, v95
	ds_write2_b32 v6, v48, v49 offset0:32 offset1:33
; %bb.129:                              ;   in Loop: Header=BB0_14 Depth=1
	s_or_b64 exec, exec, s[20:21]
	s_waitcnt lgkmcnt(0)
	s_barrier
	s_mov_b64 s[12:13], exec
	v_readlane_b32 s14, v159, 34
	v_readlane_b32 s15, v159, 35
	s_and_b64 s[14:15], s[12:13], s[14:15]
	s_xor_b64 s[20:21], s[14:15], s[12:13]
	s_mov_b64 exec, s[14:15]
	s_cbranch_execz .LBB0_131
; %bb.130:                              ;   in Loop: Header=BB0_14 Depth=1
	s_barrier
                                        ; implicit-def: $vgpr50
                                        ; implicit-def: $vgpr51
.LBB0_131:                              ;   in Loop: Header=BB0_14 Depth=1
	s_andn2_saveexec_b64 s[20:21], s[20:21]
	s_cbranch_execz .LBB0_133
; %bb.132:                              ;   in Loop: Header=BB0_14 Depth=1
	v_add_u32_e32 v8, 0, v95
	ds_read_b64 v[6:7], v8 offset:128
	s_waitcnt lgkmcnt(0)
	s_barrier
	ds_bpermute_b32 v9, v50, v6
	v_max_f32_e32 v12, v6, v6
	s_waitcnt lgkmcnt(0)
	v_max_f32_e32 v9, v9, v9
	v_max_f32_e32 v9, v12, v9
	ds_bpermute_b32 v12, v51, v9
	s_waitcnt lgkmcnt(0)
	v_max_f32_e32 v12, v12, v12
	v_max_f32_e32 v9, v9, v12
	v_sub_f32_e32 v6, v6, v9
	v_mul_f32_e32 v9, 0x3fb8aa3b, v6
	v_fma_f32 v12, v6, s53, -v9
	v_rndne_f32_e32 v13, v9
	v_fmac_f32_e32 v12, 0x32a5705f, v6
	v_sub_f32_e32 v9, v9, v13
	v_add_f32_e32 v9, v9, v12
	v_cvt_i32_f32_e32 v13, v13
	v_exp_f32_e32 v9, v9
	v_cmp_ngt_f32_e32 vcc, s77, v6
	v_ldexp_f32 v9, v9, v13
	s_nop 0
	v_cndmask_b32_e32 v9, 0, v9, vcc
	v_cmp_nlt_f32_e32 vcc, s97, v6
	s_nop 1
	v_cndmask_b32_e32 v6, v116, v9, vcc
	v_mul_f32_e32 v9, v7, v6
	ds_bpermute_b32 v9, v50, v9
	s_waitcnt lgkmcnt(0)
	v_fmac_f32_e32 v9, v7, v6
	ds_bpermute_b32 v7, v51, v9
	s_waitcnt lgkmcnt(0)
	v_add_f32_e32 v7, v9, v7
	ds_write_b64 v8, v[6:7] offset:128
.LBB0_133:                              ;   in Loop: Header=BB0_14 Depth=1
	s_or_b64 exec, exec, s[20:21]
	ds_write2_b32 v85, v11, v22 offset1:1
	ds_write2_b32 v85, v52, v16 offset0:8 offset1:9
	ds_write2_b32 v85, v53, v17 offset0:16 offset1:17
	;; [unrolled: 1-line block ×3, first 2 shown]
	s_waitcnt lgkmcnt(0)
	s_barrier
	s_mov_b64 s[20:21], exec
	v_readlane_b32 s12, v159, 32
	v_readlane_b32 s13, v159, 33
	s_and_b64 s[12:13], s[20:21], s[12:13]
	s_mov_b64 exec, s[12:13]
	s_cbranch_execz .LBB0_12
; %bb.134:                              ;   in Loop: Header=BB0_14 Depth=1
	v_add_u32_e32 v7, s19, v86
	v_cmp_gt_i32_e32 vcc, s52, v7
	v_mov_b32_e32 v6, 0x47
	s_and_saveexec_b64 s[22:23], vcc
	s_cbranch_execz .LBB0_136
; %bb.135:                              ;   in Loop: Header=BB0_14 Depth=1
	v_add_u32_e32 v14, v72, v97
	ds_read2st64_b32 v[8:9], v14 offset1:9
	v_add_u32_e32 v16, 0, v97
	v_readlane_b32 s12, v159, 43
	v_add_u32_e32 v12, 0x80, v16
	s_waitcnt lgkmcnt(0)
	v_cvt_f32_f16_e32 v10, v8
	v_mul_lo_u32 v22, s12, v7
	ds_read2_b32 v[6:7], v16 offset0:32 offset1:33
	v_cvt_f32_f16_sdwa v11, v8 dst_sel:DWORD dst_unused:UNUSED_PAD src0_sel:WORD_1
	ds_read2st64_b32 v[12:13], v12 offset0:9 offset1:18
	ds_read2st64_b32 v[14:15], v14 offset0:18 offset1:27
	ds_read_b32 v8, v16 offset:7040
	v_cvt_f32_f16_e32 v16, v9
	v_cvt_f32_f16_sdwa v17, v9 dst_sel:DWORD dst_unused:UNUSED_PAD src0_sel:WORD_1
	s_waitcnt lgkmcnt(3)
	v_pk_fma_f32 v[10:11], v[6:7], v[10:11], 0 op_sel_hi:[0,1,0]
	s_waitcnt lgkmcnt(1)
	v_cvt_f32_f16_e32 v48, v14
	v_cvt_f32_f16_sdwa v49, v14 dst_sel:DWORD dst_unused:UNUSED_PAD src0_sel:WORD_1
	v_cvt_f32_f16_e32 v14, v15
	v_cvt_f32_f16_sdwa v15, v15 dst_sel:DWORD dst_unused:UNUSED_PAD src0_sel:WORD_1
	v_pk_fma_f32 v[10:11], v[12:13], v[16:17], v[10:11] op_sel_hi:[0,1,1]
	v_mov_b32_e32 v6, v13
	v_pk_fma_f32 v[10:11], v[6:7], v[48:49], v[10:11] op_sel_hi:[0,1,1]
	s_waitcnt lgkmcnt(0)
	v_pk_fma_f32 v[8:9], v[8:9], v[14:15], v[10:11] op_sel_hi:[0,1,1]
	v_div_scale_f32 v6, s[12:13], v7, v7, v9
	v_rcp_f32_e32 v12, v6
	v_or_b32_e32 v10, v22, v18
	v_ashrrev_i32_e32 v11, 31, v10
	v_lshl_add_u64 v[10:11], v[10:11], 3, s[2:3]
	v_fma_f32 v13, -v6, v12, 1.0
	v_fmac_f32_e32 v12, v13, v12
	v_div_scale_f32 v13, vcc, v9, v7, v9
	v_mul_f32_e32 v14, v13, v12
	v_fma_f32 v15, -v6, v14, v13
	v_fmac_f32_e32 v14, v15, v12
	v_fma_f32 v6, -v6, v14, v13
	v_div_scale_f32 v13, s[12:13], v7, v7, v8
	v_rcp_f32_e32 v15, v13
	v_div_fmas_f32 v6, v6, v12, v14
	v_div_fixup_f32 v9, v6, v7, v9
	v_fma_f32 v6, -v13, v15, 1.0
	v_fmac_f32_e32 v15, v6, v15
	v_div_scale_f32 v6, vcc, v8, v7, v8
	v_mul_f32_e32 v12, v6, v15
	v_fma_f32 v14, -v13, v12, v6
	v_fmac_f32_e32 v12, v14, v15
	v_fma_f32 v6, -v13, v12, v6
	v_div_fmas_f32 v6, v6, v15, v12
	v_div_fixup_f32 v8, v6, v7, v8
	v_mov_b32_e32 v6, 0
	global_store_dwordx2 v[10:11], v[8:9], off
.LBB0_136:                              ;   in Loop: Header=BB0_14 Depth=1
	s_or_b64 exec, exec, s[22:23]
	s_movk_i32 s12, 0x47
	v_cmp_gt_i32_e32 vcc, s12, v6
	s_mov_b64 s[22:23], -1
	s_and_saveexec_b64 s[24:25], vcc
; %bb.137:                              ;   in Loop: Header=BB0_14 Depth=1
	v_cmp_eq_u32_e32 vcc, 0, v6
	s_orn2_b64 s[22:23], vcc, exec
; %bb.138:                              ;   in Loop: Header=BB0_14 Depth=1
	s_or_b64 exec, exec, s[24:25]
	s_and_b64 exec, exec, s[22:23]
	s_cbranch_execz .LBB0_12
; %bb.139:                              ;   in Loop: Header=BB0_14 Depth=1
	v_add_u32_e32 v7, s19, v87
	v_cmp_gt_i32_e32 vcc, s52, v7
	v_mov_b32_e32 v6, 0x47
	s_and_saveexec_b64 s[22:23], vcc
	s_cbranch_execz .LBB0_141
; %bb.140:                              ;   in Loop: Header=BB0_14 Depth=1
	v_add_u32_e32 v14, v72, v98
	ds_read2st64_b32 v[8:9], v14 offset1:9
	v_add_u32_e32 v16, 0, v98
	v_readlane_b32 s12, v159, 43
	v_add_u32_e32 v12, 0x80, v16
	s_waitcnt lgkmcnt(0)
	v_cvt_f32_f16_e32 v10, v8
	v_mul_lo_u32 v22, s12, v7
	ds_read2_b32 v[6:7], v16 offset0:32 offset1:33
	v_cvt_f32_f16_sdwa v11, v8 dst_sel:DWORD dst_unused:UNUSED_PAD src0_sel:WORD_1
	ds_read2st64_b32 v[12:13], v12 offset0:9 offset1:18
	ds_read2st64_b32 v[14:15], v14 offset0:18 offset1:27
	ds_read_b32 v8, v16 offset:7040
	v_cvt_f32_f16_e32 v16, v9
	v_cvt_f32_f16_sdwa v17, v9 dst_sel:DWORD dst_unused:UNUSED_PAD src0_sel:WORD_1
	s_waitcnt lgkmcnt(3)
	v_pk_fma_f32 v[10:11], v[6:7], v[10:11], 0 op_sel_hi:[0,1,0]
	s_waitcnt lgkmcnt(1)
	v_cvt_f32_f16_e32 v48, v14
	v_cvt_f32_f16_sdwa v49, v14 dst_sel:DWORD dst_unused:UNUSED_PAD src0_sel:WORD_1
	v_cvt_f32_f16_e32 v14, v15
	v_cvt_f32_f16_sdwa v15, v15 dst_sel:DWORD dst_unused:UNUSED_PAD src0_sel:WORD_1
	v_pk_fma_f32 v[10:11], v[12:13], v[16:17], v[10:11] op_sel_hi:[0,1,1]
	v_mov_b32_e32 v6, v13
	v_pk_fma_f32 v[10:11], v[6:7], v[48:49], v[10:11] op_sel_hi:[0,1,1]
	s_waitcnt lgkmcnt(0)
	v_pk_fma_f32 v[8:9], v[8:9], v[14:15], v[10:11] op_sel_hi:[0,1,1]
	v_div_scale_f32 v6, s[12:13], v7, v7, v9
	v_rcp_f32_e32 v12, v6
	v_or_b32_e32 v10, v22, v18
	v_ashrrev_i32_e32 v11, 31, v10
	v_lshl_add_u64 v[10:11], v[10:11], 3, s[2:3]
	v_fma_f32 v13, -v6, v12, 1.0
	v_fmac_f32_e32 v12, v13, v12
	v_div_scale_f32 v13, vcc, v9, v7, v9
	v_mul_f32_e32 v14, v13, v12
	v_fma_f32 v15, -v6, v14, v13
	v_fmac_f32_e32 v14, v15, v12
	v_fma_f32 v6, -v6, v14, v13
	v_div_scale_f32 v13, s[12:13], v7, v7, v8
	v_rcp_f32_e32 v15, v13
	v_div_fmas_f32 v6, v6, v12, v14
	v_div_fixup_f32 v9, v6, v7, v9
	v_fma_f32 v6, -v13, v15, 1.0
	v_fmac_f32_e32 v15, v6, v15
	v_div_scale_f32 v6, vcc, v8, v7, v8
	v_mul_f32_e32 v12, v6, v15
	v_fma_f32 v14, -v13, v12, v6
	v_fmac_f32_e32 v12, v14, v15
	v_fma_f32 v6, -v13, v12, v6
	v_div_fmas_f32 v6, v6, v15, v12
	v_div_fixup_f32 v8, v6, v7, v8
	v_mov_b32_e32 v6, 0
	global_store_dwordx2 v[10:11], v[8:9], off
.LBB0_141:                              ;   in Loop: Header=BB0_14 Depth=1
	s_or_b64 exec, exec, s[22:23]
	s_movk_i32 s12, 0x47
	v_cmp_gt_i32_e32 vcc, s12, v6
	s_mov_b64 s[22:23], -1
	s_and_saveexec_b64 s[24:25], vcc
; %bb.142:                              ;   in Loop: Header=BB0_14 Depth=1
	v_cmp_eq_u32_e32 vcc, 0, v6
	s_orn2_b64 s[22:23], vcc, exec
; %bb.143:                              ;   in Loop: Header=BB0_14 Depth=1
	s_or_b64 exec, exec, s[24:25]
	s_and_b64 exec, exec, s[22:23]
	s_cbranch_execz .LBB0_12
; %bb.144:                              ;   in Loop: Header=BB0_14 Depth=1
	v_add_u32_e32 v7, s19, v88
	v_cmp_gt_i32_e32 vcc, s52, v7
	v_mov_b32_e32 v6, 0x47
	s_and_saveexec_b64 s[22:23], vcc
	s_cbranch_execz .LBB0_146
; %bb.145:                              ;   in Loop: Header=BB0_14 Depth=1
	v_add_u32_e32 v14, v72, v99
	ds_read2st64_b32 v[8:9], v14 offset1:9
	v_add_u32_e32 v16, 0, v99
	v_readlane_b32 s12, v159, 43
	v_add_u32_e32 v12, 0x80, v16
	s_waitcnt lgkmcnt(0)
	v_cvt_f32_f16_e32 v10, v8
	v_mul_lo_u32 v22, s12, v7
	ds_read2_b32 v[6:7], v16 offset0:32 offset1:33
	v_cvt_f32_f16_sdwa v11, v8 dst_sel:DWORD dst_unused:UNUSED_PAD src0_sel:WORD_1
	ds_read2st64_b32 v[12:13], v12 offset0:9 offset1:18
	ds_read2st64_b32 v[14:15], v14 offset0:18 offset1:27
	ds_read_b32 v8, v16 offset:7040
	v_cvt_f32_f16_e32 v16, v9
	v_cvt_f32_f16_sdwa v17, v9 dst_sel:DWORD dst_unused:UNUSED_PAD src0_sel:WORD_1
	s_waitcnt lgkmcnt(3)
	v_pk_fma_f32 v[10:11], v[6:7], v[10:11], 0 op_sel_hi:[0,1,0]
	s_waitcnt lgkmcnt(1)
	v_cvt_f32_f16_e32 v48, v14
	v_cvt_f32_f16_sdwa v49, v14 dst_sel:DWORD dst_unused:UNUSED_PAD src0_sel:WORD_1
	v_cvt_f32_f16_e32 v14, v15
	v_cvt_f32_f16_sdwa v15, v15 dst_sel:DWORD dst_unused:UNUSED_PAD src0_sel:WORD_1
	v_pk_fma_f32 v[10:11], v[12:13], v[16:17], v[10:11] op_sel_hi:[0,1,1]
	v_mov_b32_e32 v6, v13
	v_pk_fma_f32 v[10:11], v[6:7], v[48:49], v[10:11] op_sel_hi:[0,1,1]
	s_waitcnt lgkmcnt(0)
	v_pk_fma_f32 v[8:9], v[8:9], v[14:15], v[10:11] op_sel_hi:[0,1,1]
	v_div_scale_f32 v6, s[12:13], v7, v7, v9
	v_rcp_f32_e32 v12, v6
	v_or_b32_e32 v10, v22, v18
	v_ashrrev_i32_e32 v11, 31, v10
	v_lshl_add_u64 v[10:11], v[10:11], 3, s[2:3]
	v_fma_f32 v13, -v6, v12, 1.0
	v_fmac_f32_e32 v12, v13, v12
	v_div_scale_f32 v13, vcc, v9, v7, v9
	v_mul_f32_e32 v14, v13, v12
	v_fma_f32 v15, -v6, v14, v13
	v_fmac_f32_e32 v14, v15, v12
	v_fma_f32 v6, -v6, v14, v13
	v_div_scale_f32 v13, s[12:13], v7, v7, v8
	v_rcp_f32_e32 v15, v13
	v_div_fmas_f32 v6, v6, v12, v14
	v_div_fixup_f32 v9, v6, v7, v9
	v_fma_f32 v6, -v13, v15, 1.0
	v_fmac_f32_e32 v15, v6, v15
	v_div_scale_f32 v6, vcc, v8, v7, v8
	v_mul_f32_e32 v12, v6, v15
	v_fma_f32 v14, -v13, v12, v6
	v_fmac_f32_e32 v12, v14, v15
	v_fma_f32 v6, -v13, v12, v6
	v_div_fmas_f32 v6, v6, v15, v12
	v_div_fixup_f32 v8, v6, v7, v8
	v_mov_b32_e32 v6, 0
	global_store_dwordx2 v[10:11], v[8:9], off
.LBB0_146:                              ;   in Loop: Header=BB0_14 Depth=1
	s_or_b64 exec, exec, s[22:23]
	s_movk_i32 s12, 0x47
	v_cmp_gt_i32_e32 vcc, s12, v6
	s_mov_b64 s[22:23], -1
	s_and_saveexec_b64 s[24:25], vcc
; %bb.147:                              ;   in Loop: Header=BB0_14 Depth=1
	v_cmp_eq_u32_e32 vcc, 0, v6
	s_orn2_b64 s[22:23], vcc, exec
; %bb.148:                              ;   in Loop: Header=BB0_14 Depth=1
	s_or_b64 exec, exec, s[24:25]
	s_and_b64 exec, exec, s[22:23]
	s_cbranch_execz .LBB0_12
; %bb.149:                              ;   in Loop: Header=BB0_14 Depth=1
	v_add_u32_e32 v7, s19, v89
	v_cmp_gt_i32_e32 vcc, s52, v7
	v_mov_b32_e32 v6, 0x47
	s_and_saveexec_b64 s[22:23], vcc
	s_cbranch_execz .LBB0_151
; %bb.150:                              ;   in Loop: Header=BB0_14 Depth=1
	v_add_u32_e32 v14, v72, v100
	ds_read2st64_b32 v[8:9], v14 offset1:9
	v_add_u32_e32 v16, 0, v100
	v_readlane_b32 s12, v159, 43
	v_add_u32_e32 v12, 0x80, v16
	s_waitcnt lgkmcnt(0)
	v_cvt_f32_f16_e32 v10, v8
	v_mul_lo_u32 v22, s12, v7
	ds_read2_b32 v[6:7], v16 offset0:32 offset1:33
	v_cvt_f32_f16_sdwa v11, v8 dst_sel:DWORD dst_unused:UNUSED_PAD src0_sel:WORD_1
	ds_read2st64_b32 v[12:13], v12 offset0:9 offset1:18
	ds_read2st64_b32 v[14:15], v14 offset0:18 offset1:27
	ds_read_b32 v8, v16 offset:7040
	v_cvt_f32_f16_e32 v16, v9
	v_cvt_f32_f16_sdwa v17, v9 dst_sel:DWORD dst_unused:UNUSED_PAD src0_sel:WORD_1
	s_waitcnt lgkmcnt(3)
	v_pk_fma_f32 v[10:11], v[6:7], v[10:11], 0 op_sel_hi:[0,1,0]
	s_waitcnt lgkmcnt(1)
	v_cvt_f32_f16_e32 v48, v14
	v_cvt_f32_f16_sdwa v49, v14 dst_sel:DWORD dst_unused:UNUSED_PAD src0_sel:WORD_1
	v_cvt_f32_f16_e32 v14, v15
	v_cvt_f32_f16_sdwa v15, v15 dst_sel:DWORD dst_unused:UNUSED_PAD src0_sel:WORD_1
	v_pk_fma_f32 v[10:11], v[12:13], v[16:17], v[10:11] op_sel_hi:[0,1,1]
	v_mov_b32_e32 v6, v13
	v_pk_fma_f32 v[10:11], v[6:7], v[48:49], v[10:11] op_sel_hi:[0,1,1]
	s_waitcnt lgkmcnt(0)
	v_pk_fma_f32 v[8:9], v[8:9], v[14:15], v[10:11] op_sel_hi:[0,1,1]
	v_div_scale_f32 v6, s[12:13], v7, v7, v9
	v_rcp_f32_e32 v12, v6
	v_or_b32_e32 v10, v22, v18
	v_ashrrev_i32_e32 v11, 31, v10
	v_lshl_add_u64 v[10:11], v[10:11], 3, s[2:3]
	v_fma_f32 v13, -v6, v12, 1.0
	v_fmac_f32_e32 v12, v13, v12
	v_div_scale_f32 v13, vcc, v9, v7, v9
	v_mul_f32_e32 v14, v13, v12
	v_fma_f32 v15, -v6, v14, v13
	v_fmac_f32_e32 v14, v15, v12
	v_fma_f32 v6, -v6, v14, v13
	v_div_scale_f32 v13, s[12:13], v7, v7, v8
	v_rcp_f32_e32 v15, v13
	v_div_fmas_f32 v6, v6, v12, v14
	v_div_fixup_f32 v9, v6, v7, v9
	v_fma_f32 v6, -v13, v15, 1.0
	v_fmac_f32_e32 v15, v6, v15
	v_div_scale_f32 v6, vcc, v8, v7, v8
	v_mul_f32_e32 v12, v6, v15
	v_fma_f32 v14, -v13, v12, v6
	v_fmac_f32_e32 v12, v14, v15
	v_fma_f32 v6, -v13, v12, v6
	v_div_fmas_f32 v6, v6, v15, v12
	v_div_fixup_f32 v8, v6, v7, v8
	v_mov_b32_e32 v6, 0
	global_store_dwordx2 v[10:11], v[8:9], off
.LBB0_151:                              ;   in Loop: Header=BB0_14 Depth=1
	s_or_b64 exec, exec, s[22:23]
	s_movk_i32 s12, 0x47
	v_cmp_gt_i32_e32 vcc, s12, v6
	s_mov_b64 s[22:23], -1
	s_and_saveexec_b64 s[24:25], vcc
; %bb.152:                              ;   in Loop: Header=BB0_14 Depth=1
	v_cmp_eq_u32_e32 vcc, 0, v6
	s_orn2_b64 s[22:23], vcc, exec
; %bb.153:                              ;   in Loop: Header=BB0_14 Depth=1
	s_or_b64 exec, exec, s[24:25]
	s_and_b64 exec, exec, s[22:23]
	s_cbranch_execz .LBB0_12
; %bb.154:                              ;   in Loop: Header=BB0_14 Depth=1
	v_add_u32_e32 v7, s19, v90
	v_cmp_gt_i32_e32 vcc, s52, v7
	v_mov_b32_e32 v6, 0x47
	s_and_saveexec_b64 s[22:23], vcc
	s_cbranch_execz .LBB0_156
; %bb.155:                              ;   in Loop: Header=BB0_14 Depth=1
	v_add_u32_e32 v14, v72, v101
	ds_read2st64_b32 v[8:9], v14 offset1:9
	v_add_u32_e32 v16, 0, v101
	v_readlane_b32 s12, v159, 43
	v_add_u32_e32 v12, 0x80, v16
	s_waitcnt lgkmcnt(0)
	v_cvt_f32_f16_e32 v10, v8
	v_mul_lo_u32 v22, s12, v7
	ds_read2_b32 v[6:7], v16 offset0:32 offset1:33
	v_cvt_f32_f16_sdwa v11, v8 dst_sel:DWORD dst_unused:UNUSED_PAD src0_sel:WORD_1
	ds_read2st64_b32 v[12:13], v12 offset0:9 offset1:18
	ds_read2st64_b32 v[14:15], v14 offset0:18 offset1:27
	ds_read_b32 v8, v16 offset:7040
	v_cvt_f32_f16_e32 v16, v9
	v_cvt_f32_f16_sdwa v17, v9 dst_sel:DWORD dst_unused:UNUSED_PAD src0_sel:WORD_1
	s_waitcnt lgkmcnt(3)
	v_pk_fma_f32 v[10:11], v[6:7], v[10:11], 0 op_sel_hi:[0,1,0]
	s_waitcnt lgkmcnt(1)
	v_cvt_f32_f16_e32 v48, v14
	v_cvt_f32_f16_sdwa v49, v14 dst_sel:DWORD dst_unused:UNUSED_PAD src0_sel:WORD_1
	v_cvt_f32_f16_e32 v14, v15
	v_cvt_f32_f16_sdwa v15, v15 dst_sel:DWORD dst_unused:UNUSED_PAD src0_sel:WORD_1
	v_pk_fma_f32 v[10:11], v[12:13], v[16:17], v[10:11] op_sel_hi:[0,1,1]
	v_mov_b32_e32 v6, v13
	v_pk_fma_f32 v[10:11], v[6:7], v[48:49], v[10:11] op_sel_hi:[0,1,1]
	s_waitcnt lgkmcnt(0)
	v_pk_fma_f32 v[8:9], v[8:9], v[14:15], v[10:11] op_sel_hi:[0,1,1]
	v_div_scale_f32 v6, s[12:13], v7, v7, v9
	v_rcp_f32_e32 v12, v6
	v_or_b32_e32 v10, v22, v18
	v_ashrrev_i32_e32 v11, 31, v10
	v_lshl_add_u64 v[10:11], v[10:11], 3, s[2:3]
	v_fma_f32 v13, -v6, v12, 1.0
	v_fmac_f32_e32 v12, v13, v12
	v_div_scale_f32 v13, vcc, v9, v7, v9
	v_mul_f32_e32 v14, v13, v12
	v_fma_f32 v15, -v6, v14, v13
	v_fmac_f32_e32 v14, v15, v12
	v_fma_f32 v6, -v6, v14, v13
	v_div_scale_f32 v13, s[12:13], v7, v7, v8
	v_rcp_f32_e32 v15, v13
	v_div_fmas_f32 v6, v6, v12, v14
	v_div_fixup_f32 v9, v6, v7, v9
	v_fma_f32 v6, -v13, v15, 1.0
	v_fmac_f32_e32 v15, v6, v15
	v_div_scale_f32 v6, vcc, v8, v7, v8
	v_mul_f32_e32 v12, v6, v15
	v_fma_f32 v14, -v13, v12, v6
	v_fmac_f32_e32 v12, v14, v15
	v_fma_f32 v6, -v13, v12, v6
	v_div_fmas_f32 v6, v6, v15, v12
	v_div_fixup_f32 v8, v6, v7, v8
	v_mov_b32_e32 v6, 0
	global_store_dwordx2 v[10:11], v[8:9], off
.LBB0_156:                              ;   in Loop: Header=BB0_14 Depth=1
	s_or_b64 exec, exec, s[22:23]
	s_movk_i32 s12, 0x47
	v_cmp_gt_i32_e32 vcc, s12, v6
	s_mov_b64 s[22:23], -1
	s_and_saveexec_b64 s[24:25], vcc
; %bb.157:                              ;   in Loop: Header=BB0_14 Depth=1
	v_cmp_eq_u32_e32 vcc, 0, v6
	s_orn2_b64 s[22:23], vcc, exec
; %bb.158:                              ;   in Loop: Header=BB0_14 Depth=1
	s_or_b64 exec, exec, s[24:25]
	s_and_b64 exec, exec, s[22:23]
	s_cbranch_execz .LBB0_12
; %bb.159:                              ;   in Loop: Header=BB0_14 Depth=1
	v_add_u32_e32 v7, s19, v91
	v_cmp_gt_i32_e32 vcc, s52, v7
	v_mov_b32_e32 v6, 0x47
	s_and_saveexec_b64 s[22:23], vcc
	s_cbranch_execz .LBB0_161
; %bb.160:                              ;   in Loop: Header=BB0_14 Depth=1
	v_add_u32_e32 v14, v72, v102
	ds_read2st64_b32 v[8:9], v14 offset1:9
	v_add_u32_e32 v16, 0, v102
	v_readlane_b32 s12, v159, 43
	v_add_u32_e32 v12, 0x80, v16
	s_waitcnt lgkmcnt(0)
	v_cvt_f32_f16_e32 v10, v8
	v_mul_lo_u32 v22, s12, v7
	ds_read2_b32 v[6:7], v16 offset0:32 offset1:33
	v_cvt_f32_f16_sdwa v11, v8 dst_sel:DWORD dst_unused:UNUSED_PAD src0_sel:WORD_1
	ds_read2st64_b32 v[12:13], v12 offset0:9 offset1:18
	ds_read2st64_b32 v[14:15], v14 offset0:18 offset1:27
	ds_read_b32 v8, v16 offset:7040
	v_cvt_f32_f16_e32 v16, v9
	v_cvt_f32_f16_sdwa v17, v9 dst_sel:DWORD dst_unused:UNUSED_PAD src0_sel:WORD_1
	s_waitcnt lgkmcnt(3)
	v_pk_fma_f32 v[10:11], v[6:7], v[10:11], 0 op_sel_hi:[0,1,0]
	s_waitcnt lgkmcnt(1)
	v_cvt_f32_f16_e32 v48, v14
	v_cvt_f32_f16_sdwa v49, v14 dst_sel:DWORD dst_unused:UNUSED_PAD src0_sel:WORD_1
	v_cvt_f32_f16_e32 v14, v15
	v_cvt_f32_f16_sdwa v15, v15 dst_sel:DWORD dst_unused:UNUSED_PAD src0_sel:WORD_1
	v_pk_fma_f32 v[10:11], v[12:13], v[16:17], v[10:11] op_sel_hi:[0,1,1]
	v_mov_b32_e32 v6, v13
	v_pk_fma_f32 v[10:11], v[6:7], v[48:49], v[10:11] op_sel_hi:[0,1,1]
	s_waitcnt lgkmcnt(0)
	v_pk_fma_f32 v[8:9], v[8:9], v[14:15], v[10:11] op_sel_hi:[0,1,1]
	v_div_scale_f32 v6, s[12:13], v7, v7, v9
	v_rcp_f32_e32 v12, v6
	v_or_b32_e32 v10, v22, v18
	v_ashrrev_i32_e32 v11, 31, v10
	v_lshl_add_u64 v[10:11], v[10:11], 3, s[2:3]
	v_fma_f32 v13, -v6, v12, 1.0
	v_fmac_f32_e32 v12, v13, v12
	v_div_scale_f32 v13, vcc, v9, v7, v9
	v_mul_f32_e32 v14, v13, v12
	v_fma_f32 v15, -v6, v14, v13
	v_fmac_f32_e32 v14, v15, v12
	v_fma_f32 v6, -v6, v14, v13
	v_div_scale_f32 v13, s[12:13], v7, v7, v8
	v_rcp_f32_e32 v15, v13
	v_div_fmas_f32 v6, v6, v12, v14
	v_div_fixup_f32 v9, v6, v7, v9
	v_fma_f32 v6, -v13, v15, 1.0
	v_fmac_f32_e32 v15, v6, v15
	v_div_scale_f32 v6, vcc, v8, v7, v8
	v_mul_f32_e32 v12, v6, v15
	v_fma_f32 v14, -v13, v12, v6
	v_fmac_f32_e32 v12, v14, v15
	v_fma_f32 v6, -v13, v12, v6
	v_div_fmas_f32 v6, v6, v15, v12
	v_div_fixup_f32 v8, v6, v7, v8
	v_mov_b32_e32 v6, 0
	global_store_dwordx2 v[10:11], v[8:9], off
.LBB0_161:                              ;   in Loop: Header=BB0_14 Depth=1
	s_or_b64 exec, exec, s[22:23]
	s_movk_i32 s12, 0x47
	v_cmp_gt_i32_e32 vcc, s12, v6
	s_mov_b64 s[22:23], -1
	s_and_saveexec_b64 s[24:25], vcc
; %bb.162:                              ;   in Loop: Header=BB0_14 Depth=1
	v_cmp_eq_u32_e32 vcc, 0, v6
	s_orn2_b64 s[22:23], vcc, exec
; %bb.163:                              ;   in Loop: Header=BB0_14 Depth=1
	s_or_b64 exec, exec, s[24:25]
	s_and_b64 exec, exec, s[22:23]
	s_cbranch_execz .LBB0_12
; %bb.164:                              ;   in Loop: Header=BB0_14 Depth=1
	v_add_u32_e32 v7, s19, v92
	v_cmp_gt_i32_e32 vcc, s52, v7
	v_mov_b32_e32 v6, 0x47
	s_and_saveexec_b64 s[22:23], vcc
	s_cbranch_execz .LBB0_166
; %bb.165:                              ;   in Loop: Header=BB0_14 Depth=1
	v_add_u32_e32 v14, v72, v103
	ds_read2st64_b32 v[8:9], v14 offset1:9
	v_add_u32_e32 v16, 0, v103
	v_readlane_b32 s12, v159, 43
	v_add_u32_e32 v12, 0x80, v16
	s_waitcnt lgkmcnt(0)
	v_cvt_f32_f16_e32 v10, v8
	v_mul_lo_u32 v22, s12, v7
	ds_read2_b32 v[6:7], v16 offset0:32 offset1:33
	v_cvt_f32_f16_sdwa v11, v8 dst_sel:DWORD dst_unused:UNUSED_PAD src0_sel:WORD_1
	ds_read2st64_b32 v[12:13], v12 offset0:9 offset1:18
	ds_read2st64_b32 v[14:15], v14 offset0:18 offset1:27
	ds_read_b32 v8, v16 offset:7040
	v_cvt_f32_f16_e32 v16, v9
	v_cvt_f32_f16_sdwa v17, v9 dst_sel:DWORD dst_unused:UNUSED_PAD src0_sel:WORD_1
	s_waitcnt lgkmcnt(3)
	v_pk_fma_f32 v[10:11], v[6:7], v[10:11], 0 op_sel_hi:[0,1,0]
	s_waitcnt lgkmcnt(1)
	v_cvt_f32_f16_e32 v48, v14
	v_cvt_f32_f16_sdwa v49, v14 dst_sel:DWORD dst_unused:UNUSED_PAD src0_sel:WORD_1
	v_cvt_f32_f16_e32 v14, v15
	v_cvt_f32_f16_sdwa v15, v15 dst_sel:DWORD dst_unused:UNUSED_PAD src0_sel:WORD_1
	v_pk_fma_f32 v[10:11], v[12:13], v[16:17], v[10:11] op_sel_hi:[0,1,1]
	v_mov_b32_e32 v6, v13
	v_pk_fma_f32 v[10:11], v[6:7], v[48:49], v[10:11] op_sel_hi:[0,1,1]
	s_waitcnt lgkmcnt(0)
	v_pk_fma_f32 v[8:9], v[8:9], v[14:15], v[10:11] op_sel_hi:[0,1,1]
	v_div_scale_f32 v6, s[12:13], v7, v7, v9
	v_rcp_f32_e32 v12, v6
	v_or_b32_e32 v10, v22, v18
	v_ashrrev_i32_e32 v11, 31, v10
	v_lshl_add_u64 v[10:11], v[10:11], 3, s[2:3]
	v_fma_f32 v13, -v6, v12, 1.0
	v_fmac_f32_e32 v12, v13, v12
	v_div_scale_f32 v13, vcc, v9, v7, v9
	v_mul_f32_e32 v14, v13, v12
	v_fma_f32 v15, -v6, v14, v13
	v_fmac_f32_e32 v14, v15, v12
	v_fma_f32 v6, -v6, v14, v13
	v_div_scale_f32 v13, s[12:13], v7, v7, v8
	v_rcp_f32_e32 v15, v13
	v_div_fmas_f32 v6, v6, v12, v14
	v_div_fixup_f32 v9, v6, v7, v9
	v_fma_f32 v6, -v13, v15, 1.0
	v_fmac_f32_e32 v15, v6, v15
	v_div_scale_f32 v6, vcc, v8, v7, v8
	v_mul_f32_e32 v12, v6, v15
	v_fma_f32 v14, -v13, v12, v6
	v_fmac_f32_e32 v12, v14, v15
	v_fma_f32 v6, -v13, v12, v6
	v_div_fmas_f32 v6, v6, v15, v12
	v_div_fixup_f32 v8, v6, v7, v8
	v_mov_b32_e32 v6, 0
	global_store_dwordx2 v[10:11], v[8:9], off
.LBB0_166:                              ;   in Loop: Header=BB0_14 Depth=1
	s_or_b64 exec, exec, s[22:23]
	s_movk_i32 s12, 0x47
	v_cmp_gt_i32_e32 vcc, s12, v6
	s_mov_b64 s[22:23], -1
	s_and_saveexec_b64 s[24:25], vcc
; %bb.167:                              ;   in Loop: Header=BB0_14 Depth=1
	v_cmp_eq_u32_e32 vcc, 0, v6
	s_orn2_b64 s[22:23], vcc, exec
; %bb.168:                              ;   in Loop: Header=BB0_14 Depth=1
	s_or_b64 exec, exec, s[24:25]
	s_and_b64 exec, exec, s[22:23]
	s_cbranch_execz .LBB0_12
; %bb.169:                              ;   in Loop: Header=BB0_14 Depth=1
	v_add_u32_e32 v6, s19, v93
	v_cmp_gt_i32_e32 vcc, s52, v6
	s_and_b64 exec, exec, vcc
	s_cbranch_execz .LBB0_12
; %bb.170:                              ;   in Loop: Header=BB0_14 Depth=1
	v_add_u32_e32 v14, v72, v104
	ds_read2st64_b32 v[8:9], v14 offset1:9
	v_add_u32_e32 v16, 0, v104
	v_readlane_b32 s12, v159, 43
	v_add_u32_e32 v12, 0x80, v16
	s_waitcnt lgkmcnt(0)
	v_cvt_f32_f16_e32 v10, v8
	v_mul_lo_u32 v22, s12, v6
	ds_read2_b32 v[6:7], v16 offset0:32 offset1:33
	v_cvt_f32_f16_sdwa v11, v8 dst_sel:DWORD dst_unused:UNUSED_PAD src0_sel:WORD_1
	ds_read2st64_b32 v[12:13], v12 offset0:9 offset1:18
	ds_read2st64_b32 v[14:15], v14 offset0:18 offset1:27
	ds_read_b32 v8, v16 offset:7040
	v_cvt_f32_f16_e32 v16, v9
	v_cvt_f32_f16_sdwa v17, v9 dst_sel:DWORD dst_unused:UNUSED_PAD src0_sel:WORD_1
	s_waitcnt lgkmcnt(3)
	v_pk_fma_f32 v[10:11], v[6:7], v[10:11], 0 op_sel_hi:[0,1,0]
	s_waitcnt lgkmcnt(1)
	v_cvt_f32_f16_e32 v48, v14
	v_cvt_f32_f16_sdwa v49, v14 dst_sel:DWORD dst_unused:UNUSED_PAD src0_sel:WORD_1
	v_cvt_f32_f16_e32 v14, v15
	v_cvt_f32_f16_sdwa v15, v15 dst_sel:DWORD dst_unused:UNUSED_PAD src0_sel:WORD_1
	v_pk_fma_f32 v[10:11], v[12:13], v[16:17], v[10:11] op_sel_hi:[0,1,1]
	v_mov_b32_e32 v6, v13
	v_pk_fma_f32 v[10:11], v[6:7], v[48:49], v[10:11] op_sel_hi:[0,1,1]
	s_waitcnt lgkmcnt(0)
	v_pk_fma_f32 v[8:9], v[8:9], v[14:15], v[10:11] op_sel_hi:[0,1,1]
	v_div_scale_f32 v6, s[12:13], v7, v7, v9
	v_rcp_f32_e32 v12, v6
	v_or_b32_e32 v10, v22, v18
	v_ashrrev_i32_e32 v11, 31, v10
	v_lshl_add_u64 v[10:11], v[10:11], 3, s[2:3]
	v_fma_f32 v13, -v6, v12, 1.0
	v_fmac_f32_e32 v12, v13, v12
	v_div_scale_f32 v13, vcc, v9, v7, v9
	v_mul_f32_e32 v14, v13, v12
	v_fma_f32 v15, -v6, v14, v13
	v_fmac_f32_e32 v14, v15, v12
	v_fma_f32 v6, -v6, v14, v13
	v_div_scale_f32 v13, s[2:3], v7, v7, v8
	v_rcp_f32_e32 v15, v13
	v_div_fmas_f32 v6, v6, v12, v14
	v_div_fixup_f32 v9, v6, v7, v9
	v_fma_f32 v6, -v13, v15, 1.0
	v_fmac_f32_e32 v15, v6, v15
	v_div_scale_f32 v6, vcc, v8, v7, v8
	v_mul_f32_e32 v12, v6, v15
	v_fma_f32 v14, -v13, v12, v6
	v_fmac_f32_e32 v12, v14, v15
	v_fma_f32 v6, -v13, v12, v6
	v_div_fmas_f32 v6, v6, v15, v12
	v_div_fixup_f32 v8, v6, v7, v8
	global_store_dwordx2 v[10:11], v[8:9], off
	s_branch .LBB0_12
.LBB0_171:
	v_readlane_b32 s12, v159, 24
	v_readlane_b32 s60, v159, 36
	;; [unrolled: 1-line block ×8, first 2 shown]
	s_andn2_b64 vcc, exec, s[2:3]
	s_cbranch_vccnz .LBB0_10
.LBB0_172:
	v_readlane_b32 s7, v159, 6
	s_abs_i32 s0, s7
	v_cvt_f32_u32_e32 v2, s0
	s_sub_i32 s3, 0, s0
	s_abs_i32 s2, s76
	s_xor_b32 s1, s76, s7
	v_rcp_iflag_f32_e32 v2, v2
	s_ashr_i32 s1, s1, 31
	v_readlane_b32 s8, v159, 5
	v_readlane_b32 s9, v159, 2
	v_mul_f32_e32 v2, 0x4f7ffffe, v2
	v_cvt_u32_f32_e32 v2, v2
	s_nop 0
	v_readfirstlane_b32 s4, v2
	s_mul_i32 s3, s3, s4
	s_mul_hi_u32 s3, s4, s3
	s_add_i32 s4, s4, s3
	s_mul_hi_u32 s3, s2, s4
	s_mul_i32 s4, s3, s0
	s_sub_i32 s2, s2, s4
	s_add_i32 s5, s3, 1
	s_sub_i32 s4, s2, s0
	s_cmp_ge_u32 s2, s0
	s_cselect_b32 s3, s5, s3
	s_cselect_b32 s2, s4, s2
	s_add_i32 s4, s3, 1
	s_cmp_ge_u32 s2, s0
	s_cselect_b32 s0, s4, s3
	s_abs_i32 s2, s8
	v_cvt_f32_u32_e32 v2, s2
	s_xor_b32 s0, s0, s1
	s_sub_i32 s3, 0, s2
	s_sub_i32 s6, s0, s1
	v_rcp_iflag_f32_e32 v2, v2
	s_mul_i32 s0, s6, s7
	s_sub_i32 s0, s76, s0
	s_abs_i32 s4, s0
	v_mul_f32_e32 v2, 0x4f7ffffe, v2
	v_cvt_u32_f32_e32 v2, v2
	s_xor_b32 s1, s0, s8
	s_ashr_i32 s1, s1, 31
	v_readfirstlane_b32 s5, v2
	s_mul_i32 s3, s3, s5
	s_mul_hi_u32 s3, s5, s3
	s_add_i32 s5, s5, s3
	s_mul_hi_u32 s3, s4, s5
	s_mul_i32 s5, s3, s2
	s_sub_i32 s4, s4, s5
	s_add_i32 s7, s3, 1
	s_sub_i32 s5, s4, s2
	s_cmp_ge_u32 s4, s2
	s_cselect_b32 s3, s7, s3
	s_cselect_b32 s4, s5, s4
	s_add_i32 s5, s3, 1
	s_cmp_ge_u32 s4, s2
	s_cselect_b32 s2, s5, s3
	s_abs_i32 s3, s9
	v_cvt_f32_u32_e32 v2, s3
	s_xor_b32 s2, s2, s1
	s_sub_i32 s4, 0, s3
	s_sub_i32 s7, s2, s1
	v_rcp_iflag_f32_e32 v2, v2
	s_mul_i32 s1, s7, s8
	s_sub_i32 s1, s0, s1
	s_abs_i32 s2, s1
	v_mul_f32_e32 v2, 0x4f7ffffe, v2
	v_cvt_u32_f32_e32 v2, v2
	s_xor_b32 s0, s1, s9
	s_ashr_i32 s0, s0, 31
	v_readfirstlane_b32 s5, v2
	s_mul_i32 s4, s4, s5
	s_mul_hi_u32 s4, s5, s4
	s_add_i32 s5, s5, s4
	s_mul_hi_u32 s4, s2, s5
	s_mul_i32 s5, s4, s3
	s_sub_i32 s2, s2, s5
	s_add_i32 s8, s4, 1
	s_sub_i32 s5, s2, s3
	s_cmp_ge_u32 s2, s3
	s_cselect_b32 s4, s8, s4
	s_cselect_b32 s2, s5, s2
	s_add_i32 s5, s4, 1
	s_cmp_ge_u32 s2, s3
	s_cselect_b32 s2, s5, s4
	s_xor_b32 s2, s2, s0
	s_sub_i32 s0, s2, s0
	s_mul_i32 s2, s0, s9
	s_sub_i32 s1, s1, s2
	s_abs_i32 s10, s1
	s_ashr_i32 s8, s6, 31
	s_mul_hi_u32 s9, s10, s78
	s_cmp_eq_u64 s[42:43], 0
	s_mov_b64 s[2:3], 0
	s_cbranch_scc1 .LBB0_174
; %bb.173:
	s_abs_i32 s2, s18
	v_cvt_f32_u32_e32 v2, s2
	s_sub_i32 s4, 0, s2
	s_abs_i32 s3, s6
	v_readlane_b32 s16, v159, 12
	v_rcp_iflag_f32_e32 v2, v2
	v_readlane_b32 s17, v159, 13
	v_mul_f32_e32 v2, 0x4f7ffffe, v2
	v_cvt_u32_f32_e32 v2, v2
	s_nop 0
	v_readfirstlane_b32 s5, v2
	s_mul_i32 s4, s4, s5
	s_mul_hi_u32 s4, s5, s4
	s_add_i32 s5, s5, s4
	s_mul_hi_u32 s4, s3, s5
	s_mul_i32 s4, s4, s2
	s_sub_i32 s3, s3, s4
	s_sub_i32 s4, s3, s2
	s_cmp_ge_u32 s3, s2
	s_cselect_b32 s3, s4, s3
	s_sub_i32 s4, s3, s2
	s_cmp_ge_u32 s3, s2
	s_cselect_b32 s2, s4, s3
	s_xor_b32 s2, s2, s8
	s_sub_i32 s2, s2, s8
	s_ashr_i32 s3, s2, 31
	s_mul_hi_u32 s4, s16, s2
	s_mul_i32 s3, s16, s3
	s_mul_i32 s5, s17, s2
	s_add_i32 s3, s4, s3
	s_add_i32 s3, s3, s5
	s_mul_i32 s2, s16, s2
	s_add_u32 s2, s42, s2
	s_addc_u32 s3, s43, s3
.LBB0_174:
	s_ashr_i32 s12, s1, 31
	v_readlane_b32 s1, v159, 1
	s_mul_i32 s11, s7, s1
	s_add_i32 s11, s11, s0
	v_cmp_le_f32_e64 s[0:1], s13, 0
	s_and_b64 vcc, exec, s[0:1]
	v_mov_b32_e32 v16, 1.0
	s_cbranch_vccnz .LBB0_176
; %bb.175:
	v_readlane_b32 s0, v159, 11
	v_mov_b32_e32 v3, s15
	v_mov_b32_e32 v4, s14
	;; [unrolled: 1-line block ×3, first 2 shown]
	v_sub_co_u32_e32 v2, vcc, s11, v2
	s_add_i32 s0, s11, 1
	v_lshlrev_b32_e32 v2, 1, v2
	v_cndmask_b32_e32 v3, v3, v4, vcc
	v_or_b32_e32 v2, 1, v2
	v_mov_b32_e32 v4, s0
	v_cndmask_b32_e32 v2, v2, v4, vcc
	v_cvt_f32_i32_e32 v2, v2
	v_cmp_neq_f32_e32 vcc, 1.0, v3
	s_mov_b32 s0, 0x3f2aaaab
	s_movk_i32 s4, 0x204
	v_cndmask_b32_e32 v20, 1.0, v2, vcc
	v_cmp_neq_f32_e32 vcc, 0, v20
	s_mov_b32 s1, 0x42b17218
	s_mov_b32 s5, 0x3fb8aa3b
	v_cndmask_b32_e32 v22, 1.0, v3, vcc
	v_frexp_mant_f32_e64 v2, |v22|
	v_cmp_gt_f32_e32 vcc, s0, v2
	s_mov_b32 s0, 0x3f317218
	s_brev_b32 s13, -2
	v_cndmask_b32_e64 v3, 1.0, 2.0, vcc
	v_mul_f32_e32 v2, v2, v3
	v_add_f32_e32 v5, 1.0, v2
	v_rcp_f32_e32 v10, v5
	v_add_f32_e32 v3, -1.0, v5
	v_sub_f32_e32 v7, v2, v3
	v_add_f32_e32 v3, -1.0, v2
	v_mul_f32_e32 v11, v3, v10
	v_mul_f32_e32 v4, v5, v11
	v_fma_f32 v6, v11, v5, -v4
	v_fmac_f32_e32 v6, v11, v7
	v_add_f32_e32 v2, v4, v6
	v_sub_f32_e32 v5, v3, v2
	v_pk_add_f32 v[8:9], v[2:3], v[4:5] neg_lo:[0,1] neg_hi:[0,1]
	v_mov_b32_e32 v7, v2
	v_pk_add_f32 v[2:3], v[8:9], v[6:7] neg_lo:[0,1] neg_hi:[0,1]
	v_mov_b32_e32 v6, 0x3e91f4c4
	v_add_f32_e32 v2, v2, v3
	v_add_f32_e32 v2, v5, v2
	v_mul_f32_e32 v3, v10, v2
	v_add_f32_e32 v2, v11, v3
	v_sub_f32_e32 v4, v2, v11
	v_sub_f32_e32 v12, v3, v4
	v_mul_f32_e32 v3, v2, v2
	v_fma_f32 v5, v2, v2, -v3
	v_add_f32_e32 v4, v12, v12
	v_fmac_f32_e32 v5, v2, v4
	v_add_f32_e32 v4, v3, v5
	v_fmac_f32_e32 v6, 0x3e76c4e1, v4
	v_fmaak_f32 v6, v4, v6, 0x3ecccdef
	v_sub_f32_e32 v3, v4, v3
	v_sub_f32_e32 v13, v5, v3
	v_mul_f32_e32 v3, v4, v6
	v_fma_f32 v5, v4, v6, -v3
	v_fmac_f32_e32 v5, v13, v6
	v_add_f32_e32 v6, v3, v5
	v_add_f32_e32 v7, 0x3f2aaaaa, v6
	v_sub_f32_e32 v3, v6, v3
	v_sub_f32_e32 v3, v5, v3
	v_add_f32_e32 v5, 0xbf2aaaaa, v7
	v_add_f32_e32 v3, 0x31739010, v3
	v_sub_f32_e32 v5, v6, v5
	v_pk_mul_f32 v[8:9], v[2:3], v[4:5]
	v_pk_add_f32 v[10:11], v[2:3], v[4:5]
	v_fma_f32 v6, v4, v2, -v8
	v_fmac_f32_e32 v6, v4, v12
	v_mov_b32_e32 v9, v11
	v_fmac_f32_e32 v6, v13, v2
	v_pk_add_f32 v[4:5], v[8:9], v[6:7]
	v_ldexp_f32 v14, v12, 1
	v_sub_f32_e32 v3, v4, v8
	v_sub_f32_e32 v3, v6, v3
	;; [unrolled: 1-line block ×3, first 2 shown]
	v_add_f32_e32 v9, v11, v6
	v_pk_mul_f32 v[6:7], v[4:5], v[4:5] op_sel:[0,1] op_sel_hi:[1,0]
	v_cvt_f64_f32_e64 v[10:11], |v22|
	v_frexp_exp_i32_f64_e32 v7, v[10:11]
	v_subbrev_co_u32_e32 v7, vcc, 0, v7, vcc
	v_cvt_f32_i32_e32 v7, v7
	v_fma_f32 v8, v4, v5, -v6
	v_fmac_f32_e32 v8, v4, v9
	v_fmac_f32_e32 v8, v3, v5
	v_mul_f32_e32 v4, 0x3f317218, v7
	v_fma_f32 v3, v7, s0, -v4
	v_fmamk_f32 v10, v7, 0xb102e308, v3
	v_ldexp_f32 v11, v2, 1
	v_add_f32_e32 v5, v6, v8
	v_pk_add_f32 v[2:3], v[4:5], v[10:11]
	v_mov_b32_e32 v12, v5
	v_mov_b32_e32 v13, v3
	;; [unrolled: 1-line block ×3, first 2 shown]
	v_pk_add_f32 v[6:7], v[12:13], v[6:7] neg_lo:[0,1] neg_hi:[0,1]
	v_mov_b32_e32 v9, v5
	v_pk_add_f32 v[6:7], v[8:9], v[6:7] neg_lo:[0,1] neg_hi:[0,1]
	v_mov_b32_e32 v11, v2
	v_add_f32_e32 v5, v14, v6
	v_add_f32_e32 v5, v5, v7
	v_pk_add_f32 v[6:7], v[2:3], v[4:5] neg_lo:[0,1] neg_hi:[0,1]
	v_pk_add_f32 v[8:9], v[2:3], v[4:5]
	v_mov_b32_e32 v16, v3
	v_mov_b32_e32 v7, v9
	v_pk_add_f32 v[12:13], v[10:11], v[6:7] neg_lo:[0,1] neg_hi:[0,1]
	v_pk_add_f32 v[6:7], v[10:11], v[6:7]
	v_mov_b32_e32 v4, v5
	v_pk_add_f32 v[10:11], v[6:7], v[2:3] op_sel:[1,0] op_sel_hi:[0,1] neg_lo:[0,1] neg_hi:[0,1]
	v_pk_add_f32 v[14:15], v[8:9], v[10:11] op_sel_hi:[1,0] neg_lo:[0,1] neg_hi:[0,1]
	v_mov_b32_e32 v8, v9
	v_mov_b32_e32 v9, v7
	;; [unrolled: 1-line block ×3, first 2 shown]
	v_pk_add_f32 v[8:9], v[8:9], v[16:17] neg_lo:[0,1] neg_hi:[0,1]
	v_mov_b32_e32 v5, v2
	v_pk_add_f32 v[2:3], v[4:5], v[8:9] neg_lo:[0,1] neg_hi:[0,1]
	v_mov_b32_e32 v14, v12
	v_pk_add_f32 v[4:5], v[14:15], v[2:3]
	v_mov_b32_e32 v13, v7
	v_pk_add_f32 v[8:9], v[4:5], v[4:5] op_sel:[0,1] op_sel_hi:[1,0]
	s_mov_b32 s0, 0x7f800000
	v_pk_add_f32 v[6:7], v[6:7], v[8:9] op_sel:[1,0] op_sel_hi:[0,1]
	v_mov_b32_e32 v5, v6
	v_pk_add_f32 v[10:11], v[4:5], v[12:13] neg_lo:[0,1] neg_hi:[0,1]
	v_mov_b32_e32 v3, v8
	v_sub_f32_e32 v4, v4, v10
	v_pk_add_f32 v[2:3], v[2:3], v[10:11] neg_lo:[0,1] neg_hi:[0,1]
	v_sub_f32_e32 v4, v12, v4
	v_add_f32_e32 v2, v2, v4
	v_add_f32_e32 v2, v2, v3
	;; [unrolled: 1-line block ×3, first 2 shown]
	v_sub_f32_e32 v4, v3, v6
	v_sub_f32_e32 v2, v2, v4
	v_mul_f32_e32 v4, v20, v3
	v_fma_f32 v3, v20, v3, -v4
	v_fmac_f32_e32 v3, v20, v2
	v_add_f32_e32 v2, v4, v3
	v_cmp_class_f32_e64 vcc, v4, s4
	v_sub_f32_e32 v5, v2, v4
	v_sub_f32_e32 v3, v3, v5
	v_cndmask_b32_e32 v2, v2, v4, vcc
	v_mov_b32_e32 v4, 0x37000000
	v_cmp_eq_f32_e32 vcc, s1, v2
	v_cmp_class_f32_e64 s[14:15], v22, s4
	s_nop 0
	v_cndmask_b32_e32 v4, 0, v4, vcc
	v_sub_f32_e32 v5, v2, v4
	v_mul_f32_e32 v6, 0x3fb8aa3b, v5
	v_fma_f32 v7, v5, s5, -v6
	v_rndne_f32_e32 v8, v6
	v_fmamk_f32 v7, v5, 0x32a5705f, v7
	v_sub_f32_e32 v6, v6, v8
	v_add_f32_e32 v6, v6, v7
	v_exp_f32_e32 v6, v6
	v_cvt_i32_f32_e32 v7, v8
	v_cmp_neq_f32_e64 vcc, |v2|, s0
	s_mov_b32 s0, 0xc2ce8ed0
	s_nop 0
	v_cndmask_b32_e32 v2, 0, v3, vcc
	v_ldexp_f32 v3, v6, v7
	v_cmp_ngt_f32_e32 vcc, s0, v5
	v_add_f32_e32 v2, v4, v2
	v_mov_b32_e32 v4, 0x7f800000
	v_cndmask_b32_e32 v3, 0, v3, vcc
	v_cmp_nlt_f32_e32 vcc, s1, v5
	v_mov_b32_e32 v5, 0x7fc00000
	s_nop 0
	v_cndmask_b32_e32 v3, v4, v3, vcc
	v_fma_f32 v2, v3, v2, v3
	v_cmp_class_f32_e64 vcc, v3, s4
	v_cmp_gt_f32_e64 s[4:5], 0, v20
	s_nop 0
	v_cndmask_b32_e32 v2, v2, v3, vcc
	v_trunc_f32_e32 v3, v20
	v_cmp_eq_f32_e32 vcc, v3, v20
	v_mul_f32_e32 v3, 0.5, v20
	v_trunc_f32_e32 v6, v3
	v_cmp_neq_f32_e64 s[0:1], v6, v3
	s_and_b64 s[0:1], vcc, s[0:1]
	s_nop 0
	v_cndmask_b32_e64 v3, 1.0, v22, s[0:1]
	v_bfi_b32 v2, s13, v2, v3
	v_cndmask_b32_e32 v3, v5, v2, vcc
	v_cmp_gt_f32_e32 vcc, 0, v22
	s_nop 1
	v_cndmask_b32_e32 v2, v2, v3, vcc
	v_cmp_eq_f32_e32 vcc, 0, v22
	s_xor_b64 s[4:5], s[4:5], vcc
	v_cndmask_b32_e64 v3, v4, 0, s[4:5]
	v_cndmask_b32_e64 v4, 0, v22, s[0:1]
	v_bfi_b32 v3, s13, v3, v4
	s_or_b64 vcc, vcc, s[14:15]
	v_cndmask_b32_e32 v2, v2, v3, vcc
	v_cmp_o_f32_e32 vcc, v22, v22
	s_nop 1
	v_cndmask_b32_e32 v16, v5, v2, vcc
.LBB0_176:
	s_mul_i32 s1, s9, s83
	v_readlane_b32 s0, v159, 17
	s_sub_i32 s1, s10, s1
	s_xor_b32 s0, s12, s0
	s_add_i32 s4, s9, 1
	s_sub_i32 s5, s1, s83
	s_cmp_ge_u32 s1, s83
	s_cselect_b32 s4, s4, s9
	s_cselect_b32 s1, s5, s1
	s_add_i32 s5, s4, 1
	s_cmp_ge_u32 s1, s83
	s_cselect_b32 s1, s5, s4
	s_xor_b32 s1, s1, s0
	s_sub_i32 s4, s1, s0
	s_cmp_eq_u64 s[46:47], 0
	v_mov_b32_e32 v8, s61
	s_cbranch_scc1 .LBB0_178
; %bb.177:
	v_readlane_b32 s0, v159, 0
	s_mul_i32 s0, s6, s0
	s_add_i32 s0, s4, s0
	s_ashr_i32 s1, s0, 31
	s_lshl_b64 s[0:1], s[0:1], 2
	s_add_u32 s0, s46, s0
	s_addc_u32 s1, s47, s1
	v_mov_b32_e32 v2, 0
	global_load_dword v2, v2, s[0:1]
	s_waitcnt vmcnt(0)
	v_ashrrev_i32_e32 v3, 31, v2
	v_lshrrev_b32_e32 v3, 26, v3
	v_add_u32_e32 v2, v2, v3
	v_ashrrev_i32_e32 v2, 6, v2
	v_min_i32_e32 v8, s61, v2
.LBB0_178:
	v_readlane_b32 s12, v159, 7
	v_readlane_b32 s13, v159, 8
	s_mul_i32 s0, s6, s13
	s_ashr_i32 s1, s0, 31
	s_add_u32 s0, s36, s0
	s_mul_i32 s11, s11, s12
	s_addc_u32 s1, s37, s1
	s_ashr_i32 s5, s11, 31
	s_add_u32 s0, s0, s11
	s_addc_u32 s1, s1, s5
	s_lshl_b32 s28, s4, 4
	v_add_u32_e32 v3, s28, v1
	s_mov_b32 s9, 0x10001
	v_lshl_add_u32 v44, v18, 2, 0
	v_cmp_le_i32_e32 vcc, s52, v3
	s_and_saveexec_b64 s[4:5], vcc
	s_xor_b64 s[4:5], exec, s[4:5]
; %bb.179:
	s_movk_i32 s10, 0x90
	v_mad_u32_u24 v2, v1, s10, v44
	v_mov_b32_e32 v3, 0
	ds_write_b32 v2, v3
                                        ; implicit-def: $vgpr3
; %bb.180:
	s_or_saveexec_b64 s[4:5], s[4:5]
	v_mul_lo_u32 v2, v21, s9
	s_xor_b64 exec, exec, s[4:5]
	s_cbranch_execz .LBB0_182
; %bb.181:
	v_readlane_b32 s9, v159, 14
	s_nop 1
	v_mad_u64_u32 v[4:5], s[10:11], v3, s9, v[18:19]
	v_ashrrev_i32_e32 v5, 31, v4
	v_lshl_add_u64 v[4:5], v[4:5], 3, s[0:1]
	global_load_dwordx2 v[4:5], v[4:5], off
	s_movk_i32 s9, 0x90
	s_waitcnt vmcnt(0)
	v_cvt_pk_f16_f32 v3, v4, v5
	v_pk_mul_f16 v3, v3, v2
	v_mad_u32_u24 v4, v1, s9, v44
	ds_write_b32 v4, v3
.LBB0_182:
	s_or_b64 exec, exec, s[4:5]
	v_add_u32_e32 v1, 8, v1
	v_add_u32_e32 v3, s28, v1
	v_cmp_le_i32_e32 vcc, s52, v3
	s_and_saveexec_b64 s[4:5], vcc
	s_xor_b64 s[4:5], exec, s[4:5]
; %bb.183:
	s_movk_i32 s9, 0x90
	v_mad_u32_u24 v1, v1, s9, v44
	v_mov_b32_e32 v2, 0
	ds_write_b32 v1, v2
                                        ; implicit-def: $vgpr3
                                        ; implicit-def: $vgpr2
                                        ; implicit-def: $vgpr1
; %bb.184:
	s_or_saveexec_b64 s[4:5], s[4:5]
	v_and_b32_e32 v45, 0x3ff, v0
	s_xor_b64 exec, exec, s[4:5]
	s_cbranch_execz .LBB0_186
; %bb.185:
	v_readlane_b32 s9, v159, 14
	s_nop 1
	v_mad_u64_u32 v[4:5], s[10:11], v3, s9, v[18:19]
	v_ashrrev_i32_e32 v5, 31, v4
	v_lshl_add_u64 v[4:5], v[4:5], 3, s[0:1]
	global_load_dwordx2 v[4:5], v[4:5], off
	s_movk_i32 s0, 0x90
	v_mad_u32_u24 v1, v1, s0, v44
	s_waitcnt vmcnt(0)
	v_cvt_pk_f16_f32 v0, v4, v5
	v_pk_mul_f16 v0, v0, v2
	ds_write_b32 v1, v0
.LBB0_186:
	s_or_b64 exec, exec, s[4:5]
	s_mul_i32 s0, s74, s8
	s_mul_hi_u32 s1, s74, s6
	s_add_i32 s0, s1, s0
	s_mul_i32 s1, s75, s6
	s_add_i32 s0, s0, s1
	s_mul_i32 s1, s74, s6
	s_add_u32 s1, s40, s1
	s_mul_i32 s4, s7, s59
	s_addc_u32 s0, s41, s0
	s_ashr_i32 s5, s4, 31
	s_add_u32 s26, s1, s4
	s_addc_u32 s27, s0, s5
	s_mul_i32 s0, s56, s8
	s_mul_hi_u32 s1, s56, s6
	s_add_i32 s0, s1, s0
	s_mul_i32 s1, s57, s6
	v_readlane_b32 s4, v159, 15
	s_add_i32 s0, s0, s1
	s_mul_i32 s1, s56, s6
	v_readlane_b32 s5, v159, 16
	s_add_u32 s1, s38, s1
	s_mul_i32 s7, s7, s5
	s_addc_u32 s0, s39, s0
	s_ashr_i32 s4, s7, 31
	s_add_u32 s29, s1, s7
	v_lshrrev_b32_e32 v10, 3, v45
	s_addc_u32 s31, s0, s4
	v_and_b32_e32 v9, 0xff0, v70
	s_movk_i32 s4, 0x90
	v_and_b32_e32 v46, 15, v45
	v_and_b32_e32 v1, 0x7e, v10
	v_mad_u32_u24 v0, v9, s4, 0
	v_mul_u32_u24_e32 v60, 0x90, v46
	v_lshlrev_b32_e32 v47, 2, v1
	v_add3_u32 v0, v0, v60, v47
	s_waitcnt lgkmcnt(0)
	s_barrier
	ds_read2_b64 v[4:7], v0 offset1:4
	ds_read2_b64 v[0:3], v0 offset0:8 offset1:12
	v_add_u32_e32 v63, -1, v8
	v_cmp_ge_i32_e32 vcc, s30, v63
	s_mov_b32 s33, 0
	s_and_b64 vcc, exec, vcc
	v_or_b32_e32 v59, v9, v46
	v_lshlrev_b32_e32 v20, 1, v45
	v_lshl_add_u32 v54, v68, 3, v10
	v_lshlrev_b32_e32 v62, 2, v45
	v_lshrrev_b32_e32 v61, 2, v45
	v_lshlrev_b32_e32 v50, 1, v10
	v_lshlrev_b32_e32 v48, 1, v46
	s_waitcnt lgkmcnt(0)
	s_barrier
	s_cbranch_vccnz .LBB0_197
; %bb.187:
	v_mov_b32_e32 v23, 0
	v_mov_b32_e32 v21, v23
	v_mul_u32_u24_e32 v8, 0x90, v68
	v_lshl_add_u64 v[24:25], s[2:3], 0, v[20:21]
	v_add3_u32 v21, 0, v8, v20
	v_add_u32_e32 v8, s28, v68
	v_mul_hi_u32 v9, s66, v8
	v_add_u32_e32 v9, v8, v9
	v_lshrrev_b32_e32 v9, s67, v9
	v_mul_lo_u32 v9, v9, s52
	v_sub_u32_e32 v9, v8, v9
	v_mad_i64_i32 v[26:27], s[6:7], v9, s68, 0
	v_add_u32_e32 v9, 4, v8
	v_mul_hi_u32 v10, s66, v9
	v_add_u32_e32 v10, v9, v10
	v_lshrrev_b32_e32 v10, s67, v10
	v_mul_lo_u32 v10, v10, s52
	v_sub_u32_e32 v9, v9, v10
	v_mad_i64_i32 v[28:29], s[6:7], v9, s68, 0
	v_add_u32_e32 v9, 8, v8
	v_mul_hi_u32 v10, s66, v9
	v_add_u32_e32 v10, v9, v10
	v_lshrrev_b32_e32 v10, s67, v10
	v_mul_lo_u32 v10, v10, s52
	v_sub_u32_e32 v9, v9, v10
	v_add_u32_e32 v8, 12, v8
	v_mad_i64_i32 v[30:31], s[6:7], v9, s68, 0
	v_mul_hi_u32 v9, s66, v8
	v_add_u32_e32 v9, v8, v9
	v_lshrrev_b32_e32 v9, s67, v9
	v_mul_lo_u32 v9, v9, s52
	v_sub_u32_e32 v8, v8, v9
	v_mad_i64_i32 v[32:33], s[6:7], v8, s68, 0
	v_mbcnt_hi_u32_b32 v8, -1, v71
	v_and_b32_e32 v11, 64, v8
	v_add_u32_e32 v11, 64, v11
	v_xor_b32_e32 v12, 32, v8
	v_cmp_lt_i32_e32 vcc, v12, v11
	v_and_b32_e32 v9, 48, v69
	v_mad_u32_u24 v10, v9, s4, 0
	v_cndmask_b32_e32 v12, v8, v12, vcc
	v_lshlrev_b32_e32 v67, 2, v12
	v_xor_b32_e32 v12, 16, v8
	v_cmp_lt_i32_e32 vcc, v12, v11
	v_mul_u32_u24_e32 v11, 0x90, v54
	v_mul_u32_u24_e32 v13, 0x90, v59
	v_cndmask_b32_e32 v8, v8, v12, vcc
	v_lshlrev_b32_e32 v72, 2, v8
	v_and_b32_e32 v8, 28, v62
	v_lshlrev_b32_e32 v12, 2, v8
	v_add3_u32 v73, 0, v11, v12
	v_and_b32_e32 v11, 0xfc, v61
	v_add_u32_e32 v12, v11, v9
	v_add_u16_e32 v9, v11, v9
	v_lshrrev_b16_e32 v9, 1, v9
	v_lshlrev_b32_e32 v9, 2, v9
	v_mul_lo_u32 v34, s64, v54
	v_add3_u32 v9, 0, v13, v9
	v_cmp_gt_u32_e64 s[6:7], 64, v12
	v_cmp_gt_u32_e64 s[8:9], 63, v12
	v_cmp_gt_u32_e64 s[10:11], 62, v12
	v_cmp_gt_u32_e64 s[12:13], 61, v12
	v_mul_lo_u32 v38, s54, v54
	v_and_b32_e32 v11, 0xfc, v50
	v_or_b32_e32 v12, 2, v50
	v_or_b32_e32 v13, 3, v50
	s_mov_b64 s[18:19], src_private_base
	s_cmp_lg_u64 s[2:3], 0
	v_lshl_add_u32 v36, s64, 5, v34
	v_lshl_add_u32 v40, s54, 5, v38
	v_mul_u32_u24_e32 v11, 0x90, v11
	v_mul_u32_u24_e32 v12, 0x90, v12
	;; [unrolled: 1-line block ×3, first 2 shown]
	s_cselect_b64 s[20:21], -1, 0
	v_cmp_gt_u32_e64 s[0:1], 64, v45
	v_add_u32_e32 v64, 0x240, v21
	v_add_u32_e32 v65, 0x480, v21
	;; [unrolled: 1-line block ×3, first 2 shown]
	v_cmp_gt_u32_e64 s[16:17], 64, v54
	v_ashrrev_i32_e32 v35, 31, v34
	v_add_u32_e32 v74, 0x1200, v73
	v_cmp_gt_u32_e64 s[4:5], 32, v54
	v_ashrrev_i32_e32 v37, 31, v36
	v_add3_u32 v75, v10, v60, v47
	v_ashrrev_i32_e32 v39, 31, v38
	v_ashrrev_i32_e32 v41, 31, v40
	v_add3_u32 v76, v10, v11, v48
	v_add3_u32 v77, v10, v12, v48
	;; [unrolled: 1-line block ×3, first 2 shown]
	v_mov_b32_e32 v42, v16
	v_mov_b32_e32 v43, v16
	s_lshl_b32 s22, s30, 6
	v_mov_b32_e32 v83, 0xfeffffff
	v_lshlrev_b32_e32 v22, 2, v8
	v_add_u32_e32 v79, 0x2400, v9
	s_mov_b32 s18, 0x3fb8aa3b
	s_mov_b32 s34, 0xc2ce8ed0
	;; [unrolled: 1-line block ×5, first 2 shown]
	v_mov_b32_e32 v80, 0
	v_mov_b32_e32 v8, v23
	;; [unrolled: 1-line block ×15, first 2 shown]
.LBB0_188:                              ; =>This Inner Loop Header: Depth=1
	v_cndmask_b32_e64 v12, 0, 1, s[20:21]
	v_cmp_ne_u32_e64 s[14:15], 1, v12
	s_andn2_b64 vcc, exec, s[20:21]
	s_ashr_i32 s23, s22, 31
	s_cbranch_vccnz .LBB0_192
; %bb.189:                              ;   in Loop: Header=BB0_188 Depth=1
	v_mov_b32_e32 v12, 0
	v_mov_b32_e32 v13, 0
	;; [unrolled: 1-line block ×4, first 2 shown]
	s_and_saveexec_b64 s[24:25], s[0:1]
	s_cbranch_execz .LBB0_191
; %bb.190:                              ;   in Loop: Header=BB0_188 Depth=1
	v_lshl_add_u64 v[12:13], s[22:23], 1, v[24:25]
	v_lshl_add_u64 v[84:85], v[26:27], 1, v[12:13]
	;; [unrolled: 1-line block ×5, first 2 shown]
	global_load_ushort v12, v[84:85], off
	global_load_ushort v13, v[86:87], off
	;; [unrolled: 1-line block ×4, first 2 shown]
.LBB0_191:                              ;   in Loop: Header=BB0_188 Depth=1
	s_or_b64 exec, exec, s[24:25]
	s_waitcnt vmcnt(3)
	ds_write_b16 v21, v12 offset:9216
	s_waitcnt vmcnt(2)
	ds_write_b16 v64, v13 offset:9216
	;; [unrolled: 2-line block ×4, first 2 shown]
.LBB0_192:                              ;   in Loop: Header=BB0_188 Depth=1
	s_mul_hi_i32 s25, s22, s64
	s_mul_i32 s24, s22, s64
	s_lshl_b64 s[24:25], s[24:25], 2
	s_add_u32 s24, s29, s24
	s_addc_u32 s25, s31, s25
	v_lshl_add_u64 v[12:13], v[34:35], 2, s[24:25]
	v_lshl_add_u64 v[12:13], v[12:13], 0, v[22:23]
	v_mov_b32_e32 v17, s19
	v_cndmask_b32_e64 v13, v17, v13, s[16:17]
	v_cndmask_b32_e64 v12, v80, v12, s[16:17]
	scratch_store_dwordx4 off, v[8:11], off
	flat_load_dwordx4 v[12:15], v[12:13]
	v_lshl_add_u64 v[84:85], v[36:37], 2, s[24:25]
	v_lshl_add_u64 v[84:85], v[84:85], 0, v[22:23]
	v_cndmask_b32_e64 v85, v17, v85, s[4:5]
	v_cndmask_b32_e64 v84, v80, v84, s[4:5]
	s_and_b64 vcc, exec, s[14:15]
	s_waitcnt vmcnt(0) lgkmcnt(0)
	ds_write_b128 v73, v[12:15]
	flat_load_dwordx4 v[12:15], v[84:85]
	s_waitcnt vmcnt(0) lgkmcnt(0)
	ds_write_b128 v74, v[12:15]
	s_waitcnt lgkmcnt(0)
	s_barrier
	ds_read2_b64 v[12:15], v75 offset1:4
	s_waitcnt lgkmcnt(0)
	v_mfma_f32_16x16x16_f16 v[84:87], v[12:13], v[4:5], 0
	v_mfma_f32_16x16x16_f16 v[12:15], v[14:15], v[6:7], v[84:87]
	s_nop 6
	ds_read2_b64 v[84:87], v75 offset0:8 offset1:12
	s_waitcnt lgkmcnt(0)
	v_mfma_f32_16x16x16_f16 v[12:15], v[84:85], v[0:1], v[12:15]
	s_barrier
	v_mfma_f32_16x16x16_f16 v[12:15], v[86:87], v[2:3], v[12:15]
	s_cbranch_vccnz .LBB0_194
; %bb.193:                              ;   in Loop: Header=BB0_188 Depth=1
	ds_read2_b32 v[84:85], v79 offset1:1
	v_mov_b32_e32 v17, v16
	s_waitcnt lgkmcnt(0)
	v_cvt_f32_f16_e32 v86, v84
	v_cvt_f32_f16_e32 v88, v85
	v_cvt_f32_f16_sdwa v89, v85 dst_sel:DWORD dst_unused:UNUSED_PAD src0_sel:WORD_1
	v_cvt_f32_f16_sdwa v87, v84 dst_sel:DWORD dst_unused:UNUSED_PAD src0_sel:WORD_1
	v_pk_fma_f32 v[14:15], v[16:17], v[88:89], v[14:15]
	v_pk_fma_f32 v[12:13], v[42:43], v[86:87], v[12:13]
.LBB0_194:                              ;   in Loop: Header=BB0_188 Depth=1
	s_mul_hi_i32 s15, s22, s54
	s_mul_i32 s14, s22, s54
	s_lshl_b64 s[14:15], s[14:15], 2
	s_add_u32 s14, s26, s14
	s_addc_u32 s15, s27, s15
	v_lshl_add_u64 v[84:85], v[38:39], 2, s[14:15]
	v_lshl_add_u64 v[84:85], v[84:85], 0, v[22:23]
	v_mov_b32_e32 v17, s19
	v_cndmask_b32_e64 v85, v17, v85, s[16:17]
	v_cndmask_b32_e64 v84, v80, v84, s[16:17]
	scratch_store_dwordx4 off, v[8:11], off
	flat_load_dwordx4 v[84:87], v[84:85]
	v_add_f32_e32 v88, 0x40051340, v12
	v_max_f32_e32 v89, v83, v83
	v_max_f32_e32 v88, v89, v88
	v_cndmask_b32_e64 v88, v83, v88, s[6:7]
	v_add_f32_e32 v90, 0x40051340, v13
	v_max_f32_e32 v89, v88, v88
	v_max_f32_e32 v89, v89, v90
	v_cndmask_b32_e64 v88, v88, v89, s[8:9]
	;; [unrolled: 4-line block ×4, first 2 shown]
	ds_bpermute_b32 v92, v67, v90
	v_max_f32_e32 v90, v90, v90
	v_mov_b32_e32 v89, s33
	v_mov_b32_e32 v88, s33
	;; [unrolled: 1-line block ×3, first 2 shown]
	s_waitcnt lgkmcnt(0)
	v_max_f32_e32 v92, v92, v92
	v_max_f32_e32 v90, v90, v92
	ds_bpermute_b32 v94, v72, v90
	v_lshl_add_u64 v[92:93], v[40:41], 2, s[14:15]
	v_lshl_add_u64 v[92:93], v[92:93], 0, v[22:23]
	v_cndmask_b32_e64 v93, v17, v93, s[4:5]
	v_cndmask_b32_e64 v92, v80, v92, s[4:5]
	s_waitcnt lgkmcnt(0)
	v_max_f32_e32 v17, v94, v94
	v_max_f32_e32 v17, v90, v17
	v_sub_f32_e32 v90, v12, v17
	v_sub_f32_e32 v94, v13, v17
	;; [unrolled: 1-line block ×5, first 2 shown]
	v_mul_f32_e32 v83, 0x3fb8aa3b, v90
	v_mul_f32_e32 v98, 0x3fb8aa3b, v94
	v_fma_f32 v102, v90, s18, -v83
	v_rndne_f32_e32 v103, v83
	v_mul_f32_e32 v99, 0x3fb8aa3b, v95
	v_fma_f32 v104, v94, s18, -v98
	v_rndne_f32_e32 v105, v98
	v_fmac_f32_e32 v102, 0x32a5705f, v90
	v_sub_f32_e32 v83, v83, v103
	v_mul_f32_e32 v100, 0x3fb8aa3b, v96
	v_fma_f32 v106, v95, s18, -v99
	v_rndne_f32_e32 v107, v99
	v_fmac_f32_e32 v104, 0x32a5705f, v94
	v_add_f32_e32 v83, v83, v102
	v_mul_f32_e32 v101, 0x3fb8aa3b, v97
	v_fma_f32 v108, v96, s18, -v100
	v_rndne_f32_e32 v109, v100
	v_fmac_f32_e32 v106, 0x32a5705f, v95
	v_exp_f32_e32 v83, v83
	v_fma_f32 v110, v97, s18, -v101
	v_rndne_f32_e32 v111, v101
	v_fmac_f32_e32 v108, 0x32a5705f, v96
	v_fmac_f32_e32 v110, 0x32a5705f, v97
	v_cmp_ngt_f32_e32 vcc, s34, v90
	s_add_i32 s30, s30, 1
	s_add_i32 s22, s22, 64
	s_waitcnt vmcnt(0)
	ds_write_b128 v73, v[84:87]
	flat_load_dwordx4 v[12:15], v[92:93]
	v_sub_f32_e32 v85, v98, v105
	v_cvt_i32_f32_e32 v84, v103
	v_sub_f32_e32 v87, v99, v107
	v_add_f32_e32 v85, v85, v104
	v_cvt_i32_f32_e32 v86, v105
	v_sub_f32_e32 v93, v100, v109
	v_add_f32_e32 v87, v87, v106
	v_exp_f32_e32 v85, v85
	v_cvt_i32_f32_e32 v92, v107
	v_sub_f32_e32 v99, v101, v111
	v_add_f32_e32 v93, v93, v108
	v_exp_f32_e32 v87, v87
	v_cvt_i32_f32_e32 v98, v109
	v_add_f32_e32 v99, v99, v110
	v_exp_f32_e32 v93, v93
	v_cvt_i32_f32_e32 v100, v111
	v_exp_f32_e32 v99, v99
	v_ldexp_f32 v83, v83, v84
	v_ldexp_f32 v84, v85, v86
	v_cndmask_b32_e32 v83, 0, v83, vcc
	v_cmp_ngt_f32_e32 vcc, s34, v94
	v_ldexp_f32 v85, v87, v92
	v_ldexp_f32 v86, v93, v98
	v_cndmask_b32_e32 v84, 0, v84, vcc
	v_cmp_ngt_f32_e32 vcc, s34, v95
	v_ldexp_f32 v87, v99, v100
	s_waitcnt vmcnt(0) lgkmcnt(0)
	ds_write_b128 v74, v[12:15]
	v_cndmask_b32_e32 v85, 0, v85, vcc
	v_cmp_ngt_f32_e32 vcc, s34, v96
	s_waitcnt lgkmcnt(0)
	s_barrier
	v_cndmask_b32_e32 v86, 0, v86, vcc
	v_cmp_ngt_f32_e32 vcc, s34, v97
	s_nop 1
	v_cndmask_b32_e32 v87, 0, v87, vcc
	v_cmp_nlt_f32_e32 vcc, s35, v90
	s_nop 1
	v_cndmask_b32_e32 v83, v81, v83, vcc
	v_cmp_nlt_f32_e32 vcc, s35, v94
	;; [unrolled: 3-line block ×3, first 2 shown]
	v_cndmask_b32_e64 v84, 0, v83, s[6:7]
	v_cndmask_b32_e64 v83, v89, v90, s[8:9]
	v_cndmask_b32_e32 v85, v81, v85, vcc
	v_cmp_nlt_f32_e32 vcc, s35, v96
	v_cvt_pk_f16_f32 v100, v84, v83
	s_nop 0
	v_cndmask_b32_e32 v102, v81, v86, vcc
	v_cmp_nlt_f32_e32 vcc, s35, v97
	v_cndmask_b32_e64 v86, v88, v85, s[10:11]
	v_cndmask_b32_e64 v88, v91, v102, s[12:13]
	v_cndmask_b32_e32 v87, v81, v87, vcc
	v_cmp_le_f32_e32 vcc, s36, v97
	v_cvt_pk_f16_f32 v101, v86, v88
	s_nop 0
	v_cndmask_b32_e32 v103, 0, v87, vcc
	v_cvt_f16_f32_e32 v89, v103
	v_add_f32_e32 v87, v90, v84
	v_cndmask_b32_e64 v83, v84, v87, s[8:9]
	v_add_f32_e32 v84, v83, v85
	v_mul_u32_u24_e32 v96, 0x10001, v89
	v_pk_mul_f16 v58, v58, v96
	v_pk_mul_f16 v57, v57, v96
	;; [unrolled: 1-line block ×4, first 2 shown]
	v_cndmask_b32_e64 v83, v83, v84, s[10:11]
	v_cvt_f32_f16_e32 v84, v58
	v_cvt_f32_f16_sdwa v85, v58 dst_sel:DWORD dst_unused:UNUSED_PAD src0_sel:WORD_1
	v_cvt_f32_f16_e32 v86, v57
	v_cvt_f32_f16_sdwa v87, v57 dst_sel:DWORD dst_unused:UNUSED_PAD src0_sel:WORD_1
	;; [unrolled: 2-line block ×4, first 2 shown]
	ds_read_u16 v12, v76 offset:144
	ds_read_u16 v14, v76
	ds_read_u16 v55, v76 offset:32
	ds_read_u16 v56, v76 offset:176
	ds_read_u16 v57, v76 offset:64
	ds_read_u16 v58, v76 offset:208
	ds_read_u16 v97, v76 offset:240
	ds_read_u16 v98, v76 offset:96
	ds_read_u16 v13, v77
	ds_read_u16 v15, v77 offset:32
	ds_read_u16 v93, v78
	ds_read_u16 v95, v78 offset:32
	ds_read_u16 v99, v77 offset:64
	;; [unrolled: 1-line block ×5, first 2 shown]
	s_waitcnt lgkmcnt(5)
	v_perm_b32 v13, v93, v13, s37
	v_perm_b32 v12, v12, v14, s37
	s_waitcnt lgkmcnt(4)
	v_perm_b32 v15, v95, v15, s37
	v_perm_b32 v14, v56, v55, s37
	v_pk_mul_f16 v53, v53, v96
	v_pk_mul_f16 v52, v52, v96
	;; [unrolled: 1-line block ×3, first 2 shown]
	v_cvt_f32_f16_e32 v92, v53
	v_cvt_f32_f16_sdwa v93, v53 dst_sel:DWORD dst_unused:UNUSED_PAD src0_sel:WORD_1
	v_cvt_f32_f16_e32 v94, v52
	v_mfma_f32_16x16x16_f16 v[84:87], v[12:13], v[100:101], v[84:87]
	v_cvt_f32_f16_sdwa v95, v52 dst_sel:DWORD dst_unused:UNUSED_PAD src0_sel:WORD_1
	s_waitcnt lgkmcnt(2)
	v_perm_b32 v13, v104, v99, s37
	v_perm_b32 v12, v58, v57, s37
	v_mfma_f32_16x16x16_f16 v[88:91], v[14:15], v[100:101], v[88:91]
	v_pk_mul_f16 v14, v49, v96
	s_waitcnt lgkmcnt(0)
	v_perm_b32 v53, v105, v106, s37
	v_perm_b32 v52, v97, v98, s37
	v_cvt_f32_f16_e32 v96, v51
	v_cvt_f32_f16_sdwa v97, v51 dst_sel:DWORD dst_unused:UNUSED_PAD src0_sel:WORD_1
	v_cvt_f32_f16_e32 v98, v14
	v_cvt_f32_f16_sdwa v99, v14 dst_sel:DWORD dst_unused:UNUSED_PAD src0_sel:WORD_1
	v_mfma_f32_16x16x16_f16 v[92:95], v[12:13], v[100:101], v[92:95]
	v_add_f32_e32 v12, v83, v102
	v_cndmask_b32_e64 v14, v83, v12, s[12:13]
	v_cmp_lt_i32_e32 vcc, s30, v63
	v_mfma_f32_16x16x16_f16 v[96:99], v[52:53], v[100:101], v[96:99]
	v_fmac_f32_e32 v14, v82, v103
	v_cvt_pk_f16_f32 v58, v84, v85
	v_cvt_pk_f16_f32 v57, v86, v87
	;; [unrolled: 1-line block ×6, first 2 shown]
	s_nop 0
	v_cvt_pk_f16_f32 v51, v96, v97
	v_cvt_pk_f16_f32 v49, v98, v99
	s_barrier
	s_cbranch_vccz .LBB0_198
; %bb.195:                              ;   in Loop: Header=BB0_188 Depth=1
	v_mov_b32_e32 v82, v14
	v_mov_b32_e32 v83, v17
	s_branch .LBB0_188
.LBB0_196:
                                        ; implicit-def: $sgpr4_sgpr5
                                        ; kill: killed $sgpr4_sgpr5
	s_load_dwordx2 s[66:67], s[0:1], 0x5c
	s_branch .LBB0_7
.LBB0_197:
	v_mov_b32_e32 v17, 0xfeffffff
	v_mov_b32_e32 v14, 0
	;; [unrolled: 1-line block ×10, first 2 shown]
.LBB0_198:
	s_lshl_b32 s6, s30, 6
	v_readlane_b32 s0, v159, 3
	s_sub_i32 s10, s0, s6
	s_cmp_lg_u64 s[2:3], 0
	s_cselect_b64 s[8:9], -1, 0
	s_ashr_i32 s7, s6, 31
	s_cmp_eq_u64 s[2:3], 0
	v_readlane_b32 s1, v159, 4
	s_cbranch_scc1 .LBB0_208
; %bb.199:
	s_lshl_b64 s[0:1], s[6:7], 1
	s_add_u32 s0, s2, s0
	s_addc_u32 s1, s3, s1
	v_mov_b32_e32 v21, 0
	v_cmp_gt_i32_e32 vcc, s10, v45
	v_lshl_add_u64 v[8:9], s[0:1], 0, v[20:21]
	v_mov_b32_e32 v11, 0
	s_and_saveexec_b64 s[0:1], vcc
	s_cbranch_execz .LBB0_201
; %bb.200:
	v_add_u32_e32 v10, s28, v68
	v_mul_hi_u32 v11, s66, v10
	v_add_u32_e32 v11, v10, v11
	v_lshrrev_b32_e32 v11, s67, v11
	v_mul_lo_u32 v11, v11, s52
	v_sub_u32_e32 v10, v10, v11
	v_mad_i64_i32 v[10:11], s[2:3], v10, s68, 0
	v_lshl_add_u64 v[10:11], v[10:11], 1, v[8:9]
	global_load_ushort v11, v[10:11], off
.LBB0_201:
	s_or_b64 exec, exec, s[0:1]
	s_movk_i32 s0, 0x90
	v_mad_u32_u24 v10, v68, s0, 0
	v_lshl_add_u32 v12, v45, 1, v10
	s_waitcnt vmcnt(0)
	ds_write_b16 v12, v11 offset:9216
	s_and_saveexec_b64 s[0:1], vcc
	s_cbranch_execz .LBB0_203
; %bb.202:
	v_add3_u32 v11, v68, s28, 4
	v_mul_hi_u32 v12, s66, v11
	v_add_u32_e32 v12, v11, v12
	v_lshrrev_b32_e32 v12, s67, v12
	v_mul_lo_u32 v12, v12, s52
	v_sub_u32_e32 v11, v11, v12
	v_mad_i64_i32 v[12:13], s[2:3], v11, s68, 0
	v_lshl_add_u64 v[12:13], v[12:13], 1, v[8:9]
	global_load_ushort v21, v[12:13], off
.LBB0_203:
	s_or_b64 exec, exec, s[0:1]
	v_add_u32_e32 v11, 0x240, v10
	v_lshl_add_u32 v10, v45, 1, v11
	s_waitcnt vmcnt(0)
	ds_write_b16 v10, v21 offset:9216
	v_mov_b32_e32 v10, 0
	v_mov_b32_e32 v12, 0
	s_and_saveexec_b64 s[0:1], vcc
	s_cbranch_execz .LBB0_205
; %bb.204:
	v_add3_u32 v12, v68, s28, 8
	v_mul_hi_u32 v13, s66, v12
	v_add_u32_e32 v13, v12, v13
	v_lshrrev_b32_e32 v13, s67, v13
	v_mul_lo_u32 v13, v13, s52
	v_sub_u32_e32 v12, v12, v13
	v_mad_i64_i32 v[12:13], s[2:3], v12, s68, 0
	v_lshl_add_u64 v[12:13], v[12:13], 1, v[8:9]
	global_load_ushort v12, v[12:13], off
.LBB0_205:
	s_or_b64 exec, exec, s[0:1]
	v_add_u32_e32 v11, 0x240, v11
	v_lshl_add_u32 v11, v45, 1, v11
	s_waitcnt vmcnt(0)
	ds_write_b16 v11, v12 offset:9216
	s_and_saveexec_b64 s[0:1], vcc
	s_cbranch_execz .LBB0_207
; %bb.206:
	v_add3_u32 v10, v68, s28, 12
	v_mul_hi_u32 v12, s66, v10
	v_add_u32_e32 v12, v10, v12
	v_lshrrev_b32_e32 v12, s67, v12
	v_mul_lo_u32 v12, v12, s52
	v_sub_u32_e32 v10, v10, v12
	v_mad_i64_i32 v[12:13], s[2:3], v10, s68, 0
	v_lshl_add_u64 v[8:9], v[12:13], 1, v[8:9]
	global_load_ushort v10, v[8:9], off
.LBB0_207:
	s_or_b64 exec, exec, s[0:1]
	s_waitcnt vmcnt(0)
	ds_write_b16 v11, v10 offset:9792
.LBB0_208:
	s_mul_hi_i32 s3, s6, s64
	s_mul_i32 s2, s6, s64
	s_lshl_b64 s[2:3], s[2:3], 2
	s_add_u32 s2, s29, s2
	v_mul_lo_u32 v26, s64, v54
	s_addc_u32 s3, s31, s3
	v_and_b32_e32 v8, 28, v62
	v_ashrrev_i32_e32 v27, 31, v26
	s_mov_b64 s[0:1], src_private_base
	v_mov_b32_e32 v13, 0
	v_lshlrev_b32_e32 v12, 2, v8
	v_lshl_add_u64 v[8:9], v[26:27], 2, s[2:3]
	v_lshl_add_u64 v[8:9], v[8:9], 0, v[12:13]
	v_mov_b32_e32 v15, s1
	v_cmp_gt_i32_e64 s[4:5], s10, v54
	v_mov_b32_e32 v20, 0
	v_mov_b32_e32 v10, v13
	v_cndmask_b32_e64 v23, v15, v9, s[4:5]
	v_cndmask_b32_e64 v22, v20, v8, s[4:5]
	v_mov_b32_e32 v8, v13
	v_mov_b32_e32 v9, v13
	;; [unrolled: 1-line block ×3, first 2 shown]
	scratch_store_dwordx4 off, v[8:11], off
	flat_load_dwordx4 v[22:25], v[22:23]
	v_lshl_add_u32 v26, s64, 5, v26
	v_ashrrev_i32_e32 v27, 31, v26
	v_mul_u32_u24_e32 v21, 0x90, v54
	v_add_u32_e32 v28, 32, v54
	v_lshl_add_u64 v[26:27], v[26:27], 2, s[2:3]
	v_add3_u32 v21, 0, v21, v12
	v_lshl_add_u64 v[26:27], v[26:27], 0, v[12:13]
	v_cmp_gt_i32_e64 s[0:1], s10, v28
	s_movk_i32 s2, 0x90
	v_and_b32_e32 v30, 48, v69
	v_cndmask_b32_e64 v27, v15, v27, s[0:1]
	v_cndmask_b32_e64 v26, v20, v26, s[0:1]
	v_mad_u32_u24 v15, v30, s2, 0
	v_add3_u32 v31, v15, v60, v47
	s_andn2_b64 vcc, exec, s[8:9]
	s_waitcnt vmcnt(0) lgkmcnt(0)
	ds_write_b128 v21, v[22:25]
	flat_load_dwordx4 v[22:25], v[26:27]
	s_waitcnt vmcnt(0) lgkmcnt(0)
	ds_write_b128 v21, v[22:25] offset:4608
	s_waitcnt lgkmcnt(0)
	s_barrier
	ds_read2_b64 v[22:25], v31 offset1:4
	s_waitcnt lgkmcnt(0)
	v_mfma_f32_16x16x16_f16 v[26:29], v[22:23], v[4:5], 0
	v_and_b32_e32 v5, 0xfc, v61
	v_add_u32_e32 v4, 0x1200, v21
	v_add_u32_e32 v5, v5, v30
	v_mfma_f32_16x16x16_f16 v[22:25], v[24:25], v[6:7], v[26:29]
	s_nop 3
	ds_read2_b64 v[26:29], v31 offset0:8 offset1:12
	s_waitcnt lgkmcnt(0)
	v_mfma_f32_16x16x16_f16 v[22:25], v[26:27], v[0:1], v[22:25]
	s_barrier
	v_mfma_f32_16x16x16_f16 v[0:3], v[28:29], v[2:3], v[22:25]
	s_cbranch_vccnz .LBB0_210
; %bb.209:
	v_mad_u32_u24 v6, v59, s2, 0
	v_lshlrev_b32_e32 v7, 1, v5
	s_movk_i32 s2, 0x2400
	v_add3_u32 v6, v6, v7, s2
	ds_read2_b32 v[6:7], v6 offset1:1
	s_waitcnt lgkmcnt(0)
	v_cvt_f32_f16_e32 v22, v6
	v_cvt_f32_f16_e32 v24, v7
	v_cvt_f32_f16_sdwa v25, v7 dst_sel:DWORD dst_unused:UNUSED_PAD src0_sel:WORD_1
	v_cvt_f32_f16_sdwa v23, v6 dst_sel:DWORD dst_unused:UNUSED_PAD src0_sel:WORD_1
	v_pk_fma_f32 v[2:3], v[16:17], v[24:25], v[2:3] op_sel_hi:[0,1,1]
	v_pk_fma_f32 v[0:1], v[16:17], v[22:23], v[0:1] op_sel_hi:[0,1,1]
.LBB0_210:
	s_mul_hi_i32 s7, s6, s54
	s_mul_i32 s6, s6, s54
	s_lshl_b64 s[6:7], s[6:7], 2
	s_add_u32 s12, s26, s6
	v_mul_lo_u32 v22, s54, v54
	s_addc_u32 s13, s27, s7
	v_ashrrev_i32_e32 v23, 31, v22
	s_mov_b64 s[2:3], src_private_base
	v_lshl_add_u64 v[6:7], v[22:23], 2, s[12:13]
	v_lshl_add_u64 v[6:7], v[6:7], 0, v[12:13]
	v_mov_b32_e32 v16, s3
	v_cndmask_b32_e64 v7, v16, v7, s[4:5]
	v_cndmask_b32_e64 v6, v20, v6, s[4:5]
	scratch_store_dwordx4 off, v[8:11], off
	flat_load_dwordx4 v[6:9], v[6:7]
	v_cmp_gt_u32_e64 s[8:9], s10, v5
	v_add_f32_e32 v10, 0x40051340, v0
	v_max_f32_e32 v11, v17, v17
	v_max_f32_e32 v36, v11, v10
	v_or_b32_e32 v23, 1, v5
	v_or_b32_e32 v28, 2, v5
	;; [unrolled: 1-line block ×3, first 2 shown]
	v_cndmask_b32_e64 v5, v17, v36, s[8:9]
	v_add_f32_e32 v24, 0x40051340, v1
	v_lshl_add_u32 v26, s54, 5, v22
	v_max_f32_e32 v22, v5, v5
	v_max_f32_e32 v24, v22, v24
	v_cmp_gt_u32_e64 s[4:5], s10, v23
	v_add_f32_e32 v29, 0x40051340, v2
	v_mbcnt_hi_u32_b32 v32, -1, v71
	v_cndmask_b32_e64 v5, v5, v24, s[4:5]
	v_max_f32_e32 v23, v5, v5
	v_and_b32_e32 v37, 64, v32
	v_max_f32_e32 v23, v23, v29
	v_cmp_gt_u32_e64 s[6:7], s10, v28
	v_xor_b32_e32 v38, 32, v32
	v_add_u32_e32 v36, 64, v37
	v_cndmask_b32_e64 v5, v5, v23, s[6:7]
	v_add_f32_e32 v31, 0x40051340, v3
	v_cmp_lt_i32_e32 vcc, v38, v36
	v_max_f32_e32 v23, v5, v5
	v_max_f32_e32 v23, v23, v31
	v_cndmask_b32_e32 v37, v32, v38, vcc
	v_cmp_gt_u32_e32 vcc, s10, v30
	v_lshlrev_b32_e32 v22, 2, v37
	v_xor_b32_e32 v39, 16, v32
	v_cndmask_b32_e32 v5, v5, v23, vcc
	ds_bpermute_b32 v24, v22, v5
	v_cmp_lt_i32_e64 s[10:11], v39, v36
	v_max_f32_e32 v5, v5, v5
	v_and_b32_e32 v27, 0xfc, v50
	v_cndmask_b32_e64 v23, v32, v39, s[10:11]
	s_waitcnt lgkmcnt(0)
	v_max_f32_e32 v24, v24, v24
	v_lshlrev_b32_e32 v23, 2, v23
	v_max_f32_e32 v5, v5, v24
	ds_bpermute_b32 v24, v23, v5
	v_mul_u32_u24_e32 v40, 0x90, v27
	v_ashrrev_i32_e32 v27, 31, v26
	v_lshl_add_u64 v[26:27], v[26:27], 2, s[12:13]
	v_lshl_add_u64 v[12:13], v[26:27], 0, v[12:13]
	v_cndmask_b32_e64 v13, v16, v13, s[0:1]
	s_waitcnt lgkmcnt(0)
	v_max_f32_e32 v16, v24, v24
	v_cndmask_b32_e64 v12, v20, v12, s[0:1]
	v_max_f32_e32 v16, v5, v16
	v_sub_f32_e32 v5, v0, v16
	v_sub_f32_e32 v20, v1, v16
	;; [unrolled: 1-line block ×4, first 2 shown]
	s_mov_b32 s3, 0x3fb8aa3b
	v_mul_f32_e32 v27, 0x3fb8aa3b, v5
	v_mul_f32_e32 v28, 0x3fb8aa3b, v20
	v_sub_f32_e32 v17, v17, v16
	s_mov_b32 s14, 0xc2ce8ed0
	v_cmp_ngt_f32_e64 s[0:1], s14, v5
	s_mov_b32 s15, 0x42b17218
	v_mov_b32_e32 v33, 0x7f800000
	s_mov_b32 s16, 0xc1a00000
	s_mov_b32 s2, 0
	v_mov_b32_e32 v10, s2
	v_mov_b32_e32 v11, s2
	v_or_b32_e32 v34, 2, v50
	v_or_b32_e32 v35, 3, v50
	v_mul_u32_u24_e32 v34, 0x90, v34
	v_mul_u32_u24_e32 v35, 0x90, v35
	v_mov_b32_e32 v25, s2
	s_waitcnt vmcnt(0)
	ds_write_b128 v21, v[6:9]
	flat_load_dwordx4 v[0:3], v[12:13]
	v_fma_f32 v9, v5, s3, -v27
	v_rndne_f32_e32 v12, v27
	v_mul_f32_e32 v6, 0x3fb8aa3b, v24
	v_fma_f32 v13, v20, s3, -v28
	v_rndne_f32_e32 v21, v28
	v_fmac_f32_e32 v9, 0x32a5705f, v5
	v_sub_f32_e32 v27, v27, v12
	v_mul_f32_e32 v7, 0x3fb8aa3b, v26
	v_fma_f32 v29, v24, s3, -v6
	v_rndne_f32_e32 v30, v6
	v_fmac_f32_e32 v13, 0x32a5705f, v20
	v_sub_f32_e32 v28, v28, v21
	v_add_f32_e32 v9, v27, v9
	v_mul_f32_e32 v8, 0x3fb8aa3b, v17
	v_fma_f32 v31, v26, s3, -v7
	v_rndne_f32_e32 v32, v7
	v_cvt_i32_f32_e32 v12, v12
	v_fmac_f32_e32 v29, 0x32a5705f, v24
	v_sub_f32_e32 v6, v6, v30
	v_add_f32_e32 v13, v28, v13
	v_exp_f32_e32 v9, v9
	v_fma_f32 v36, v17, s3, -v8
	v_rndne_f32_e32 v37, v8
	v_cvt_i32_f32_e32 v21, v21
	v_fmac_f32_e32 v31, 0x32a5705f, v26
	v_sub_f32_e32 v7, v7, v32
	v_add_f32_e32 v6, v6, v29
	v_exp_f32_e32 v13, v13
	v_cvt_i32_f32_e32 v30, v30
	v_fmac_f32_e32 v36, 0x32a5705f, v17
	v_sub_f32_e32 v8, v8, v37
	v_add_f32_e32 v7, v7, v31
	v_exp_f32_e32 v6, v6
	v_cvt_i32_f32_e32 v32, v32
	v_add_f32_e32 v8, v8, v36
	v_exp_f32_e32 v7, v7
	v_cvt_i32_f32_e32 v37, v37
	v_exp_f32_e32 v8, v8
	v_ldexp_f32 v9, v9, v12
	v_ldexp_f32 v12, v13, v21
	v_cndmask_b32_e64 v9, 0, v9, s[0:1]
	v_cmp_ngt_f32_e64 s[0:1], s14, v20
	v_ldexp_f32 v6, v6, v30
	v_ldexp_f32 v7, v7, v32
	v_cndmask_b32_e64 v12, 0, v12, s[0:1]
	v_cmp_ngt_f32_e64 s[0:1], s14, v24
	v_ldexp_f32 v8, v8, v37
	s_waitcnt vmcnt(0) lgkmcnt(0)
	ds_write_b128 v4, v[0:3]
	v_cndmask_b32_e64 v6, 0, v6, s[0:1]
	v_cmp_ngt_f32_e64 s[0:1], s14, v26
	v_add3_u32 v1, v15, v34, v48
	s_waitcnt lgkmcnt(0)
	v_cndmask_b32_e64 v7, 0, v7, s[0:1]
	v_cmp_ngt_f32_e64 s[0:1], s14, v17
	s_barrier
	s_nop 0
	v_cndmask_b32_e64 v8, 0, v8, s[0:1]
	v_cmp_nlt_f32_e64 s[0:1], s15, v5
	v_add3_u32 v0, v15, v40, v48
	v_add3_u32 v2, v15, v35, v48
	v_cndmask_b32_e64 v5, v33, v9, s[0:1]
	v_cmp_nlt_f32_e64 s[0:1], s15, v20
	s_nop 1
	v_cndmask_b32_e64 v9, v33, v12, s[0:1]
	v_cmp_nlt_f32_e64 s[0:1], s15, v24
	s_nop 1
	v_cndmask_b32_e64 v12, v33, v6, s[0:1]
	v_cmp_nlt_f32_e64 s[0:1], s15, v26
	v_cndmask_b32_e64 v6, 0, v5, s[8:9]
	v_cndmask_b32_e64 v5, v11, v9, s[4:5]
	;; [unrolled: 1-line block ×3, first 2 shown]
	v_cmp_nlt_f32_e64 s[0:1], s15, v17
	v_add_f32_e32 v9, v9, v6
	v_cndmask_b32_e64 v9, v6, v9, s[4:5]
	v_cndmask_b32_e64 v13, v33, v8, s[0:1]
	v_cmp_le_f32_e64 s[0:1], s16, v17
	v_cndmask_b32_e64 v8, v10, v12, s[6:7]
	v_add_f32_e32 v11, v9, v12
	v_cndmask_b32_e64 v17, 0, v13, s[0:1]
	v_cvt_f16_f32_e32 v10, v17
	v_cndmask_b32_e64 v12, v9, v11, s[6:7]
	s_mov_b32 s0, 0x5040100
	v_cndmask_b32_e32 v20, v25, v7, vcc
	v_mul_u32_u24_e32 v24, 0x10001, v10
	ds_read_u16 v3, v1
	ds_read_u16 v4, v1 offset:32
	ds_read_u16 v10, v2
	ds_read_u16 v15, v2 offset:32
	ds_read_u16 v26, v1 offset:64
	;; [unrolled: 1-line block ×5, first 2 shown]
	v_add_f32_e32 v13, v12, v7
	v_pk_mul_f16 v7, v58, v24
	v_pk_mul_f16 v9, v57, v24
	s_waitcnt lgkmcnt(5)
	v_perm_b32 v11, v10, v3, s0
	ds_read_u16 v1, v0 offset:144
	ds_read_u16 v2, v0
	ds_read_u16 v30, v0 offset:32
	ds_read_u16 v31, v0 offset:176
	;; [unrolled: 1-line block ×6, first 2 shown]
	s_waitcnt lgkmcnt(6)
	v_perm_b32 v10, v1, v2, s0
	v_pk_mul_f16 v25, v56, v24
	v_cvt_f32_f16_e32 v0, v7
	v_cvt_f32_f16_sdwa v1, v7 dst_sel:DWORD dst_unused:UNUSED_PAD src0_sel:WORD_1
	v_cvt_f32_f16_e32 v2, v9
	v_cvt_f32_f16_sdwa v3, v9 dst_sel:DWORD dst_unused:UNUSED_PAD src0_sel:WORD_1
	v_pk_mul_f16 v7, v55, v24
	v_cvt_pk_f16_f32 v21, v8, v20
	v_perm_b32 v9, v15, v4, s0
	s_waitcnt lgkmcnt(4)
	v_perm_b32 v8, v31, v30, s0
	v_cvt_pk_f16_f32 v20, v6, v5
	v_cvt_f32_f16_e32 v4, v25
	v_cvt_f32_f16_sdwa v5, v25 dst_sel:DWORD dst_unused:UNUSED_PAD src0_sel:WORD_1
	v_cvt_f32_f16_e32 v6, v7
	v_cvt_f32_f16_sdwa v7, v7 dst_sel:DWORD dst_unused:UNUSED_PAD src0_sel:WORD_1
	v_mfma_f32_16x16x16_f16 v[0:3], v[10:11], v[20:21], v[0:3]
	v_cndmask_b32_e32 v30, v12, v13, vcc
	v_pk_mul_f16 v10, v53, v24
	v_pk_mul_f16 v11, v52, v24
	v_perm_b32 v13, v27, v26, s0
	s_waitcnt lgkmcnt(2)
	v_perm_b32 v12, v33, v32, s0
	v_mfma_f32_16x16x16_f16 v[4:7], v[8:9], v[20:21], v[4:7]
	v_cvt_f32_f16_e32 v8, v10
	v_cvt_f32_f16_sdwa v9, v10 dst_sel:DWORD dst_unused:UNUSED_PAD src0_sel:WORD_1
	v_cvt_f32_f16_e32 v10, v11
	v_cvt_f32_f16_sdwa v11, v11 dst_sel:DWORD dst_unused:UNUSED_PAD src0_sel:WORD_1
	v_fmac_f32_e32 v30, v14, v17
	ds_bpermute_b32 v17, v22, v30
	v_pk_mul_f16 v14, v51, v24
	v_pk_mul_f16 v15, v49, v24
	v_perm_b32 v25, v28, v29, s0
	s_waitcnt lgkmcnt(1)
	v_perm_b32 v24, v34, v35, s0
	v_mfma_f32_16x16x16_f16 v[8:11], v[12:13], v[20:21], v[8:11]
	v_cvt_f32_f16_e32 v12, v14
	v_cvt_f32_f16_sdwa v13, v14 dst_sel:DWORD dst_unused:UNUSED_PAD src0_sel:WORD_1
	v_cvt_f32_f16_e32 v14, v15
	v_cvt_f32_f16_sdwa v15, v15 dst_sel:DWORD dst_unused:UNUSED_PAD src0_sel:WORD_1
	s_waitcnt lgkmcnt(0)
	v_add_f32_e32 v17, v30, v17
	v_cmp_gt_u32_e64 s[0:1], 16, v45
	v_mfma_f32_16x16x16_f16 v[12:15], v[24:25], v[20:21], v[12:15]
	ds_bpermute_b32 v20, v23, v17
	s_waitcnt lgkmcnt(0)
	s_barrier
	s_and_saveexec_b64 s[2:3], s[0:1]
; %bb.211:
	v_add_f32_e32 v17, v17, v20
	v_or_b32_e32 v20, v69, v45
	s_movk_i32 s4, 0x90
	v_mad_u32_u24 v20, v20, s4, 0
	ds_write2_b32 v20, v16, v17 offset0:32 offset1:33
; %bb.212:
	s_or_b64 exec, exec, s[2:3]
	v_and_b32_e32 v16, 3, v68
	v_cmp_eq_u32_e32 vcc, 0, v16
	v_cmp_ne_u32_e64 s[4:5], 0, v16
	s_waitcnt lgkmcnt(0)
	s_barrier
	s_and_saveexec_b64 s[2:3], s[4:5]
	s_xor_b64 s[2:3], exec, s[2:3]
	s_cbranch_execz .LBB0_214
; %bb.213:
	s_barrier
                                        ; implicit-def: $vgpr45
                                        ; implicit-def: $vgpr22
                                        ; implicit-def: $vgpr23
                                        ; implicit-def: $vgpr70
.LBB0_214:
	s_andn2_saveexec_b64 s[2:3], s[2:3]
	s_cbranch_execz .LBB0_218
; %bb.215:
	v_add_u32_e32 v16, v69, v45
	s_movk_i32 s4, 0x90
	v_mad_u32_u24 v17, v16, s4, 0
	ds_read_b64 v[20:21], v17 offset:128
	s_mov_b32 s4, 0x3fb8aa3b
	s_mov_b32 s6, 0x42b17218
	;; [unrolled: 1-line block ×3, first 2 shown]
	s_waitcnt lgkmcnt(0)
	ds_bpermute_b32 v16, v22, v20
	v_max_f32_e32 v24, v20, v20
	s_barrier
	s_waitcnt lgkmcnt(0)
	v_max_f32_e32 v16, v16, v16
	v_max_f32_e32 v16, v24, v16
	ds_bpermute_b32 v24, v23, v16
	s_waitcnt lgkmcnt(0)
	v_max_f32_e32 v24, v24, v24
	v_max_f32_e32 v16, v16, v24
	v_sub_f32_e32 v20, v20, v16
	v_mul_f32_e32 v24, 0x3fb8aa3b, v20
	v_fma_f32 v25, v20, s4, -v24
	v_rndne_f32_e32 v26, v24
	v_fmamk_f32 v25, v20, 0x32a5705f, v25
	v_sub_f32_e32 v24, v24, v26
	v_add_f32_e32 v24, v24, v25
	v_cvt_i32_f32_e32 v26, v26
	v_exp_f32_e32 v24, v24
	s_mov_b32 s4, 0xc2ce8ed0
	v_cmp_ngt_f32_e64 s[4:5], s4, v20
	v_mov_b32_e32 v25, 0x7f800000
	v_ldexp_f32 v24, v24, v26
	v_cndmask_b32_e64 v24, 0, v24, s[4:5]
	v_cmp_nlt_f32_e64 s[4:5], s6, v20
	s_nop 1
	v_cndmask_b32_e64 v20, v25, v24, s[4:5]
	v_mul_f32_e32 v24, v21, v20
	ds_bpermute_b32 v22, v22, v24
	s_waitcnt lgkmcnt(0)
	v_fmac_f32_e32 v22, v21, v20
	ds_bpermute_b32 v21, v23, v22
	s_waitcnt lgkmcnt(0)
	v_add_f32_e32 v21, v22, v21
	ds_write_b64 v17, v[20:21] offset:128
	s_and_saveexec_b64 s[4:5], s[0:1]
	s_cbranch_execz .LBB0_217
; %bb.216:
	s_add_i32 s0, s62, s60
	s_lshl_b32 s6, s0, 4
	s_lshl_b64 s[0:1], s[6:7], 3
	s_add_u32 s0, s50, s0
	v_or_b32_e32 v17, v70, v45
	s_addc_u32 s1, s51, s1
	v_lshlrev_b32_e32 v20, 3, v17
	v_mov_b32_e32 v17, v21
	global_store_dwordx2 v20, v[16:17], s[0:1]
.LBB0_217:
	s_or_b64 exec, exec, s[4:5]
.LBB0_218:
	s_or_b64 exec, exec, s[2:3]
	v_cvt_pk_f16_f32 v2, v2, v3
	v_cvt_pk_f16_f32 v3, v4, v5
	;; [unrolled: 1-line block ×3, first 2 shown]
	v_or_b32_e32 v8, v69, v46
	v_mul_u32_u24_e32 v8, 0x90, v8
	v_cvt_pk_f16_f32 v0, v0, v1
	s_movk_i32 s4, 0x90
	s_mov_b32 s3, 0
	v_add3_u32 v8, 0, v8, v47
	v_cvt_pk_f16_f32 v1, v6, v7
	v_cvt_pk_f16_f32 v4, v10, v11
	;; [unrolled: 1-line block ×4, first 2 shown]
	ds_write2_b32 v8, v0, v2 offset1:1
	ds_write2_b32 v8, v3, v1 offset0:8 offset1:9
	ds_write2_b32 v8, v5, v4 offset0:16 offset1:17
	;; [unrolled: 1-line block ×3, first 2 shown]
	s_waitcnt lgkmcnt(0)
	s_barrier
	s_and_saveexec_b64 s[0:1], vcc
	s_cbranch_execz .LBB0_220
; %bb.219:
	s_lshl_b32 s2, s60, 9
	s_lshl_b64 s[6:7], s[2:3], 3
	s_add_u32 s5, s50, s6
	v_lshrrev_b32_e32 v0, 1, v68
	s_addc_u32 s6, s51, s7
	s_lshl_b32 s2, s62, 5
	s_lshl_b64 s[2:3], s[2:3], 3
	v_add_u32_e32 v12, v0, v19
	s_add_u32 s2, s5, s2
	v_lshlrev_b32_e32 v0, 2, v12
	v_and_b32_e32 v1, 15, v12
	s_movk_i32 s5, 0xfc0
	v_and_or_b32 v2, v0, s5, v1
	v_mad_u32_u24 v8, v2, s4, v44
	ds_read2st64_b32 v[0:1], v8 offset1:9
	v_mad_u32_u24 v2, v2, s4, 0
	v_add_u32_e32 v4, 0x80, v2
	ds_read2st64_b32 v[2:3], v4 offset1:9
	ds_read2st64_b32 v[4:5], v4 offset0:18 offset1:27
	ds_read2st64_b32 v[8:9], v8 offset0:18 offset1:27
	s_waitcnt lgkmcnt(3)
	v_cvt_f32_f16_e32 v6, v0
	v_cvt_f32_f16_sdwa v7, v0 dst_sel:DWORD dst_unused:UNUSED_PAD src0_sel:WORD_1
	v_cvt_f32_f16_e32 v0, v1
	v_cvt_f32_f16_sdwa v1, v1 dst_sel:DWORD dst_unused:UNUSED_PAD src0_sel:WORD_1
	s_waitcnt lgkmcnt(0)
	v_cvt_f32_f16_e32 v10, v8
	v_cvt_f32_f16_sdwa v11, v8 dst_sel:DWORD dst_unused:UNUSED_PAD src0_sel:WORD_1
	v_cvt_f32_f16_e32 v8, v9
	v_cvt_f32_f16_sdwa v9, v9 dst_sel:DWORD dst_unused:UNUSED_PAD src0_sel:WORD_1
	v_pk_fma_f32 v[6:7], v[2:3], v[6:7], 0 op_sel_hi:[0,1,0]
	v_mov_b32_e32 v2, v3
	v_pk_fma_f32 v[0:1], v[2:3], v[0:1], v[6:7] op_sel_hi:[0,1,1]
	v_pk_fma_f32 v[0:1], v[4:5], v[10:11], v[0:1] op_sel_hi:[0,1,1]
	v_mov_b32_e32 v2, v5
	v_add_u32_e32 v10, 2, v12
	v_pk_fma_f32 v[0:1], v[2:3], v[8:9], v[0:1] op_sel_hi:[0,1,1]
	v_lshlrev_b32_e32 v2, 2, v10
	v_and_b32_e32 v3, 15, v10
	s_movk_i32 s5, 0x1fc0
	v_lshlrev_b32_e32 v13, 3, v18
	v_and_or_b32 v4, v2, s5, v3
	s_addc_u32 s3, s6, s3
	v_lshl_or_b32 v14, v12, 8, v13
	v_mad_u32_u24 v8, v4, s4, v44
	ds_read2st64_b32 v[2:3], v8 offset1:9
	global_store_dwordx2 v14, v[0:1], s[2:3]
	v_mad_u32_u24 v0, v4, s4, 0
	v_add_u32_e32 v6, 0x80, v0
	ds_read2st64_b32 v[0:1], v6 offset1:9
	ds_read2st64_b32 v[6:7], v6 offset0:18 offset1:27
	ds_read2st64_b32 v[8:9], v8 offset0:18 offset1:27
	s_waitcnt lgkmcnt(3)
	v_cvt_f32_f16_e32 v4, v2
	v_cvt_f32_f16_sdwa v5, v2 dst_sel:DWORD dst_unused:UNUSED_PAD src0_sel:WORD_1
	v_cvt_f32_f16_e32 v2, v3
	v_cvt_f32_f16_sdwa v3, v3 dst_sel:DWORD dst_unused:UNUSED_PAD src0_sel:WORD_1
	v_lshl_or_b32 v14, v10, 8, v13
	s_waitcnt lgkmcnt(0)
	v_cvt_f32_f16_e32 v10, v8
	v_cvt_f32_f16_sdwa v11, v8 dst_sel:DWORD dst_unused:UNUSED_PAD src0_sel:WORD_1
	v_cvt_f32_f16_e32 v8, v9
	v_cvt_f32_f16_sdwa v9, v9 dst_sel:DWORD dst_unused:UNUSED_PAD src0_sel:WORD_1
	v_pk_fma_f32 v[4:5], v[0:1], v[4:5], 0 op_sel_hi:[0,1,0]
	v_mov_b32_e32 v0, v1
	v_pk_fma_f32 v[0:1], v[0:1], v[2:3], v[4:5] op_sel_hi:[0,1,1]
	v_pk_fma_f32 v[0:1], v[6:7], v[10:11], v[0:1] op_sel_hi:[0,1,1]
	v_mov_b32_e32 v2, v7
	v_add_u32_e32 v10, 4, v12
	v_pk_fma_f32 v[0:1], v[2:3], v[8:9], v[0:1] op_sel_hi:[0,1,1]
	v_lshlrev_b32_e32 v2, 2, v10
	v_and_b32_e32 v3, 15, v10
	v_and_or_b32 v4, v2, s5, v3
	v_mad_u32_u24 v8, v4, s4, v44
	ds_read2st64_b32 v[2:3], v8 offset1:9
	global_store_dwordx2 v14, v[0:1], s[2:3]
	v_mad_u32_u24 v0, v4, s4, 0
	v_add_u32_e32 v6, 0x80, v0
	ds_read2st64_b32 v[0:1], v6 offset1:9
	ds_read2st64_b32 v[6:7], v6 offset0:18 offset1:27
	ds_read2st64_b32 v[8:9], v8 offset0:18 offset1:27
	s_waitcnt lgkmcnt(3)
	v_cvt_f32_f16_e32 v4, v2
	v_cvt_f32_f16_sdwa v5, v2 dst_sel:DWORD dst_unused:UNUSED_PAD src0_sel:WORD_1
	v_cvt_f32_f16_e32 v2, v3
	v_cvt_f32_f16_sdwa v3, v3 dst_sel:DWORD dst_unused:UNUSED_PAD src0_sel:WORD_1
	v_lshl_or_b32 v14, v10, 8, v13
	s_waitcnt lgkmcnt(0)
	v_cvt_f32_f16_e32 v10, v8
	v_cvt_f32_f16_sdwa v11, v8 dst_sel:DWORD dst_unused:UNUSED_PAD src0_sel:WORD_1
	v_cvt_f32_f16_e32 v8, v9
	v_cvt_f32_f16_sdwa v9, v9 dst_sel:DWORD dst_unused:UNUSED_PAD src0_sel:WORD_1
	v_pk_fma_f32 v[4:5], v[0:1], v[4:5], 0 op_sel_hi:[0,1,0]
	v_mov_b32_e32 v0, v1
	v_pk_fma_f32 v[0:1], v[0:1], v[2:3], v[4:5] op_sel_hi:[0,1,1]
	v_pk_fma_f32 v[0:1], v[6:7], v[10:11], v[0:1] op_sel_hi:[0,1,1]
	v_mov_b32_e32 v2, v7
	v_add_u32_e32 v10, 6, v12
	v_pk_fma_f32 v[0:1], v[2:3], v[8:9], v[0:1] op_sel_hi:[0,1,1]
	v_lshlrev_b32_e32 v2, 2, v10
	v_and_b32_e32 v3, 15, v10
	v_and_or_b32 v4, v2, s5, v3
	;; [unrolled: 29-line block ×6, first 2 shown]
	v_mad_u32_u24 v8, v4, s4, v44
	ds_read2st64_b32 v[2:3], v8 offset1:9
	global_store_dwordx2 v14, v[0:1], s[2:3]
	v_mad_u32_u24 v0, v4, s4, 0
	v_add_u32_e32 v6, 0x80, v0
	ds_read2st64_b32 v[0:1], v6 offset1:9
	ds_read2st64_b32 v[6:7], v6 offset0:18 offset1:27
	ds_read2st64_b32 v[8:9], v8 offset0:18 offset1:27
	s_waitcnt lgkmcnt(3)
	v_cvt_f32_f16_e32 v4, v2
	v_cvt_f32_f16_sdwa v5, v2 dst_sel:DWORD dst_unused:UNUSED_PAD src0_sel:WORD_1
	v_cvt_f32_f16_e32 v2, v3
	v_cvt_f32_f16_sdwa v3, v3 dst_sel:DWORD dst_unused:UNUSED_PAD src0_sel:WORD_1
	v_lshl_or_b32 v12, v10, 8, v13
	s_waitcnt lgkmcnt(0)
	v_cvt_f32_f16_e32 v10, v8
	v_cvt_f32_f16_sdwa v11, v8 dst_sel:DWORD dst_unused:UNUSED_PAD src0_sel:WORD_1
	v_cvt_f32_f16_e32 v8, v9
	v_cvt_f32_f16_sdwa v9, v9 dst_sel:DWORD dst_unused:UNUSED_PAD src0_sel:WORD_1
	v_pk_fma_f32 v[4:5], v[0:1], v[4:5], 0 op_sel_hi:[0,1,0]
	v_mov_b32_e32 v0, v1
	v_pk_fma_f32 v[0:1], v[0:1], v[2:3], v[4:5] op_sel_hi:[0,1,1]
	v_pk_fma_f32 v[0:1], v[6:7], v[10:11], v[0:1] op_sel_hi:[0,1,1]
	v_mov_b32_e32 v2, v7
	v_pk_fma_f32 v[0:1], v[2:3], v[8:9], v[0:1] op_sel_hi:[0,1,1]
	global_store_dwordx2 v12, v[0:1], s[2:3]
.LBB0_220:
	s_or_b64 exec, exec, s[0:1]
	s_barrier
	s_endpgm
	.section	.rodata,"a",@progbits
	.p2align	6, 0x0
	.amdhsa_kernel _ZL18flash_attn_ext_f16ILi64ELi64ELi16ELi1ELb0ELb0EEvPKcS1_S1_S1_S1_PKiPfP15HIP_vector_typeIfLj2EEffffjfiS5_IjLj3EEiiiiiiiiiiiliiliiiiil
		.amdhsa_group_segment_fixed_size 0
		.amdhsa_private_segment_fixed_size 32
		.amdhsa_kernarg_size 464
		.amdhsa_user_sgpr_count 2
		.amdhsa_user_sgpr_dispatch_ptr 0
		.amdhsa_user_sgpr_queue_ptr 0
		.amdhsa_user_sgpr_kernarg_segment_ptr 1
		.amdhsa_user_sgpr_dispatch_id 0
		.amdhsa_user_sgpr_kernarg_preload_length 0
		.amdhsa_user_sgpr_kernarg_preload_offset 0
		.amdhsa_user_sgpr_private_segment_size 0
		.amdhsa_uses_dynamic_stack 0
		.amdhsa_enable_private_segment 1
		.amdhsa_system_sgpr_workgroup_id_x 1
		.amdhsa_system_sgpr_workgroup_id_y 0
		.amdhsa_system_sgpr_workgroup_id_z 0
		.amdhsa_system_sgpr_workgroup_info 0
		.amdhsa_system_vgpr_workitem_id 1
		.amdhsa_next_free_vgpr 160
		.amdhsa_next_free_sgpr 100
		.amdhsa_accum_offset 160
		.amdhsa_reserve_vcc 1
		.amdhsa_float_round_mode_32 0
		.amdhsa_float_round_mode_16_64 0
		.amdhsa_float_denorm_mode_32 3
		.amdhsa_float_denorm_mode_16_64 3
		.amdhsa_dx10_clamp 1
		.amdhsa_ieee_mode 1
		.amdhsa_fp16_overflow 0
		.amdhsa_tg_split 0
		.amdhsa_exception_fp_ieee_invalid_op 0
		.amdhsa_exception_fp_denorm_src 0
		.amdhsa_exception_fp_ieee_div_zero 0
		.amdhsa_exception_fp_ieee_overflow 0
		.amdhsa_exception_fp_ieee_underflow 0
		.amdhsa_exception_fp_ieee_inexact 0
		.amdhsa_exception_int_div_zero 0
	.end_amdhsa_kernel
	.section	.text._ZL18flash_attn_ext_f16ILi64ELi64ELi16ELi1ELb0ELb0EEvPKcS1_S1_S1_S1_PKiPfP15HIP_vector_typeIfLj2EEffffjfiS5_IjLj3EEiiiiiiiiiiiliiliiiiil,"axG",@progbits,_ZL18flash_attn_ext_f16ILi64ELi64ELi16ELi1ELb0ELb0EEvPKcS1_S1_S1_S1_PKiPfP15HIP_vector_typeIfLj2EEffffjfiS5_IjLj3EEiiiiiiiiiiiliiliiiiil,comdat
.Lfunc_end0:
	.size	_ZL18flash_attn_ext_f16ILi64ELi64ELi16ELi1ELb0ELb0EEvPKcS1_S1_S1_S1_PKiPfP15HIP_vector_typeIfLj2EEffffjfiS5_IjLj3EEiiiiiiiiiiiliiliiiiil, .Lfunc_end0-_ZL18flash_attn_ext_f16ILi64ELi64ELi16ELi1ELb0ELb0EEvPKcS1_S1_S1_S1_PKiPfP15HIP_vector_typeIfLj2EEffffjfiS5_IjLj3EEiiiiiiiiiiiliiliiiiil
                                        ; -- End function
	.set _ZL18flash_attn_ext_f16ILi64ELi64ELi16ELi1ELb0ELb0EEvPKcS1_S1_S1_S1_PKiPfP15HIP_vector_typeIfLj2EEffffjfiS5_IjLj3EEiiiiiiiiiiiliiliiiiil.num_vgpr, 160
	.set _ZL18flash_attn_ext_f16ILi64ELi64ELi16ELi1ELb0ELb0EEvPKcS1_S1_S1_S1_PKiPfP15HIP_vector_typeIfLj2EEffffjfiS5_IjLj3EEiiiiiiiiiiiliiliiiiil.num_agpr, 0
	.set _ZL18flash_attn_ext_f16ILi64ELi64ELi16ELi1ELb0ELb0EEvPKcS1_S1_S1_S1_PKiPfP15HIP_vector_typeIfLj2EEffffjfiS5_IjLj3EEiiiiiiiiiiiliiliiiiil.numbered_sgpr, 100
	.set _ZL18flash_attn_ext_f16ILi64ELi64ELi16ELi1ELb0ELb0EEvPKcS1_S1_S1_S1_PKiPfP15HIP_vector_typeIfLj2EEffffjfiS5_IjLj3EEiiiiiiiiiiiliiliiiiil.num_named_barrier, 0
	.set _ZL18flash_attn_ext_f16ILi64ELi64ELi16ELi1ELb0ELb0EEvPKcS1_S1_S1_S1_PKiPfP15HIP_vector_typeIfLj2EEffffjfiS5_IjLj3EEiiiiiiiiiiiliiliiiiil.private_seg_size, 32
	.set _ZL18flash_attn_ext_f16ILi64ELi64ELi16ELi1ELb0ELb0EEvPKcS1_S1_S1_S1_PKiPfP15HIP_vector_typeIfLj2EEffffjfiS5_IjLj3EEiiiiiiiiiiiliiliiiiil.uses_vcc, 1
	.set _ZL18flash_attn_ext_f16ILi64ELi64ELi16ELi1ELb0ELb0EEvPKcS1_S1_S1_S1_PKiPfP15HIP_vector_typeIfLj2EEffffjfiS5_IjLj3EEiiiiiiiiiiiliiliiiiil.uses_flat_scratch, 0
	.set _ZL18flash_attn_ext_f16ILi64ELi64ELi16ELi1ELb0ELb0EEvPKcS1_S1_S1_S1_PKiPfP15HIP_vector_typeIfLj2EEffffjfiS5_IjLj3EEiiiiiiiiiiiliiliiiiil.has_dyn_sized_stack, 0
	.set _ZL18flash_attn_ext_f16ILi64ELi64ELi16ELi1ELb0ELb0EEvPKcS1_S1_S1_S1_PKiPfP15HIP_vector_typeIfLj2EEffffjfiS5_IjLj3EEiiiiiiiiiiiliiliiiiil.has_recursion, 0
	.set _ZL18flash_attn_ext_f16ILi64ELi64ELi16ELi1ELb0ELb0EEvPKcS1_S1_S1_S1_PKiPfP15HIP_vector_typeIfLj2EEffffjfiS5_IjLj3EEiiiiiiiiiiiliiliiiiil.has_indirect_call, 0
	.section	.AMDGPU.csdata,"",@progbits
; Kernel info:
; codeLenInByte = 30920
; TotalNumSgprs: 106
; NumVgprs: 160
; NumAgprs: 0
; TotalNumVgprs: 160
; ScratchSize: 32
; MemoryBound: 0
; FloatMode: 240
; IeeeMode: 1
; LDSByteSize: 0 bytes/workgroup (compile time only)
; SGPRBlocks: 13
; VGPRBlocks: 19
; NumSGPRsForWavesPerEU: 106
; NumVGPRsForWavesPerEU: 160
; AccumOffset: 160
; Occupancy: 3
; WaveLimiterHint : 0
; COMPUTE_PGM_RSRC2:SCRATCH_EN: 1
; COMPUTE_PGM_RSRC2:USER_SGPR: 2
; COMPUTE_PGM_RSRC2:TRAP_HANDLER: 0
; COMPUTE_PGM_RSRC2:TGID_X_EN: 1
; COMPUTE_PGM_RSRC2:TGID_Y_EN: 0
; COMPUTE_PGM_RSRC2:TGID_Z_EN: 0
; COMPUTE_PGM_RSRC2:TIDIG_COMP_CNT: 1
; COMPUTE_PGM_RSRC3_GFX90A:ACCUM_OFFSET: 39
; COMPUTE_PGM_RSRC3_GFX90A:TG_SPLIT: 0
	.text
	.p2align	2                               ; -- Begin function __ockl_printf_append_string_n
	.type	__ockl_printf_append_string_n,@function
__ockl_printf_append_string_n:          ; @__ockl_printf_append_string_n
; %bb.0:
	s_waitcnt vmcnt(0) expcnt(0) lgkmcnt(0)
	s_getpc_b64 s[0:1]
	s_add_u32 s0, s0, __FUNCTION__._ZL18flash_attn_ext_f16ILi64ELi64ELi16ELi1ELb1ELb0EEvPKcS1_S1_S1_S1_PKiPfP15HIP_vector_typeIfLj2EEffffjfiS5_IjLj3EEiiiiiiiiiiiliiliiiiil@rel32@lo+4
	s_addc_u32 s1, s1, __FUNCTION__._ZL18flash_attn_ext_f16ILi64ELi64ELi16ELi1ELb1ELb0EEvPKcS1_S1_S1_S1_PKiPfP15HIP_vector_typeIfLj2EEffffjfiS5_IjLj3EEiiiiiiiiiiiliiliiiiil@rel32@hi+12
	v_mov_b32_e32 v2, v0
	s_mov_b64 s[2:3], 0
	s_cmp_lg_u64 s[0:1], 0
	v_mbcnt_lo_u32_b32 v3, -1, 0
	s_cbranch_scc0 .LBB1_87
; %bb.1:
	s_load_dwordx2 s[4:5], s[8:9], 0x50
	v_and_b32_e32 v0, -3, v2
	s_getpc_b64 s[0:1]
	s_add_u32 s0, s0, __FUNCTION__._ZL18flash_attn_ext_f16ILi64ELi64ELi16ELi1ELb1ELb0EEvPKcS1_S1_S1_S1_PKiPfP15HIP_vector_typeIfLj2EEffffjfiS5_IjLj3EEiiiiiiiiiiiliiliiiiil@rel32@lo+4
	s_addc_u32 s1, s1, __FUNCTION__._ZL18flash_attn_ext_f16ILi64ELi64ELi16ELi1ELb1ELb0EEvPKcS1_S1_S1_S1_PKiPfP15HIP_vector_typeIfLj2EEffffjfiS5_IjLj3EEiiiiiiiiiiiliiliiiiil@rel32@hi+12
	v_and_b32_e32 v30, 2, v2
	s_mov_b32 s16, 0
	v_mov_b32_e32 v33, 0
	v_mbcnt_hi_u32_b32 v34, -1, v3
	v_mov_b64_e32 v[36:37], s[0:1]
	s_movk_i32 s17, 0x1e0
	v_mov_b32_e32 v12, 2
	v_mov_b32_e32 v13, 1
	v_mov_b64_e32 v[6:7], v[0:1]
	s_branch .LBB1_3
.LBB1_2:                                ;   in Loop: Header=BB1_3 Depth=1
	s_or_b64 exec, exec, s[10:11]
	v_sub_co_u32_e32 v4, vcc, v4, v38
	v_lshl_add_u64 v[36:37], v[36:37], 0, v[38:39]
	s_nop 0
	v_subb_co_u32_e32 v5, vcc, v5, v39, vcc
	v_cmp_eq_u64_e32 vcc, 0, v[4:5]
	s_or_b64 s[2:3], vcc, s[2:3]
	s_andn2_b64 exec, exec, s[2:3]
	s_cbranch_execz .LBB1_85
.LBB1_3:                                ; =>This Loop Header: Depth=1
                                        ;     Child Loop BB1_6 Depth 2
                                        ;     Child Loop BB1_14 Depth 2
	;; [unrolled: 1-line block ×11, first 2 shown]
	v_cmp_gt_u64_e32 vcc, 56, v[4:5]
	v_lshl_add_u64 v[16:17], v[36:37], 0, 8
	s_nop 0
	v_cndmask_b32_e32 v39, 0, v5, vcc
	v_cndmask_b32_e32 v38, 56, v4, vcc
	v_cmp_gt_u64_e32 vcc, 8, v[4:5]
	s_and_saveexec_b64 s[0:1], vcc
	s_xor_b64 s[0:1], exec, s[0:1]
	s_cbranch_execz .LBB1_9
; %bb.4:                                ;   in Loop: Header=BB1_3 Depth=1
	v_mov_b64_e32 v[8:9], 0
	v_cmp_ne_u64_e32 vcc, 0, v[4:5]
	s_and_saveexec_b64 s[6:7], vcc
	s_cbranch_execz .LBB1_8
; %bb.5:                                ;   in Loop: Header=BB1_3 Depth=1
	v_lshlrev_b64 v[10:11], 3, v[38:39]
	s_mov_b64 s[10:11], 0
	v_mov_b64_e32 v[8:9], 0
	v_mov_b64_e32 v[14:15], v[36:37]
	s_mov_b64 s[12:13], 0
.LBB1_6:                                ;   Parent Loop BB1_3 Depth=1
                                        ; =>  This Inner Loop Header: Depth=2
	global_load_ubyte v0, v[14:15], off
	v_mov_b32_e32 v17, s16
	v_lshl_add_u64 v[14:15], v[14:15], 0, 1
	s_waitcnt vmcnt(0)
	v_and_b32_e32 v16, 0xffff, v0
	v_lshlrev_b64 v[16:17], s12, v[16:17]
	s_add_u32 s12, s12, 8
	s_addc_u32 s13, s13, 0
	v_cmp_eq_u32_e32 vcc, s12, v10
	v_or_b32_e32 v9, v17, v9
	s_or_b64 s[10:11], vcc, s[10:11]
	v_or_b32_e32 v8, v16, v8
	s_andn2_b64 exec, exec, s[10:11]
	s_cbranch_execnz .LBB1_6
; %bb.7:                                ;   in Loop: Header=BB1_3 Depth=1
	s_or_b64 exec, exec, s[10:11]
.LBB1_8:                                ;   in Loop: Header=BB1_3 Depth=1
	s_or_b64 exec, exec, s[6:7]
	v_mov_b64_e32 v[16:17], v[36:37]
.LBB1_9:                                ;   in Loop: Header=BB1_3 Depth=1
	s_or_saveexec_b64 s[0:1], s[0:1]
	v_mov_b32_e32 v0, 0
	s_xor_b64 exec, exec, s[0:1]
	s_cbranch_execz .LBB1_11
; %bb.10:                               ;   in Loop: Header=BB1_3 Depth=1
	global_load_dwordx2 v[8:9], v[36:37], off
	v_add_u32_e32 v0, -8, v38
.LBB1_11:                               ;   in Loop: Header=BB1_3 Depth=1
	s_or_b64 exec, exec, s[0:1]
	v_cmp_gt_u32_e32 vcc, 8, v0
	v_lshl_add_u64 v[10:11], v[16:17], 0, 8
                                        ; implicit-def: $vgpr14_vgpr15
	s_and_saveexec_b64 s[0:1], vcc
	s_xor_b64 s[0:1], exec, s[0:1]
	s_cbranch_execz .LBB1_17
; %bb.12:                               ;   in Loop: Header=BB1_3 Depth=1
	v_cmp_ne_u32_e32 vcc, 0, v0
	v_mov_b64_e32 v[14:15], 0
	s_and_saveexec_b64 s[6:7], vcc
	s_cbranch_execz .LBB1_16
; %bb.13:                               ;   in Loop: Header=BB1_3 Depth=1
	s_mov_b64 s[10:11], 0
	v_mov_b64_e32 v[14:15], 0
	s_mov_b64 s[12:13], 0
	s_mov_b64 s[14:15], 0
.LBB1_14:                               ;   Parent Loop BB1_3 Depth=1
                                        ; =>  This Inner Loop Header: Depth=2
	v_lshl_add_u64 v[10:11], v[16:17], 0, s[14:15]
	global_load_ubyte v10, v[10:11], off
	s_add_u32 s14, s14, 1
	v_mov_b32_e32 v11, s16
	s_addc_u32 s15, s15, 0
	v_cmp_eq_u32_e32 vcc, s14, v0
	s_waitcnt vmcnt(0)
	v_and_b32_e32 v10, 0xffff, v10
	v_lshlrev_b64 v[10:11], s12, v[10:11]
	s_add_u32 s12, s12, 8
	s_addc_u32 s13, s13, 0
	v_or_b32_e32 v15, v11, v15
	s_or_b64 s[10:11], vcc, s[10:11]
	v_or_b32_e32 v14, v10, v14
	s_andn2_b64 exec, exec, s[10:11]
	s_cbranch_execnz .LBB1_14
; %bb.15:                               ;   in Loop: Header=BB1_3 Depth=1
	s_or_b64 exec, exec, s[10:11]
.LBB1_16:                               ;   in Loop: Header=BB1_3 Depth=1
	s_or_b64 exec, exec, s[6:7]
	v_mov_b64_e32 v[10:11], v[16:17]
                                        ; implicit-def: $vgpr0
.LBB1_17:                               ;   in Loop: Header=BB1_3 Depth=1
	s_or_saveexec_b64 s[0:1], s[0:1]
	v_mov_b32_e32 v18, 0
	s_xor_b64 exec, exec, s[0:1]
	s_cbranch_execz .LBB1_19
; %bb.18:                               ;   in Loop: Header=BB1_3 Depth=1
	global_load_dwordx2 v[14:15], v[16:17], off
	v_add_u32_e32 v18, -8, v0
.LBB1_19:                               ;   in Loop: Header=BB1_3 Depth=1
	s_or_b64 exec, exec, s[0:1]
	v_cmp_gt_u32_e32 vcc, 8, v18
	v_lshl_add_u64 v[20:21], v[10:11], 0, 8
	s_and_saveexec_b64 s[0:1], vcc
	s_xor_b64 s[0:1], exec, s[0:1]
	s_cbranch_execz .LBB1_25
; %bb.20:                               ;   in Loop: Header=BB1_3 Depth=1
	v_cmp_ne_u32_e32 vcc, 0, v18
	v_mov_b64_e32 v[16:17], 0
	s_and_saveexec_b64 s[6:7], vcc
	s_cbranch_execz .LBB1_24
; %bb.21:                               ;   in Loop: Header=BB1_3 Depth=1
	s_mov_b64 s[10:11], 0
	v_mov_b64_e32 v[16:17], 0
	s_mov_b64 s[12:13], 0
	s_mov_b64 s[14:15], 0
.LBB1_22:                               ;   Parent Loop BB1_3 Depth=1
                                        ; =>  This Inner Loop Header: Depth=2
	v_lshl_add_u64 v[20:21], v[10:11], 0, s[14:15]
	global_load_ubyte v0, v[20:21], off
	s_add_u32 s14, s14, 1
	v_mov_b32_e32 v21, s16
	s_addc_u32 s15, s15, 0
	v_cmp_eq_u32_e32 vcc, s14, v18
	s_waitcnt vmcnt(0)
	v_and_b32_e32 v20, 0xffff, v0
	v_lshlrev_b64 v[20:21], s12, v[20:21]
	s_add_u32 s12, s12, 8
	s_addc_u32 s13, s13, 0
	v_or_b32_e32 v17, v21, v17
	s_or_b64 s[10:11], vcc, s[10:11]
	v_or_b32_e32 v16, v20, v16
	s_andn2_b64 exec, exec, s[10:11]
	s_cbranch_execnz .LBB1_22
; %bb.23:                               ;   in Loop: Header=BB1_3 Depth=1
	s_or_b64 exec, exec, s[10:11]
.LBB1_24:                               ;   in Loop: Header=BB1_3 Depth=1
	s_or_b64 exec, exec, s[6:7]
	v_mov_b64_e32 v[20:21], v[10:11]
                                        ; implicit-def: $vgpr18
.LBB1_25:                               ;   in Loop: Header=BB1_3 Depth=1
	s_or_saveexec_b64 s[0:1], s[0:1]
	v_mov_b32_e32 v0, 0
	s_xor_b64 exec, exec, s[0:1]
	s_cbranch_execz .LBB1_27
; %bb.26:                               ;   in Loop: Header=BB1_3 Depth=1
	global_load_dwordx2 v[16:17], v[10:11], off
	v_add_u32_e32 v0, -8, v18
.LBB1_27:                               ;   in Loop: Header=BB1_3 Depth=1
	s_or_b64 exec, exec, s[0:1]
	v_cmp_gt_u32_e32 vcc, 8, v0
	v_lshl_add_u64 v[10:11], v[20:21], 0, 8
                                        ; implicit-def: $vgpr18_vgpr19
	s_and_saveexec_b64 s[0:1], vcc
	s_xor_b64 s[0:1], exec, s[0:1]
	s_cbranch_execz .LBB1_33
; %bb.28:                               ;   in Loop: Header=BB1_3 Depth=1
	v_cmp_ne_u32_e32 vcc, 0, v0
	v_mov_b64_e32 v[18:19], 0
	s_and_saveexec_b64 s[6:7], vcc
	s_cbranch_execz .LBB1_32
; %bb.29:                               ;   in Loop: Header=BB1_3 Depth=1
	s_mov_b64 s[10:11], 0
	v_mov_b64_e32 v[18:19], 0
	s_mov_b64 s[12:13], 0
	s_mov_b64 s[14:15], 0
.LBB1_30:                               ;   Parent Loop BB1_3 Depth=1
                                        ; =>  This Inner Loop Header: Depth=2
	v_lshl_add_u64 v[10:11], v[20:21], 0, s[14:15]
	global_load_ubyte v10, v[10:11], off
	s_add_u32 s14, s14, 1
	v_mov_b32_e32 v11, s16
	s_addc_u32 s15, s15, 0
	v_cmp_eq_u32_e32 vcc, s14, v0
	s_waitcnt vmcnt(0)
	v_and_b32_e32 v10, 0xffff, v10
	v_lshlrev_b64 v[10:11], s12, v[10:11]
	s_add_u32 s12, s12, 8
	s_addc_u32 s13, s13, 0
	v_or_b32_e32 v19, v11, v19
	s_or_b64 s[10:11], vcc, s[10:11]
	v_or_b32_e32 v18, v10, v18
	s_andn2_b64 exec, exec, s[10:11]
	s_cbranch_execnz .LBB1_30
; %bb.31:                               ;   in Loop: Header=BB1_3 Depth=1
	s_or_b64 exec, exec, s[10:11]
.LBB1_32:                               ;   in Loop: Header=BB1_3 Depth=1
	s_or_b64 exec, exec, s[6:7]
	v_mov_b64_e32 v[10:11], v[20:21]
                                        ; implicit-def: $vgpr0
.LBB1_33:                               ;   in Loop: Header=BB1_3 Depth=1
	s_or_saveexec_b64 s[0:1], s[0:1]
	v_mov_b32_e32 v22, 0
	s_xor_b64 exec, exec, s[0:1]
	s_cbranch_execz .LBB1_35
; %bb.34:                               ;   in Loop: Header=BB1_3 Depth=1
	global_load_dwordx2 v[18:19], v[20:21], off
	v_add_u32_e32 v22, -8, v0
.LBB1_35:                               ;   in Loop: Header=BB1_3 Depth=1
	s_or_b64 exec, exec, s[0:1]
	v_cmp_gt_u32_e32 vcc, 8, v22
	v_lshl_add_u64 v[24:25], v[10:11], 0, 8
	s_and_saveexec_b64 s[0:1], vcc
	s_xor_b64 s[0:1], exec, s[0:1]
	s_cbranch_execz .LBB1_41
; %bb.36:                               ;   in Loop: Header=BB1_3 Depth=1
	v_cmp_ne_u32_e32 vcc, 0, v22
	v_mov_b64_e32 v[20:21], 0
	s_and_saveexec_b64 s[6:7], vcc
	s_cbranch_execz .LBB1_40
; %bb.37:                               ;   in Loop: Header=BB1_3 Depth=1
	s_mov_b64 s[10:11], 0
	v_mov_b64_e32 v[20:21], 0
	s_mov_b64 s[12:13], 0
	s_mov_b64 s[14:15], 0
.LBB1_38:                               ;   Parent Loop BB1_3 Depth=1
                                        ; =>  This Inner Loop Header: Depth=2
	v_lshl_add_u64 v[24:25], v[10:11], 0, s[14:15]
	global_load_ubyte v0, v[24:25], off
	s_add_u32 s14, s14, 1
	v_mov_b32_e32 v25, s16
	s_addc_u32 s15, s15, 0
	v_cmp_eq_u32_e32 vcc, s14, v22
	s_waitcnt vmcnt(0)
	v_and_b32_e32 v24, 0xffff, v0
	v_lshlrev_b64 v[24:25], s12, v[24:25]
	s_add_u32 s12, s12, 8
	s_addc_u32 s13, s13, 0
	v_or_b32_e32 v21, v25, v21
	s_or_b64 s[10:11], vcc, s[10:11]
	v_or_b32_e32 v20, v24, v20
	s_andn2_b64 exec, exec, s[10:11]
	s_cbranch_execnz .LBB1_38
; %bb.39:                               ;   in Loop: Header=BB1_3 Depth=1
	s_or_b64 exec, exec, s[10:11]
.LBB1_40:                               ;   in Loop: Header=BB1_3 Depth=1
	s_or_b64 exec, exec, s[6:7]
	v_mov_b64_e32 v[24:25], v[10:11]
                                        ; implicit-def: $vgpr22
.LBB1_41:                               ;   in Loop: Header=BB1_3 Depth=1
	s_or_saveexec_b64 s[0:1], s[0:1]
	v_mov_b32_e32 v0, 0
	s_xor_b64 exec, exec, s[0:1]
	s_cbranch_execz .LBB1_43
; %bb.42:                               ;   in Loop: Header=BB1_3 Depth=1
	global_load_dwordx2 v[20:21], v[10:11], off
	v_add_u32_e32 v0, -8, v22
.LBB1_43:                               ;   in Loop: Header=BB1_3 Depth=1
	s_or_b64 exec, exec, s[0:1]
	v_cmp_gt_u32_e32 vcc, 8, v0
	v_lshl_add_u64 v[10:11], v[24:25], 0, 8
                                        ; implicit-def: $vgpr22_vgpr23
	s_and_saveexec_b64 s[0:1], vcc
	s_xor_b64 s[0:1], exec, s[0:1]
	s_cbranch_execz .LBB1_49
; %bb.44:                               ;   in Loop: Header=BB1_3 Depth=1
	v_cmp_ne_u32_e32 vcc, 0, v0
	v_mov_b64_e32 v[22:23], 0
	s_and_saveexec_b64 s[6:7], vcc
	s_cbranch_execz .LBB1_48
; %bb.45:                               ;   in Loop: Header=BB1_3 Depth=1
	s_mov_b64 s[10:11], 0
	v_mov_b64_e32 v[22:23], 0
	s_mov_b64 s[12:13], 0
	s_mov_b64 s[14:15], 0
.LBB1_46:                               ;   Parent Loop BB1_3 Depth=1
                                        ; =>  This Inner Loop Header: Depth=2
	v_lshl_add_u64 v[10:11], v[24:25], 0, s[14:15]
	global_load_ubyte v10, v[10:11], off
	s_add_u32 s14, s14, 1
	v_mov_b32_e32 v11, s16
	s_addc_u32 s15, s15, 0
	v_cmp_eq_u32_e32 vcc, s14, v0
	s_waitcnt vmcnt(0)
	v_and_b32_e32 v10, 0xffff, v10
	v_lshlrev_b64 v[10:11], s12, v[10:11]
	s_add_u32 s12, s12, 8
	s_addc_u32 s13, s13, 0
	v_or_b32_e32 v23, v11, v23
	s_or_b64 s[10:11], vcc, s[10:11]
	v_or_b32_e32 v22, v10, v22
	s_andn2_b64 exec, exec, s[10:11]
	s_cbranch_execnz .LBB1_46
; %bb.47:                               ;   in Loop: Header=BB1_3 Depth=1
	s_or_b64 exec, exec, s[10:11]
.LBB1_48:                               ;   in Loop: Header=BB1_3 Depth=1
	s_or_b64 exec, exec, s[6:7]
	v_mov_b64_e32 v[10:11], v[24:25]
                                        ; implicit-def: $vgpr0
.LBB1_49:                               ;   in Loop: Header=BB1_3 Depth=1
	s_or_saveexec_b64 s[0:1], s[0:1]
	v_mov_b32_e32 v26, 0
	s_xor_b64 exec, exec, s[0:1]
	s_cbranch_execz .LBB1_51
; %bb.50:                               ;   in Loop: Header=BB1_3 Depth=1
	global_load_dwordx2 v[22:23], v[24:25], off
	v_add_u32_e32 v26, -8, v0
.LBB1_51:                               ;   in Loop: Header=BB1_3 Depth=1
	s_or_b64 exec, exec, s[0:1]
	v_cmp_gt_u32_e32 vcc, 8, v26
	s_and_saveexec_b64 s[0:1], vcc
	s_xor_b64 s[0:1], exec, s[0:1]
	s_cbranch_execz .LBB1_57
; %bb.52:                               ;   in Loop: Header=BB1_3 Depth=1
	v_cmp_ne_u32_e32 vcc, 0, v26
	v_mov_b64_e32 v[24:25], 0
	s_and_saveexec_b64 s[6:7], vcc
	s_cbranch_execz .LBB1_56
; %bb.53:                               ;   in Loop: Header=BB1_3 Depth=1
	s_mov_b64 s[10:11], 0
	v_mov_b64_e32 v[24:25], 0
	s_mov_b64 s[12:13], 0
.LBB1_54:                               ;   Parent Loop BB1_3 Depth=1
                                        ; =>  This Inner Loop Header: Depth=2
	global_load_ubyte v0, v[10:11], off
	v_mov_b32_e32 v29, s16
	v_add_u32_e32 v26, -1, v26
	v_cmp_eq_u32_e32 vcc, 0, v26
	v_lshl_add_u64 v[10:11], v[10:11], 0, 1
	s_waitcnt vmcnt(0)
	v_and_b32_e32 v28, 0xffff, v0
	v_lshlrev_b64 v[28:29], s12, v[28:29]
	s_add_u32 s12, s12, 8
	s_addc_u32 s13, s13, 0
	v_or_b32_e32 v25, v29, v25
	s_or_b64 s[10:11], vcc, s[10:11]
	v_or_b32_e32 v24, v28, v24
	s_andn2_b64 exec, exec, s[10:11]
	s_cbranch_execnz .LBB1_54
; %bb.55:                               ;   in Loop: Header=BB1_3 Depth=1
	s_or_b64 exec, exec, s[10:11]
.LBB1_56:                               ;   in Loop: Header=BB1_3 Depth=1
	s_or_b64 exec, exec, s[6:7]
                                        ; implicit-def: $vgpr10_vgpr11
.LBB1_57:                               ;   in Loop: Header=BB1_3 Depth=1
	s_andn2_saveexec_b64 s[0:1], s[0:1]
	s_cbranch_execz .LBB1_59
; %bb.58:                               ;   in Loop: Header=BB1_3 Depth=1
	global_load_dwordx2 v[24:25], v[10:11], off
.LBB1_59:                               ;   in Loop: Header=BB1_3 Depth=1
	s_or_b64 exec, exec, s[0:1]
	v_readfirstlane_b32 s0, v34
	v_mov_b64_e32 v[10:11], 0
	s_nop 0
	v_cmp_eq_u32_e64 s[0:1], s0, v34
	s_and_saveexec_b64 s[6:7], s[0:1]
	s_cbranch_execz .LBB1_65
; %bb.60:                               ;   in Loop: Header=BB1_3 Depth=1
	s_waitcnt lgkmcnt(0)
	global_load_dwordx2 v[28:29], v33, s[4:5] offset:24 sc0 sc1
	s_waitcnt vmcnt(0)
	buffer_inv sc0 sc1
	global_load_dwordx2 v[10:11], v33, s[4:5] offset:40
	global_load_dwordx2 v[26:27], v33, s[4:5]
	s_waitcnt vmcnt(1)
	v_and_b32_e32 v0, v10, v28
	v_and_b32_e32 v10, v11, v29
	v_mul_lo_u32 v10, v10, 24
	v_mul_hi_u32 v11, v0, 24
	v_add_u32_e32 v11, v11, v10
	v_mul_lo_u32 v10, v0, 24
	s_waitcnt vmcnt(0)
	v_lshl_add_u64 v[10:11], v[26:27], 0, v[10:11]
	global_load_dwordx2 v[26:27], v[10:11], off sc0 sc1
	s_waitcnt vmcnt(0)
	global_atomic_cmpswap_x2 v[10:11], v33, v[26:29], s[4:5] offset:24 sc0 sc1
	s_waitcnt vmcnt(0)
	buffer_inv sc0 sc1
	v_cmp_ne_u64_e32 vcc, v[10:11], v[28:29]
	s_and_saveexec_b64 s[10:11], vcc
	s_cbranch_execz .LBB1_64
; %bb.61:                               ;   in Loop: Header=BB1_3 Depth=1
	s_mov_b64 s[12:13], 0
.LBB1_62:                               ;   Parent Loop BB1_3 Depth=1
                                        ; =>  This Inner Loop Header: Depth=2
	s_sleep 1
	global_load_dwordx2 v[26:27], v33, s[4:5] offset:40
	global_load_dwordx2 v[48:49], v33, s[4:5]
	v_mov_b64_e32 v[28:29], v[10:11]
	s_waitcnt vmcnt(1)
	v_and_b32_e32 v0, v26, v28
	s_waitcnt vmcnt(0)
	v_mad_u64_u32 v[10:11], s[14:15], v0, 24, v[48:49]
	v_and_b32_e32 v27, v27, v29
	v_mov_b32_e32 v0, v11
	v_mad_u64_u32 v[26:27], s[14:15], v27, 24, v[0:1]
	v_mov_b32_e32 v11, v26
	global_load_dwordx2 v[26:27], v[10:11], off sc0 sc1
	s_waitcnt vmcnt(0)
	global_atomic_cmpswap_x2 v[10:11], v33, v[26:29], s[4:5] offset:24 sc0 sc1
	s_waitcnt vmcnt(0)
	buffer_inv sc0 sc1
	v_cmp_eq_u64_e32 vcc, v[10:11], v[28:29]
	s_or_b64 s[12:13], vcc, s[12:13]
	s_andn2_b64 exec, exec, s[12:13]
	s_cbranch_execnz .LBB1_62
; %bb.63:                               ;   in Loop: Header=BB1_3 Depth=1
	s_or_b64 exec, exec, s[12:13]
.LBB1_64:                               ;   in Loop: Header=BB1_3 Depth=1
	s_or_b64 exec, exec, s[10:11]
.LBB1_65:                               ;   in Loop: Header=BB1_3 Depth=1
	s_or_b64 exec, exec, s[6:7]
	s_waitcnt lgkmcnt(0)
	global_load_dwordx2 v[48:49], v33, s[4:5] offset:40
	global_load_dwordx4 v[26:29], v33, s[4:5]
	v_readfirstlane_b32 s7, v11
	v_readfirstlane_b32 s6, v10
	s_mov_b64 s[10:11], exec
	s_waitcnt vmcnt(1)
	v_readfirstlane_b32 s12, v48
	v_readfirstlane_b32 s13, v49
	s_and_b64 s[12:13], s[12:13], s[6:7]
	s_mul_i32 s14, s13, 24
	s_mul_hi_u32 s15, s12, 24
	s_add_i32 s15, s15, s14
	s_mul_i32 s14, s12, 24
	s_waitcnt vmcnt(0)
	v_lshl_add_u64 v[48:49], v[26:27], 0, s[14:15]
	s_and_saveexec_b64 s[14:15], s[0:1]
	s_cbranch_execz .LBB1_67
; %bb.66:                               ;   in Loop: Header=BB1_3 Depth=1
	v_mov_b64_e32 v[10:11], s[10:11]
	global_store_dwordx4 v[48:49], v[10:13], off offset:8
.LBB1_67:                               ;   in Loop: Header=BB1_3 Depth=1
	s_or_b64 exec, exec, s[14:15]
	v_cmp_gt_u64_e32 vcc, 57, v[4:5]
	s_lshl_b64 s[10:11], s[12:13], 12
	v_and_b32_e32 v6, 0xffffff1f, v6
	v_cndmask_b32_e32 v0, 0, v30, vcc
	v_lshl_add_u64 v[10:11], v[28:29], 0, s[10:11]
	v_lshl_add_u32 v28, v38, 2, 28
	v_or_b32_e32 v0, v6, v0
	v_and_or_b32 v6, v28, s17, v0
	v_lshlrev_b32_e32 v32, 6, v34
	v_readfirstlane_b32 s10, v10
	v_readfirstlane_b32 s11, v11
	s_nop 4
	global_store_dwordx4 v32, v[6:9], s[10:11]
	global_store_dwordx4 v32, v[14:17], s[10:11] offset:16
	global_store_dwordx4 v32, v[18:21], s[10:11] offset:32
	;; [unrolled: 1-line block ×3, first 2 shown]
	s_and_saveexec_b64 s[10:11], s[0:1]
	s_cbranch_execz .LBB1_75
; %bb.68:                               ;   in Loop: Header=BB1_3 Depth=1
	global_load_dwordx2 v[18:19], v33, s[4:5] offset:32 sc0 sc1
	global_load_dwordx2 v[6:7], v33, s[4:5] offset:40
	v_mov_b32_e32 v16, s6
	v_mov_b32_e32 v17, s7
	s_waitcnt vmcnt(0)
	v_readfirstlane_b32 s12, v6
	v_readfirstlane_b32 s13, v7
	s_and_b64 s[12:13], s[12:13], s[6:7]
	s_mul_i32 s13, s13, 24
	s_mul_hi_u32 s14, s12, 24
	s_mul_i32 s12, s12, 24
	s_add_i32 s13, s14, s13
	v_lshl_add_u64 v[14:15], v[26:27], 0, s[12:13]
	global_store_dwordx2 v[14:15], v[18:19], off
	buffer_wbl2 sc0 sc1
	s_waitcnt vmcnt(0)
	global_atomic_cmpswap_x2 v[8:9], v33, v[16:19], s[4:5] offset:32 sc0 sc1
	s_waitcnt vmcnt(0)
	v_cmp_ne_u64_e32 vcc, v[8:9], v[18:19]
	s_and_saveexec_b64 s[12:13], vcc
	s_cbranch_execz .LBB1_71
; %bb.69:                               ;   in Loop: Header=BB1_3 Depth=1
	s_mov_b64 s[14:15], 0
.LBB1_70:                               ;   Parent Loop BB1_3 Depth=1
                                        ; =>  This Inner Loop Header: Depth=2
	s_sleep 1
	global_store_dwordx2 v[14:15], v[8:9], off
	v_mov_b32_e32 v6, s6
	v_mov_b32_e32 v7, s7
	buffer_wbl2 sc0 sc1
	s_waitcnt vmcnt(0)
	global_atomic_cmpswap_x2 v[6:7], v33, v[6:9], s[4:5] offset:32 sc0 sc1
	s_waitcnt vmcnt(0)
	v_cmp_eq_u64_e32 vcc, v[6:7], v[8:9]
	s_or_b64 s[14:15], vcc, s[14:15]
	v_mov_b64_e32 v[8:9], v[6:7]
	s_andn2_b64 exec, exec, s[14:15]
	s_cbranch_execnz .LBB1_70
.LBB1_71:                               ;   in Loop: Header=BB1_3 Depth=1
	s_or_b64 exec, exec, s[12:13]
	global_load_dwordx2 v[6:7], v33, s[4:5] offset:16
	s_mov_b64 s[14:15], exec
	v_mbcnt_lo_u32_b32 v0, s14, 0
	v_mbcnt_hi_u32_b32 v0, s15, v0
	v_cmp_eq_u32_e32 vcc, 0, v0
	s_and_saveexec_b64 s[12:13], vcc
	s_cbranch_execz .LBB1_73
; %bb.72:                               ;   in Loop: Header=BB1_3 Depth=1
	s_bcnt1_i32_b64 s14, s[14:15]
	v_mov_b32_e32 v8, s14
	v_mov_b32_e32 v9, v33
	buffer_wbl2 sc0 sc1
	s_waitcnt vmcnt(0)
	global_atomic_add_x2 v[6:7], v[8:9], off offset:8 sc1
.LBB1_73:                               ;   in Loop: Header=BB1_3 Depth=1
	s_or_b64 exec, exec, s[12:13]
	s_waitcnt vmcnt(0)
	global_load_dwordx2 v[8:9], v[6:7], off offset:16
	s_waitcnt vmcnt(0)
	v_cmp_eq_u64_e32 vcc, 0, v[8:9]
	s_cbranch_vccnz .LBB1_75
; %bb.74:                               ;   in Loop: Header=BB1_3 Depth=1
	global_load_dword v6, v[6:7], off offset:24
	v_mov_b32_e32 v7, v33
	s_waitcnt vmcnt(0)
	v_readfirstlane_b32 s12, v6
	s_and_b32 m0, s12, 0xffffff
	buffer_wbl2 sc0 sc1
	global_store_dwordx2 v[8:9], v[6:7], off sc0 sc1
	s_sendmsg sendmsg(MSG_INTERRUPT)
.LBB1_75:                               ;   in Loop: Header=BB1_3 Depth=1
	s_or_b64 exec, exec, s[10:11]
	v_lshl_add_u64 v[6:7], v[10:11], 0, v[32:33]
	s_branch .LBB1_79
.LBB1_76:                               ;   in Loop: Header=BB1_79 Depth=2
	s_or_b64 exec, exec, s[10:11]
	v_readfirstlane_b32 s10, v0
	s_cmp_eq_u32 s10, 0
	s_cbranch_scc1 .LBB1_78
; %bb.77:                               ;   in Loop: Header=BB1_79 Depth=2
	s_sleep 1
	s_cbranch_execnz .LBB1_79
	s_branch .LBB1_81
.LBB1_78:                               ;   in Loop: Header=BB1_3 Depth=1
	s_branch .LBB1_81
.LBB1_79:                               ;   Parent Loop BB1_3 Depth=1
                                        ; =>  This Inner Loop Header: Depth=2
	v_mov_b32_e32 v0, 1
	s_and_saveexec_b64 s[10:11], s[0:1]
	s_cbranch_execz .LBB1_76
; %bb.80:                               ;   in Loop: Header=BB1_79 Depth=2
	global_load_dword v0, v[48:49], off offset:20 sc0 sc1
	s_waitcnt vmcnt(0)
	buffer_inv sc0 sc1
	v_and_b32_e32 v0, 1, v0
	s_branch .LBB1_76
.LBB1_81:                               ;   in Loop: Header=BB1_3 Depth=1
	global_load_dwordx2 v[6:7], v[6:7], off
	s_and_saveexec_b64 s[10:11], s[0:1]
	s_cbranch_execz .LBB1_2
; %bb.82:                               ;   in Loop: Header=BB1_3 Depth=1
	global_load_dwordx2 v[8:9], v33, s[4:5] offset:40
	global_load_dwordx2 v[18:19], v33, s[4:5] offset:24 sc0 sc1
	global_load_dwordx2 v[10:11], v33, s[4:5]
	s_waitcnt vmcnt(2)
	v_readfirstlane_b32 s12, v8
	v_readfirstlane_b32 s13, v9
	s_add_u32 s14, s12, 1
	s_addc_u32 s15, s13, 0
	s_add_u32 s0, s14, s6
	s_addc_u32 s1, s15, s7
	s_cmp_eq_u64 s[0:1], 0
	s_cselect_b32 s1, s15, s1
	s_cselect_b32 s0, s14, s0
	s_and_b64 s[6:7], s[0:1], s[12:13]
	s_mul_i32 s7, s7, 24
	s_mul_hi_u32 s12, s6, 24
	s_mul_i32 s6, s6, 24
	s_add_i32 s7, s12, s7
	s_waitcnt vmcnt(0)
	v_lshl_add_u64 v[14:15], v[10:11], 0, s[6:7]
	v_mov_b32_e32 v16, s0
	global_store_dwordx2 v[14:15], v[18:19], off
	v_mov_b32_e32 v17, s1
	buffer_wbl2 sc0 sc1
	s_waitcnt vmcnt(0)
	global_atomic_cmpswap_x2 v[10:11], v33, v[16:19], s[4:5] offset:24 sc0 sc1
	s_waitcnt vmcnt(0)
	v_cmp_ne_u64_e32 vcc, v[10:11], v[18:19]
	s_and_b64 exec, exec, vcc
	s_cbranch_execz .LBB1_2
; %bb.83:                               ;   in Loop: Header=BB1_3 Depth=1
	s_mov_b64 s[6:7], 0
.LBB1_84:                               ;   Parent Loop BB1_3 Depth=1
                                        ; =>  This Inner Loop Header: Depth=2
	s_sleep 1
	global_store_dwordx2 v[14:15], v[10:11], off
	v_mov_b32_e32 v8, s0
	v_mov_b32_e32 v9, s1
	buffer_wbl2 sc0 sc1
	s_waitcnt vmcnt(0)
	global_atomic_cmpswap_x2 v[8:9], v33, v[8:11], s[4:5] offset:24 sc0 sc1
	s_waitcnt vmcnt(0)
	v_cmp_eq_u64_e32 vcc, v[8:9], v[10:11]
	s_or_b64 s[6:7], vcc, s[6:7]
	v_mov_b64_e32 v[10:11], v[8:9]
	s_andn2_b64 exec, exec, s[6:7]
	s_cbranch_execnz .LBB1_84
	s_branch .LBB1_2
.LBB1_85:
	s_or_b64 exec, exec, s[2:3]
.LBB1_86:
	s_waitcnt vmcnt(0)
	v_mov_b32_e32 v0, v6
	v_mov_b32_e32 v1, v7
	s_waitcnt lgkmcnt(0)
	s_setpc_b64 s[30:31]
.LBB1_87:
                                        ; implicit-def: $vgpr6_vgpr7
	s_cbranch_execz .LBB1_86
; %bb.88:
	s_load_dwordx2 s[2:3], s[8:9], 0x50
	v_mbcnt_hi_u32_b32 v3, -1, v3
	v_mov_b64_e32 v[8:9], 0
	v_readfirstlane_b32 s0, v3
	s_nop 1
	v_cmp_eq_u32_e64 s[0:1], s0, v3
	s_and_saveexec_b64 s[4:5], s[0:1]
	s_cbranch_execz .LBB1_94
; %bb.89:
	v_mov_b32_e32 v0, 0
	s_waitcnt lgkmcnt(0)
	global_load_dwordx2 v[6:7], v0, s[2:3] offset:24 sc0 sc1
	s_waitcnt vmcnt(0)
	buffer_inv sc0 sc1
	global_load_dwordx2 v[4:5], v0, s[2:3] offset:40
	global_load_dwordx2 v[8:9], v0, s[2:3]
	s_waitcnt vmcnt(1)
	v_and_b32_e32 v4, v4, v6
	v_and_b32_e32 v5, v5, v7
	v_mul_lo_u32 v5, v5, 24
	v_mul_hi_u32 v10, v4, 24
	v_add_u32_e32 v5, v10, v5
	v_mul_lo_u32 v4, v4, 24
	s_waitcnt vmcnt(0)
	v_lshl_add_u64 v[4:5], v[8:9], 0, v[4:5]
	global_load_dwordx2 v[4:5], v[4:5], off sc0 sc1
	s_waitcnt vmcnt(0)
	global_atomic_cmpswap_x2 v[8:9], v0, v[4:7], s[2:3] offset:24 sc0 sc1
	s_waitcnt vmcnt(0)
	buffer_inv sc0 sc1
	v_cmp_ne_u64_e32 vcc, v[8:9], v[6:7]
	s_and_saveexec_b64 s[6:7], vcc
	s_cbranch_execz .LBB1_93
; %bb.90:
	s_mov_b64 s[8:9], 0
.LBB1_91:                               ; =>This Inner Loop Header: Depth=1
	s_sleep 1
	global_load_dwordx2 v[4:5], v0, s[2:3] offset:40
	global_load_dwordx2 v[10:11], v0, s[2:3]
	v_mov_b64_e32 v[6:7], v[8:9]
	s_waitcnt vmcnt(1)
	v_and_b32_e32 v4, v4, v6
	v_and_b32_e32 v9, v5, v7
	s_waitcnt vmcnt(0)
	v_mad_u64_u32 v[4:5], s[10:11], v4, 24, v[10:11]
	v_mov_b32_e32 v8, v5
	v_mad_u64_u32 v[8:9], s[10:11], v9, 24, v[8:9]
	v_mov_b32_e32 v5, v8
	global_load_dwordx2 v[4:5], v[4:5], off sc0 sc1
	s_waitcnt vmcnt(0)
	global_atomic_cmpswap_x2 v[8:9], v0, v[4:7], s[2:3] offset:24 sc0 sc1
	s_waitcnt vmcnt(0)
	buffer_inv sc0 sc1
	v_cmp_eq_u64_e32 vcc, v[8:9], v[6:7]
	s_or_b64 s[8:9], vcc, s[8:9]
	s_andn2_b64 exec, exec, s[8:9]
	s_cbranch_execnz .LBB1_91
; %bb.92:
	s_or_b64 exec, exec, s[8:9]
.LBB1_93:
	s_or_b64 exec, exec, s[6:7]
.LBB1_94:
	s_or_b64 exec, exec, s[4:5]
	v_mov_b32_e32 v11, 0
	s_waitcnt lgkmcnt(0)
	global_load_dwordx2 v[12:13], v11, s[2:3] offset:40
	global_load_dwordx4 v[4:7], v11, s[2:3]
	v_readfirstlane_b32 s5, v9
	v_readfirstlane_b32 s4, v8
	s_mov_b64 s[6:7], exec
	s_waitcnt vmcnt(1)
	v_readfirstlane_b32 s8, v12
	v_readfirstlane_b32 s9, v13
	s_and_b64 s[8:9], s[8:9], s[4:5]
	s_mul_i32 s10, s9, 24
	s_mul_hi_u32 s11, s8, 24
	s_add_i32 s11, s11, s10
	s_mul_i32 s10, s8, 24
	s_waitcnt vmcnt(0)
	v_lshl_add_u64 v[8:9], v[4:5], 0, s[10:11]
	s_and_saveexec_b64 s[10:11], s[0:1]
	s_cbranch_execz .LBB1_96
; %bb.95:
	v_mov_b64_e32 v[12:13], s[6:7]
	v_mov_b32_e32 v14, 2
	v_mov_b32_e32 v15, 1
	global_store_dwordx4 v[8:9], v[12:15], off offset:8
.LBB1_96:
	s_or_b64 exec, exec, s[10:11]
	s_lshl_b64 s[6:7], s[8:9], 12
	v_lshl_add_u64 v[6:7], v[6:7], 0, s[6:7]
	s_movk_i32 s6, 0xff1f
	s_mov_b32 s8, 0
	v_and_or_b32 v0, v2, s6, 32
	v_lshlrev_b32_e32 v10, 6, v3
	v_mov_b32_e32 v2, v11
	v_mov_b32_e32 v3, v11
	v_readfirstlane_b32 s6, v6
	v_readfirstlane_b32 s7, v7
	s_mov_b32 s9, s8
	s_mov_b32 s10, s8
	s_mov_b32 s11, s8
	s_nop 1
	global_store_dwordx4 v10, v[0:3], s[6:7]
	s_nop 1
	v_mov_b64_e32 v[0:1], s[8:9]
	v_mov_b64_e32 v[2:3], s[10:11]
	global_store_dwordx4 v10, v[0:3], s[6:7] offset:16
	global_store_dwordx4 v10, v[0:3], s[6:7] offset:32
	global_store_dwordx4 v10, v[0:3], s[6:7] offset:48
	s_and_saveexec_b64 s[6:7], s[0:1]
	s_cbranch_execz .LBB1_104
; %bb.97:
	v_mov_b32_e32 v12, 0
	global_load_dwordx2 v[16:17], v12, s[2:3] offset:32 sc0 sc1
	global_load_dwordx2 v[0:1], v12, s[2:3] offset:40
	v_mov_b32_e32 v14, s4
	v_mov_b32_e32 v15, s5
	s_waitcnt vmcnt(0)
	v_and_b32_e32 v0, s4, v0
	v_and_b32_e32 v1, s5, v1
	v_mul_lo_u32 v1, v1, 24
	v_mul_hi_u32 v2, v0, 24
	v_mul_lo_u32 v0, v0, 24
	v_add_u32_e32 v1, v2, v1
	v_lshl_add_u64 v[4:5], v[4:5], 0, v[0:1]
	global_store_dwordx2 v[4:5], v[16:17], off
	buffer_wbl2 sc0 sc1
	s_waitcnt vmcnt(0)
	global_atomic_cmpswap_x2 v[2:3], v12, v[14:17], s[2:3] offset:32 sc0 sc1
	s_waitcnt vmcnt(0)
	v_cmp_ne_u64_e32 vcc, v[2:3], v[16:17]
	s_and_saveexec_b64 s[8:9], vcc
	s_cbranch_execz .LBB1_100
; %bb.98:
	s_mov_b64 s[10:11], 0
.LBB1_99:                               ; =>This Inner Loop Header: Depth=1
	s_sleep 1
	global_store_dwordx2 v[4:5], v[2:3], off
	v_mov_b32_e32 v0, s4
	v_mov_b32_e32 v1, s5
	buffer_wbl2 sc0 sc1
	s_waitcnt vmcnt(0)
	global_atomic_cmpswap_x2 v[0:1], v12, v[0:3], s[2:3] offset:32 sc0 sc1
	s_waitcnt vmcnt(0)
	v_cmp_eq_u64_e32 vcc, v[0:1], v[2:3]
	s_or_b64 s[10:11], vcc, s[10:11]
	v_mov_b64_e32 v[2:3], v[0:1]
	s_andn2_b64 exec, exec, s[10:11]
	s_cbranch_execnz .LBB1_99
.LBB1_100:
	s_or_b64 exec, exec, s[8:9]
	v_mov_b32_e32 v3, 0
	global_load_dwordx2 v[0:1], v3, s[2:3] offset:16
	s_mov_b64 s[8:9], exec
	v_mbcnt_lo_u32_b32 v2, s8, 0
	v_mbcnt_hi_u32_b32 v2, s9, v2
	v_cmp_eq_u32_e32 vcc, 0, v2
	s_and_saveexec_b64 s[10:11], vcc
	s_cbranch_execz .LBB1_102
; %bb.101:
	s_bcnt1_i32_b64 s8, s[8:9]
	v_mov_b32_e32 v2, s8
	buffer_wbl2 sc0 sc1
	s_waitcnt vmcnt(0)
	global_atomic_add_x2 v[0:1], v[2:3], off offset:8 sc1
.LBB1_102:
	s_or_b64 exec, exec, s[10:11]
	s_waitcnt vmcnt(0)
	global_load_dwordx2 v[2:3], v[0:1], off offset:16
	s_waitcnt vmcnt(0)
	v_cmp_eq_u64_e32 vcc, 0, v[2:3]
	s_cbranch_vccnz .LBB1_104
; %bb.103:
	global_load_dword v0, v[0:1], off offset:24
	v_mov_b32_e32 v1, 0
	s_waitcnt vmcnt(0)
	v_readfirstlane_b32 s8, v0
	s_and_b32 m0, s8, 0xffffff
	buffer_wbl2 sc0 sc1
	global_store_dwordx2 v[2:3], v[0:1], off sc0 sc1
	s_sendmsg sendmsg(MSG_INTERRUPT)
.LBB1_104:
	s_or_b64 exec, exec, s[6:7]
	v_lshl_add_u64 v[0:1], v[6:7], 0, v[10:11]
	s_branch .LBB1_108
.LBB1_105:                              ;   in Loop: Header=BB1_108 Depth=1
	s_or_b64 exec, exec, s[6:7]
	v_readfirstlane_b32 s6, v2
	s_cmp_eq_u32 s6, 0
	s_cbranch_scc1 .LBB1_107
; %bb.106:                              ;   in Loop: Header=BB1_108 Depth=1
	s_sleep 1
	s_cbranch_execnz .LBB1_108
	s_branch .LBB1_110
.LBB1_107:
	s_branch .LBB1_110
.LBB1_108:                              ; =>This Inner Loop Header: Depth=1
	v_mov_b32_e32 v2, 1
	s_and_saveexec_b64 s[6:7], s[0:1]
	s_cbranch_execz .LBB1_105
; %bb.109:                              ;   in Loop: Header=BB1_108 Depth=1
	global_load_dword v2, v[8:9], off offset:20 sc0 sc1
	s_waitcnt vmcnt(0)
	buffer_inv sc0 sc1
	v_and_b32_e32 v2, 1, v2
	s_branch .LBB1_105
.LBB1_110:
	global_load_dwordx2 v[6:7], v[0:1], off
	s_and_saveexec_b64 s[6:7], s[0:1]
	s_cbranch_execz .LBB1_113
; %bb.111:
	v_mov_b32_e32 v8, 0
	global_load_dwordx2 v[0:1], v8, s[2:3] offset:40
	global_load_dwordx2 v[12:13], v8, s[2:3] offset:24 sc0 sc1
	global_load_dwordx2 v[2:3], v8, s[2:3]
	s_waitcnt vmcnt(2)
	v_readfirstlane_b32 s8, v0
	v_readfirstlane_b32 s9, v1
	s_add_u32 s10, s8, 1
	s_addc_u32 s11, s9, 0
	s_add_u32 s0, s10, s4
	s_addc_u32 s1, s11, s5
	s_cmp_eq_u64 s[0:1], 0
	s_cselect_b32 s1, s11, s1
	s_cselect_b32 s0, s10, s0
	s_and_b64 s[4:5], s[0:1], s[8:9]
	s_mul_i32 s5, s5, 24
	s_mul_hi_u32 s8, s4, 24
	s_mul_i32 s4, s4, 24
	s_add_i32 s5, s8, s5
	s_waitcnt vmcnt(0)
	v_lshl_add_u64 v[4:5], v[2:3], 0, s[4:5]
	v_mov_b32_e32 v10, s0
	global_store_dwordx2 v[4:5], v[12:13], off
	v_mov_b32_e32 v11, s1
	buffer_wbl2 sc0 sc1
	s_waitcnt vmcnt(0)
	global_atomic_cmpswap_x2 v[2:3], v8, v[10:13], s[2:3] offset:24 sc0 sc1
	s_mov_b64 s[4:5], 0
	s_waitcnt vmcnt(0)
	v_cmp_ne_u64_e32 vcc, v[2:3], v[12:13]
	s_and_b64 exec, exec, vcc
	s_cbranch_execz .LBB1_113
.LBB1_112:                              ; =>This Inner Loop Header: Depth=1
	s_sleep 1
	global_store_dwordx2 v[4:5], v[2:3], off
	v_mov_b32_e32 v0, s0
	v_mov_b32_e32 v1, s1
	buffer_wbl2 sc0 sc1
	s_waitcnt vmcnt(0)
	global_atomic_cmpswap_x2 v[0:1], v8, v[0:3], s[2:3] offset:24 sc0 sc1
	s_waitcnt vmcnt(0)
	v_cmp_eq_u64_e32 vcc, v[0:1], v[2:3]
	s_or_b64 s[4:5], vcc, s[4:5]
	v_mov_b64_e32 v[2:3], v[0:1]
	s_andn2_b64 exec, exec, s[4:5]
	s_cbranch_execnz .LBB1_112
.LBB1_113:
	s_or_b64 exec, exec, s[6:7]
	s_waitcnt vmcnt(0)
	v_mov_b32_e32 v0, v6
	v_mov_b32_e32 v1, v7
	s_waitcnt lgkmcnt(0)
	s_setpc_b64 s[30:31]
.Lfunc_end1:
	.size	__ockl_printf_append_string_n, .Lfunc_end1-__ockl_printf_append_string_n
                                        ; -- End function
	.set .L__ockl_printf_append_string_n.num_vgpr, 50
	.set .L__ockl_printf_append_string_n.num_agpr, 0
	.set .L__ockl_printf_append_string_n.numbered_sgpr, 32
	.set .L__ockl_printf_append_string_n.num_named_barrier, 0
	.set .L__ockl_printf_append_string_n.private_seg_size, 0
	.set .L__ockl_printf_append_string_n.uses_vcc, 1
	.set .L__ockl_printf_append_string_n.uses_flat_scratch, 0
	.set .L__ockl_printf_append_string_n.has_dyn_sized_stack, 0
	.set .L__ockl_printf_append_string_n.has_recursion, 0
	.set .L__ockl_printf_append_string_n.has_indirect_call, 0
	.section	.AMDGPU.csdata,"",@progbits
; Function info:
; codeLenInByte = 3812
; TotalNumSgprs: 38
; NumVgprs: 50
; NumAgprs: 0
; TotalNumVgprs: 50
; ScratchSize: 0
; MemoryBound: 0
	.text
	.p2align	2                               ; -- Begin function __ockl_printf_append_args
	.type	__ockl_printf_append_args,@function
__ockl_printf_append_args:              ; @__ockl_printf_append_args
; %bb.0:
	s_waitcnt vmcnt(0) expcnt(0) lgkmcnt(0)
	s_load_dwordx2 s[2:3], s[8:9], 0x50
	v_mbcnt_lo_u32_b32 v5, -1, 0
	v_mbcnt_hi_u32_b32 v5, -1, v5
	v_mov_b64_e32 v[10:11], 0
	v_readfirstlane_b32 s0, v5
	s_nop 1
	v_cmp_eq_u32_e64 s[0:1], s0, v5
	s_and_saveexec_b64 s[4:5], s[0:1]
	s_cbranch_execz .LBB2_6
; %bb.1:
	v_mov_b32_e32 v6, 0
	s_waitcnt lgkmcnt(0)
	global_load_dwordx2 v[12:13], v6, s[2:3] offset:24 sc0 sc1
	s_waitcnt vmcnt(0)
	buffer_inv sc0 sc1
	global_load_dwordx2 v[8:9], v6, s[2:3] offset:40
	global_load_dwordx2 v[10:11], v6, s[2:3]
	s_waitcnt vmcnt(1)
	v_and_b32_e32 v7, v8, v12
	v_and_b32_e32 v8, v9, v13
	v_mul_lo_u32 v8, v8, 24
	v_mul_hi_u32 v9, v7, 24
	v_add_u32_e32 v9, v9, v8
	v_mul_lo_u32 v8, v7, 24
	s_waitcnt vmcnt(0)
	v_lshl_add_u64 v[8:9], v[10:11], 0, v[8:9]
	global_load_dwordx2 v[10:11], v[8:9], off sc0 sc1
	s_waitcnt vmcnt(0)
	global_atomic_cmpswap_x2 v[10:11], v6, v[10:13], s[2:3] offset:24 sc0 sc1
	s_waitcnt vmcnt(0)
	buffer_inv sc0 sc1
	v_cmp_ne_u64_e32 vcc, v[10:11], v[12:13]
	s_and_saveexec_b64 s[6:7], vcc
	s_cbranch_execz .LBB2_5
; %bb.2:
	s_mov_b64 s[8:9], 0
.LBB2_3:                                ; =>This Inner Loop Header: Depth=1
	s_sleep 1
	global_load_dwordx2 v[8:9], v6, s[2:3] offset:40
	global_load_dwordx2 v[14:15], v6, s[2:3]
	v_mov_b64_e32 v[12:13], v[10:11]
	s_waitcnt vmcnt(1)
	v_and_b32_e32 v8, v8, v12
	v_and_b32_e32 v7, v9, v13
	s_waitcnt vmcnt(0)
	v_mad_u64_u32 v[8:9], s[10:11], v8, 24, v[14:15]
	v_mov_b32_e32 v10, v9
	v_mad_u64_u32 v[10:11], s[10:11], v7, 24, v[10:11]
	v_mov_b32_e32 v9, v10
	global_load_dwordx2 v[10:11], v[8:9], off sc0 sc1
	s_waitcnt vmcnt(0)
	global_atomic_cmpswap_x2 v[10:11], v6, v[10:13], s[2:3] offset:24 sc0 sc1
	s_waitcnt vmcnt(0)
	buffer_inv sc0 sc1
	v_cmp_eq_u64_e32 vcc, v[10:11], v[12:13]
	s_or_b64 s[8:9], vcc, s[8:9]
	s_andn2_b64 exec, exec, s[8:9]
	s_cbranch_execnz .LBB2_3
; %bb.4:
	s_or_b64 exec, exec, s[8:9]
.LBB2_5:
	s_or_b64 exec, exec, s[6:7]
.LBB2_6:
	s_or_b64 exec, exec, s[4:5]
	v_mov_b32_e32 v14, 0
	s_waitcnt lgkmcnt(0)
	global_load_dwordx2 v[12:13], v14, s[2:3] offset:40
	global_load_dwordx4 v[6:9], v14, s[2:3]
	v_readfirstlane_b32 s5, v11
	v_readfirstlane_b32 s4, v10
	s_mov_b64 s[6:7], exec
	s_waitcnt vmcnt(1)
	v_readfirstlane_b32 s8, v12
	v_readfirstlane_b32 s9, v13
	s_and_b64 s[8:9], s[8:9], s[4:5]
	s_mul_i32 s10, s9, 24
	s_mul_hi_u32 s11, s8, 24
	s_add_i32 s11, s11, s10
	s_mul_i32 s10, s8, 24
	s_waitcnt vmcnt(0)
	v_lshl_add_u64 v[10:11], v[6:7], 0, s[10:11]
	s_and_saveexec_b64 s[10:11], s[0:1]
	s_cbranch_execz .LBB2_8
; %bb.7:
	v_mov_b64_e32 v[12:13], s[6:7]
	v_mov_b32_e32 v14, 2
	v_mov_b32_e32 v15, 1
	global_store_dwordx4 v[10:11], v[12:15], off offset:8
.LBB2_8:
	s_or_b64 exec, exec, s[10:11]
	s_lshl_b64 s[6:7], s[8:9], 12
	v_or_b32_e32 v12, 2, v0
	v_cmp_eq_u32_e32 vcc, 0, v4
	v_lshl_add_u64 v[8:9], v[8:9], 0, s[6:7]
	s_mov_b32 s8, 0
	v_cndmask_b32_e32 v0, v12, v0, vcc
	s_movk_i32 s6, 0xff1f
	v_and_or_b32 v0, v0, s6, 32
	v_lshlrev_b32_e32 v4, 6, v5
	v_readfirstlane_b32 s6, v8
	v_readfirstlane_b32 s7, v9
	s_mov_b32 s9, s8
	s_mov_b32 s10, s8
	;; [unrolled: 1-line block ×3, first 2 shown]
	s_nop 1
	global_store_dwordx4 v4, v[0:3], s[6:7]
	s_nop 1
	v_mov_b64_e32 v[0:1], s[8:9]
	v_mov_b64_e32 v[2:3], s[10:11]
	global_store_dwordx4 v4, v[0:3], s[6:7] offset:16
	global_store_dwordx4 v4, v[0:3], s[6:7] offset:32
	;; [unrolled: 1-line block ×3, first 2 shown]
	s_and_saveexec_b64 s[6:7], s[0:1]
	s_cbranch_execz .LBB2_16
; %bb.9:
	v_mov_b32_e32 v8, 0
	global_load_dwordx2 v[14:15], v8, s[2:3] offset:32 sc0 sc1
	global_load_dwordx2 v[0:1], v8, s[2:3] offset:40
	v_mov_b32_e32 v12, s4
	v_mov_b32_e32 v13, s5
	s_waitcnt vmcnt(0)
	v_and_b32_e32 v0, s4, v0
	v_and_b32_e32 v1, s5, v1
	v_mul_lo_u32 v1, v1, 24
	v_mul_hi_u32 v2, v0, 24
	v_mul_lo_u32 v0, v0, 24
	v_add_u32_e32 v1, v2, v1
	v_lshl_add_u64 v[4:5], v[6:7], 0, v[0:1]
	global_store_dwordx2 v[4:5], v[14:15], off
	buffer_wbl2 sc0 sc1
	s_waitcnt vmcnt(0)
	global_atomic_cmpswap_x2 v[2:3], v8, v[12:15], s[2:3] offset:32 sc0 sc1
	s_waitcnt vmcnt(0)
	v_cmp_ne_u64_e32 vcc, v[2:3], v[14:15]
	s_and_saveexec_b64 s[8:9], vcc
	s_cbranch_execz .LBB2_12
; %bb.10:
	s_mov_b64 s[10:11], 0
.LBB2_11:                               ; =>This Inner Loop Header: Depth=1
	s_sleep 1
	global_store_dwordx2 v[4:5], v[2:3], off
	v_mov_b32_e32 v0, s4
	v_mov_b32_e32 v1, s5
	buffer_wbl2 sc0 sc1
	s_waitcnt vmcnt(0)
	global_atomic_cmpswap_x2 v[0:1], v8, v[0:3], s[2:3] offset:32 sc0 sc1
	s_waitcnt vmcnt(0)
	v_cmp_eq_u64_e32 vcc, v[0:1], v[2:3]
	s_or_b64 s[10:11], vcc, s[10:11]
	v_mov_b64_e32 v[2:3], v[0:1]
	s_andn2_b64 exec, exec, s[10:11]
	s_cbranch_execnz .LBB2_11
.LBB2_12:
	s_or_b64 exec, exec, s[8:9]
	v_mov_b32_e32 v3, 0
	global_load_dwordx2 v[0:1], v3, s[2:3] offset:16
	s_mov_b64 s[8:9], exec
	v_mbcnt_lo_u32_b32 v2, s8, 0
	v_mbcnt_hi_u32_b32 v2, s9, v2
	v_cmp_eq_u32_e32 vcc, 0, v2
	s_and_saveexec_b64 s[10:11], vcc
	s_cbranch_execz .LBB2_14
; %bb.13:
	s_bcnt1_i32_b64 s8, s[8:9]
	v_mov_b32_e32 v2, s8
	buffer_wbl2 sc0 sc1
	s_waitcnt vmcnt(0)
	global_atomic_add_x2 v[0:1], v[2:3], off offset:8 sc1
.LBB2_14:
	s_or_b64 exec, exec, s[10:11]
	s_waitcnt vmcnt(0)
	global_load_dwordx2 v[2:3], v[0:1], off offset:16
	s_waitcnt vmcnt(0)
	v_cmp_eq_u64_e32 vcc, 0, v[2:3]
	s_cbranch_vccnz .LBB2_16
; %bb.15:
	global_load_dword v0, v[0:1], off offset:24
	v_mov_b32_e32 v1, 0
	s_waitcnt vmcnt(0)
	v_readfirstlane_b32 s8, v0
	s_and_b32 m0, s8, 0xffffff
	buffer_wbl2 sc0 sc1
	global_store_dwordx2 v[2:3], v[0:1], off sc0 sc1
	s_sendmsg sendmsg(MSG_INTERRUPT)
.LBB2_16:
	s_or_b64 exec, exec, s[6:7]
	s_branch .LBB2_20
.LBB2_17:                               ;   in Loop: Header=BB2_20 Depth=1
	s_or_b64 exec, exec, s[6:7]
	v_readfirstlane_b32 s6, v0
	s_cmp_eq_u32 s6, 0
	s_cbranch_scc1 .LBB2_19
; %bb.18:                               ;   in Loop: Header=BB2_20 Depth=1
	s_sleep 1
	s_cbranch_execnz .LBB2_20
	s_branch .LBB2_22
.LBB2_19:
	s_branch .LBB2_22
.LBB2_20:                               ; =>This Inner Loop Header: Depth=1
	v_mov_b32_e32 v0, 1
	s_and_saveexec_b64 s[6:7], s[0:1]
	s_cbranch_execz .LBB2_17
; %bb.21:                               ;   in Loop: Header=BB2_20 Depth=1
	global_load_dword v0, v[10:11], off offset:20 sc0 sc1
	s_waitcnt vmcnt(0)
	buffer_inv sc0 sc1
	v_and_b32_e32 v0, 1, v0
	s_branch .LBB2_17
.LBB2_22:
	s_and_saveexec_b64 s[6:7], s[0:1]
	s_cbranch_execz .LBB2_25
; %bb.23:
	v_mov_b32_e32 v6, 0
	global_load_dwordx2 v[0:1], v6, s[2:3] offset:40
	global_load_dwordx2 v[10:11], v6, s[2:3] offset:24 sc0 sc1
	global_load_dwordx2 v[2:3], v6, s[2:3]
	s_waitcnt vmcnt(2)
	v_readfirstlane_b32 s8, v0
	v_readfirstlane_b32 s9, v1
	s_add_u32 s10, s8, 1
	s_addc_u32 s11, s9, 0
	s_add_u32 s0, s10, s4
	s_addc_u32 s1, s11, s5
	s_cmp_eq_u64 s[0:1], 0
	s_cselect_b32 s1, s11, s1
	s_cselect_b32 s0, s10, s0
	s_and_b64 s[4:5], s[0:1], s[8:9]
	s_mul_i32 s5, s5, 24
	s_mul_hi_u32 s8, s4, 24
	s_mul_i32 s4, s4, 24
	s_add_i32 s5, s8, s5
	s_waitcnt vmcnt(0)
	v_lshl_add_u64 v[4:5], v[2:3], 0, s[4:5]
	v_mov_b32_e32 v8, s0
	global_store_dwordx2 v[4:5], v[10:11], off
	v_mov_b32_e32 v9, s1
	buffer_wbl2 sc0 sc1
	s_waitcnt vmcnt(0)
	global_atomic_cmpswap_x2 v[2:3], v6, v[8:11], s[2:3] offset:24 sc0 sc1
	s_mov_b64 s[4:5], 0
	s_waitcnt vmcnt(0)
	v_cmp_ne_u64_e32 vcc, v[2:3], v[10:11]
	s_and_b64 exec, exec, vcc
	s_cbranch_execz .LBB2_25
.LBB2_24:                               ; =>This Inner Loop Header: Depth=1
	s_sleep 1
	global_store_dwordx2 v[4:5], v[2:3], off
	v_mov_b32_e32 v0, s0
	v_mov_b32_e32 v1, s1
	buffer_wbl2 sc0 sc1
	s_waitcnt vmcnt(0)
	global_atomic_cmpswap_x2 v[0:1], v6, v[0:3], s[2:3] offset:24 sc0 sc1
	s_waitcnt vmcnt(0)
	v_cmp_eq_u64_e32 vcc, v[0:1], v[2:3]
	s_or_b64 s[4:5], vcc, s[4:5]
	v_mov_b64_e32 v[2:3], v[0:1]
	s_andn2_b64 exec, exec, s[4:5]
	s_cbranch_execnz .LBB2_24
.LBB2_25:
	s_or_b64 exec, exec, s[6:7]
	s_waitcnt vmcnt(0) lgkmcnt(0)
	s_setpc_b64 s[30:31]
.Lfunc_end2:
	.size	__ockl_printf_append_args, .Lfunc_end2-__ockl_printf_append_args
                                        ; -- End function
	.set .L__ockl_printf_append_args.num_vgpr, 16
	.set .L__ockl_printf_append_args.num_agpr, 0
	.set .L__ockl_printf_append_args.numbered_sgpr, 32
	.set .L__ockl_printf_append_args.num_named_barrier, 0
	.set .L__ockl_printf_append_args.private_seg_size, 0
	.set .L__ockl_printf_append_args.uses_vcc, 1
	.set .L__ockl_printf_append_args.uses_flat_scratch, 0
	.set .L__ockl_printf_append_args.has_dyn_sized_stack, 0
	.set .L__ockl_printf_append_args.has_recursion, 0
	.set .L__ockl_printf_append_args.has_indirect_call, 0
	.section	.AMDGPU.csdata,"",@progbits
; Function info:
; codeLenInByte = 1216
; TotalNumSgprs: 38
; NumVgprs: 16
; NumAgprs: 0
; TotalNumVgprs: 16
; ScratchSize: 0
; MemoryBound: 0
	.text
	.p2align	2                               ; -- Begin function _ZL14no_device_codePKciS0_iS0_
	.type	_ZL14no_device_codePKciS0_iS0_,@function
_ZL14no_device_codePKciS0_iS0_:         ; @_ZL14no_device_codePKciS0_iS0_
; %bb.0:
	s_waitcnt vmcnt(0) expcnt(0) lgkmcnt(0)
	s_mov_b32 s20, s33
	s_mov_b32 s33, s32
	s_xor_saveexec_b64 s[0:1], -1
	scratch_store_dword off, v35, s33       ; 4-byte Folded Spill
	s_mov_b64 exec, s[0:1]
	v_writelane_b32 v35, s30, 0
	s_add_i32 s32, s32, 16
	s_nop 0
	v_writelane_b32 v35, s31, 1
	s_load_dwordx2 s[2:3], s[8:9], 0x50
	v_mbcnt_lo_u32_b32 v0, -1, 0
	v_mbcnt_hi_u32_b32 v29, -1, v0
	v_mov_b64_e32 v[4:5], 0
	v_readfirstlane_b32 s0, v29
	s_nop 1
	v_cmp_eq_u32_e64 s[0:1], s0, v29
	s_and_saveexec_b64 s[4:5], s[0:1]
	s_cbranch_execz .LBB3_6
; %bb.1:
	v_mov_b32_e32 v0, 0
	s_waitcnt lgkmcnt(0)
	global_load_dwordx2 v[6:7], v0, s[2:3] offset:24 sc0 sc1
	s_waitcnt vmcnt(0)
	buffer_inv sc0 sc1
	global_load_dwordx2 v[2:3], v0, s[2:3] offset:40
	global_load_dwordx2 v[4:5], v0, s[2:3]
	s_waitcnt vmcnt(1)
	v_and_b32_e32 v1, v2, v6
	v_and_b32_e32 v2, v3, v7
	v_mul_lo_u32 v2, v2, 24
	v_mul_hi_u32 v3, v1, 24
	v_add_u32_e32 v3, v3, v2
	v_mul_lo_u32 v2, v1, 24
	s_waitcnt vmcnt(0)
	v_lshl_add_u64 v[2:3], v[4:5], 0, v[2:3]
	global_load_dwordx2 v[4:5], v[2:3], off sc0 sc1
	s_waitcnt vmcnt(0)
	global_atomic_cmpswap_x2 v[4:5], v0, v[4:7], s[2:3] offset:24 sc0 sc1
	s_waitcnt vmcnt(0)
	buffer_inv sc0 sc1
	v_cmp_ne_u64_e32 vcc, v[4:5], v[6:7]
	s_and_saveexec_b64 s[6:7], vcc
	s_cbranch_execz .LBB3_5
; %bb.2:
	s_mov_b64 s[10:11], 0
.LBB3_3:                                ; =>This Inner Loop Header: Depth=1
	s_sleep 1
	global_load_dwordx2 v[2:3], v0, s[2:3] offset:40
	global_load_dwordx2 v[8:9], v0, s[2:3]
	v_mov_b64_e32 v[6:7], v[4:5]
	s_waitcnt vmcnt(1)
	v_and_b32_e32 v2, v2, v6
	v_and_b32_e32 v1, v3, v7
	s_waitcnt vmcnt(0)
	v_mad_u64_u32 v[2:3], s[12:13], v2, 24, v[8:9]
	v_mov_b32_e32 v4, v3
	v_mad_u64_u32 v[4:5], s[12:13], v1, 24, v[4:5]
	v_mov_b32_e32 v3, v4
	global_load_dwordx2 v[4:5], v[2:3], off sc0 sc1
	s_waitcnt vmcnt(0)
	global_atomic_cmpswap_x2 v[4:5], v0, v[4:7], s[2:3] offset:24 sc0 sc1
	s_waitcnt vmcnt(0)
	buffer_inv sc0 sc1
	v_cmp_eq_u64_e32 vcc, v[4:5], v[6:7]
	s_or_b64 s[10:11], vcc, s[10:11]
	s_andn2_b64 exec, exec, s[10:11]
	s_cbranch_execnz .LBB3_3
; %bb.4:
	s_or_b64 exec, exec, s[10:11]
.LBB3_5:
	s_or_b64 exec, exec, s[6:7]
.LBB3_6:
	s_or_b64 exec, exec, s[4:5]
	v_mov_b32_e32 v27, 0
	s_waitcnt lgkmcnt(0)
	global_load_dwordx2 v[6:7], v27, s[2:3] offset:40
	global_load_dwordx4 v[0:3], v27, s[2:3]
	v_readfirstlane_b32 s5, v5
	v_readfirstlane_b32 s4, v4
	s_mov_b64 s[6:7], exec
	s_waitcnt vmcnt(1)
	v_readfirstlane_b32 s10, v6
	v_readfirstlane_b32 s11, v7
	s_and_b64 s[10:11], s[10:11], s[4:5]
	s_mul_i32 s12, s11, 24
	s_mul_hi_u32 s13, s10, 24
	s_add_i32 s13, s13, s12
	s_mul_i32 s12, s10, 24
	s_waitcnt vmcnt(0)
	v_lshl_add_u64 v[4:5], v[0:1], 0, s[12:13]
	s_and_saveexec_b64 s[12:13], s[0:1]
	s_cbranch_execz .LBB3_8
; %bb.7:
	v_mov_b64_e32 v[6:7], s[6:7]
	v_mov_b32_e32 v8, 2
	v_mov_b32_e32 v9, 1
	global_store_dwordx4 v[4:5], v[6:9], off offset:8
.LBB3_8:
	s_or_b64 exec, exec, s[12:13]
	s_lshl_b64 s[6:7], s[10:11], 12
	v_lshl_add_u64 v[6:7], v[2:3], 0, s[6:7]
	s_mov_b32 s12, 0
	v_lshlrev_b32_e32 v26, 6, v29
	v_mov_b32_e32 v8, 33
	v_mov_b32_e32 v9, v27
	;; [unrolled: 1-line block ×4, first 2 shown]
	v_readfirstlane_b32 s6, v6
	v_readfirstlane_b32 s7, v7
	s_mov_b32 s13, s12
	s_mov_b32 s14, s12
	s_mov_b32 s15, s12
	s_nop 1
	global_store_dwordx4 v26, v[8:11], s[6:7]
	s_nop 1
	v_mov_b64_e32 v[8:9], s[12:13]
	v_mov_b64_e32 v[10:11], s[14:15]
	global_store_dwordx4 v26, v[8:11], s[6:7] offset:16
	global_store_dwordx4 v26, v[8:11], s[6:7] offset:32
	;; [unrolled: 1-line block ×3, first 2 shown]
	s_and_saveexec_b64 s[6:7], s[0:1]
	s_cbranch_execz .LBB3_16
; %bb.9:
	v_mov_b32_e32 v10, 0
	global_load_dwordx2 v[14:15], v10, s[2:3] offset:32 sc0 sc1
	global_load_dwordx2 v[2:3], v10, s[2:3] offset:40
	v_mov_b32_e32 v12, s4
	v_mov_b32_e32 v13, s5
	s_waitcnt vmcnt(0)
	v_and_b32_e32 v2, s4, v2
	v_and_b32_e32 v3, s5, v3
	v_mul_lo_u32 v3, v3, 24
	v_mul_hi_u32 v8, v2, 24
	v_mul_lo_u32 v2, v2, 24
	v_add_u32_e32 v3, v8, v3
	v_lshl_add_u64 v[8:9], v[0:1], 0, v[2:3]
	global_store_dwordx2 v[8:9], v[14:15], off
	buffer_wbl2 sc0 sc1
	s_waitcnt vmcnt(0)
	global_atomic_cmpswap_x2 v[2:3], v10, v[12:15], s[2:3] offset:32 sc0 sc1
	s_waitcnt vmcnt(0)
	v_cmp_ne_u64_e32 vcc, v[2:3], v[14:15]
	s_and_saveexec_b64 s[10:11], vcc
	s_cbranch_execz .LBB3_12
; %bb.10:
	s_mov_b64 s[12:13], 0
.LBB3_11:                               ; =>This Inner Loop Header: Depth=1
	s_sleep 1
	global_store_dwordx2 v[8:9], v[2:3], off
	v_mov_b32_e32 v0, s4
	v_mov_b32_e32 v1, s5
	buffer_wbl2 sc0 sc1
	s_waitcnt vmcnt(0)
	global_atomic_cmpswap_x2 v[0:1], v10, v[0:3], s[2:3] offset:32 sc0 sc1
	s_waitcnt vmcnt(0)
	v_cmp_eq_u64_e32 vcc, v[0:1], v[2:3]
	s_or_b64 s[12:13], vcc, s[12:13]
	v_mov_b64_e32 v[2:3], v[0:1]
	s_andn2_b64 exec, exec, s[12:13]
	s_cbranch_execnz .LBB3_11
.LBB3_12:
	s_or_b64 exec, exec, s[10:11]
	v_mov_b32_e32 v3, 0
	global_load_dwordx2 v[0:1], v3, s[2:3] offset:16
	s_mov_b64 s[10:11], exec
	v_mbcnt_lo_u32_b32 v2, s10, 0
	v_mbcnt_hi_u32_b32 v2, s11, v2
	v_cmp_eq_u32_e32 vcc, 0, v2
	s_and_saveexec_b64 s[12:13], vcc
	s_cbranch_execz .LBB3_14
; %bb.13:
	s_bcnt1_i32_b64 s10, s[10:11]
	v_mov_b32_e32 v2, s10
	buffer_wbl2 sc0 sc1
	s_waitcnt vmcnt(0)
	global_atomic_add_x2 v[0:1], v[2:3], off offset:8 sc1
.LBB3_14:
	s_or_b64 exec, exec, s[12:13]
	s_waitcnt vmcnt(0)
	global_load_dwordx2 v[2:3], v[0:1], off offset:16
	s_waitcnt vmcnt(0)
	v_cmp_eq_u64_e32 vcc, 0, v[2:3]
	s_cbranch_vccnz .LBB3_16
; %bb.15:
	global_load_dword v0, v[0:1], off offset:24
	v_mov_b32_e32 v1, 0
	s_waitcnt vmcnt(0)
	v_readfirstlane_b32 s10, v0
	s_and_b32 m0, s10, 0xffffff
	buffer_wbl2 sc0 sc1
	global_store_dwordx2 v[2:3], v[0:1], off sc0 sc1
	s_sendmsg sendmsg(MSG_INTERRUPT)
.LBB3_16:
	s_or_b64 exec, exec, s[6:7]
	v_lshl_add_u64 v[0:1], v[6:7], 0, v[26:27]
	s_branch .LBB3_20
.LBB3_17:                               ;   in Loop: Header=BB3_20 Depth=1
	s_or_b64 exec, exec, s[6:7]
	v_readfirstlane_b32 s6, v2
	s_cmp_eq_u32 s6, 0
	s_cbranch_scc1 .LBB3_19
; %bb.18:                               ;   in Loop: Header=BB3_20 Depth=1
	s_sleep 1
	s_cbranch_execnz .LBB3_20
	s_branch .LBB3_22
.LBB3_19:
	s_branch .LBB3_22
.LBB3_20:                               ; =>This Inner Loop Header: Depth=1
	v_mov_b32_e32 v2, 1
	s_and_saveexec_b64 s[6:7], s[0:1]
	s_cbranch_execz .LBB3_17
; %bb.21:                               ;   in Loop: Header=BB3_20 Depth=1
	global_load_dword v2, v[4:5], off offset:20 sc0 sc1
	s_waitcnt vmcnt(0)
	buffer_inv sc0 sc1
	v_and_b32_e32 v2, 1, v2
	s_branch .LBB3_17
.LBB3_22:
	global_load_dwordx2 v[4:5], v[0:1], off
	s_and_saveexec_b64 s[6:7], s[0:1]
	s_cbranch_execz .LBB3_25
; %bb.23:
	v_mov_b32_e32 v8, 0
	global_load_dwordx2 v[0:1], v8, s[2:3] offset:40
	global_load_dwordx2 v[12:13], v8, s[2:3] offset:24 sc0 sc1
	global_load_dwordx2 v[2:3], v8, s[2:3]
	s_waitcnt vmcnt(2)
	v_readfirstlane_b32 s10, v0
	v_readfirstlane_b32 s11, v1
	s_add_u32 s12, s10, 1
	s_addc_u32 s13, s11, 0
	s_add_u32 s0, s12, s4
	s_addc_u32 s1, s13, s5
	s_cmp_eq_u64 s[0:1], 0
	s_cselect_b32 s1, s13, s1
	s_cselect_b32 s0, s12, s0
	s_and_b64 s[4:5], s[0:1], s[10:11]
	s_mul_i32 s5, s5, 24
	s_mul_hi_u32 s10, s4, 24
	s_mul_i32 s4, s4, 24
	s_add_i32 s5, s10, s5
	s_waitcnt vmcnt(0)
	v_lshl_add_u64 v[6:7], v[2:3], 0, s[4:5]
	v_mov_b32_e32 v10, s0
	global_store_dwordx2 v[6:7], v[12:13], off
	v_mov_b32_e32 v11, s1
	buffer_wbl2 sc0 sc1
	s_waitcnt vmcnt(0)
	global_atomic_cmpswap_x2 v[2:3], v8, v[10:13], s[2:3] offset:24 sc0 sc1
	s_mov_b64 s[4:5], 0
	s_waitcnt vmcnt(0)
	v_cmp_ne_u64_e32 vcc, v[2:3], v[12:13]
	s_and_b64 exec, exec, vcc
	s_cbranch_execz .LBB3_25
.LBB3_24:                               ; =>This Inner Loop Header: Depth=1
	s_sleep 1
	global_store_dwordx2 v[6:7], v[2:3], off
	v_mov_b32_e32 v0, s0
	v_mov_b32_e32 v1, s1
	buffer_wbl2 sc0 sc1
	s_waitcnt vmcnt(0)
	global_atomic_cmpswap_x2 v[0:1], v8, v[0:3], s[2:3] offset:24 sc0 sc1
	s_waitcnt vmcnt(0)
	v_cmp_eq_u64_e32 vcc, v[0:1], v[2:3]
	s_or_b64 s[4:5], vcc, s[4:5]
	v_mov_b64_e32 v[2:3], v[0:1]
	s_andn2_b64 exec, exec, s[4:5]
	s_cbranch_execnz .LBB3_24
.LBB3_25:
	s_or_b64 exec, exec, s[6:7]
	s_getpc_b64 s[4:5]
	s_add_u32 s4, s4, .str.5@rel32@lo+4
	s_addc_u32 s5, s5, .str.5@rel32@hi+12
	s_cmp_lg_u64 s[4:5], 0
	s_cbranch_scc0 .LBB3_110
; %bb.26:
	s_waitcnt vmcnt(0)
	v_and_b32_e32 v28, 2, v4
	v_mov_b32_e32 v31, 0
	v_and_b32_e32 v0, -3, v4
	v_mov_b32_e32 v1, v5
	s_mov_b64 s[6:7], 0x4d
	v_mov_b32_e32 v8, 2
	v_mov_b32_e32 v9, 1
	s_branch .LBB3_28
.LBB3_27:                               ;   in Loop: Header=BB3_28 Depth=1
	s_or_b64 exec, exec, s[14:15]
	s_sub_u32 s6, s6, s10
	s_subb_u32 s7, s7, s11
	s_add_u32 s4, s4, s10
	s_addc_u32 s5, s5, s11
	s_cmp_lg_u64 s[6:7], 0
	s_cbranch_scc0 .LBB3_111
.LBB3_28:                               ; =>This Loop Header: Depth=1
                                        ;     Child Loop BB3_31 Depth 2
                                        ;     Child Loop BB3_39 Depth 2
	;; [unrolled: 1-line block ×11, first 2 shown]
	v_cmp_lt_u64_e64 s[0:1], s[6:7], 56
	s_and_b64 s[0:1], s[0:1], exec
	s_cselect_b32 s11, s7, 0
	s_cselect_b32 s10, s6, 56
	v_cmp_gt_u64_e64 s[12:13], s[6:7], 7
	s_add_u32 s0, s4, 8
	s_addc_u32 s1, s5, 0
	s_and_b64 vcc, exec, s[12:13]
	s_cbranch_vccnz .LBB3_32
; %bb.29:                               ;   in Loop: Header=BB3_28 Depth=1
	s_cmp_eq_u64 s[6:7], 0
	s_cbranch_scc1 .LBB3_33
; %bb.30:                               ;   in Loop: Header=BB3_28 Depth=1
	s_lshl_b64 s[0:1], s[10:11], 3
	s_mov_b64 s[12:13], 0
	v_mov_b64_e32 v[2:3], 0
	s_mov_b64 s[14:15], s[4:5]
.LBB3_31:                               ;   Parent Loop BB3_28 Depth=1
                                        ; =>  This Inner Loop Header: Depth=2
	global_load_ubyte v6, v31, s[14:15]
	s_waitcnt vmcnt(0)
	v_and_b32_e32 v30, 0xffff, v6
	v_lshlrev_b64 v[6:7], s12, v[30:31]
	s_add_u32 s12, s12, 8
	s_addc_u32 s13, s13, 0
	s_add_u32 s14, s14, 1
	s_addc_u32 s15, s15, 0
	v_or_b32_e32 v2, v6, v2
	s_cmp_lg_u32 s0, s12
	v_or_b32_e32 v3, v7, v3
	s_cbranch_scc1 .LBB3_31
	s_branch .LBB3_34
.LBB3_32:                               ;   in Loop: Header=BB3_28 Depth=1
	s_mov_b32 s16, 0
	s_branch .LBB3_35
.LBB3_33:                               ;   in Loop: Header=BB3_28 Depth=1
	v_mov_b64_e32 v[2:3], 0
.LBB3_34:                               ;   in Loop: Header=BB3_28 Depth=1
	s_mov_b64 s[0:1], s[4:5]
	s_mov_b32 s16, 0
	s_cbranch_execnz .LBB3_36
.LBB3_35:                               ;   in Loop: Header=BB3_28 Depth=1
	global_load_dwordx2 v[2:3], v31, s[4:5]
	s_add_i32 s16, s10, -8
.LBB3_36:                               ;   in Loop: Header=BB3_28 Depth=1
	s_add_u32 s12, s0, 8
	s_addc_u32 s13, s1, 0
	s_cmp_gt_u32 s16, 7
	s_cbranch_scc1 .LBB3_40
; %bb.37:                               ;   in Loop: Header=BB3_28 Depth=1
	s_cmp_eq_u32 s16, 0
	s_cbranch_scc1 .LBB3_41
; %bb.38:                               ;   in Loop: Header=BB3_28 Depth=1
	s_mov_b64 s[12:13], 0
	v_mov_b64_e32 v[10:11], 0
	s_mov_b64 s[14:15], 0
.LBB3_39:                               ;   Parent Loop BB3_28 Depth=1
                                        ; =>  This Inner Loop Header: Depth=2
	s_add_u32 s18, s0, s14
	s_addc_u32 s19, s1, s15
	global_load_ubyte v6, v31, s[18:19]
	s_add_u32 s14, s14, 1
	s_addc_u32 s15, s15, 0
	s_waitcnt vmcnt(0)
	v_and_b32_e32 v30, 0xffff, v6
	v_lshlrev_b64 v[6:7], s12, v[30:31]
	s_add_u32 s12, s12, 8
	s_addc_u32 s13, s13, 0
	v_or_b32_e32 v10, v6, v10
	s_cmp_lg_u32 s16, s14
	v_or_b32_e32 v11, v7, v11
	s_cbranch_scc1 .LBB3_39
	s_branch .LBB3_42
.LBB3_40:                               ;   in Loop: Header=BB3_28 Depth=1
                                        ; implicit-def: $vgpr10_vgpr11
	s_mov_b32 s17, 0
	s_branch .LBB3_43
.LBB3_41:                               ;   in Loop: Header=BB3_28 Depth=1
	v_mov_b64_e32 v[10:11], 0
.LBB3_42:                               ;   in Loop: Header=BB3_28 Depth=1
	s_mov_b64 s[12:13], s[0:1]
	s_mov_b32 s17, 0
	s_cbranch_execnz .LBB3_44
.LBB3_43:                               ;   in Loop: Header=BB3_28 Depth=1
	global_load_dwordx2 v[10:11], v31, s[0:1]
	s_add_i32 s17, s16, -8
.LBB3_44:                               ;   in Loop: Header=BB3_28 Depth=1
	s_add_u32 s0, s12, 8
	s_addc_u32 s1, s13, 0
	s_cmp_gt_u32 s17, 7
	s_cbranch_scc1 .LBB3_48
; %bb.45:                               ;   in Loop: Header=BB3_28 Depth=1
	s_cmp_eq_u32 s17, 0
	s_cbranch_scc1 .LBB3_49
; %bb.46:                               ;   in Loop: Header=BB3_28 Depth=1
	s_mov_b64 s[0:1], 0
	v_mov_b64_e32 v[12:13], 0
	s_mov_b64 s[14:15], 0
.LBB3_47:                               ;   Parent Loop BB3_28 Depth=1
                                        ; =>  This Inner Loop Header: Depth=2
	s_add_u32 s18, s12, s14
	s_addc_u32 s19, s13, s15
	global_load_ubyte v6, v31, s[18:19]
	s_add_u32 s14, s14, 1
	s_addc_u32 s15, s15, 0
	s_waitcnt vmcnt(0)
	v_and_b32_e32 v30, 0xffff, v6
	v_lshlrev_b64 v[6:7], s0, v[30:31]
	s_add_u32 s0, s0, 8
	s_addc_u32 s1, s1, 0
	v_or_b32_e32 v12, v6, v12
	s_cmp_lg_u32 s17, s14
	v_or_b32_e32 v13, v7, v13
	s_cbranch_scc1 .LBB3_47
	s_branch .LBB3_50
.LBB3_48:                               ;   in Loop: Header=BB3_28 Depth=1
	s_mov_b32 s16, 0
	s_branch .LBB3_51
.LBB3_49:                               ;   in Loop: Header=BB3_28 Depth=1
	v_mov_b64_e32 v[12:13], 0
.LBB3_50:                               ;   in Loop: Header=BB3_28 Depth=1
	s_mov_b64 s[0:1], s[12:13]
	s_mov_b32 s16, 0
	s_cbranch_execnz .LBB3_52
.LBB3_51:                               ;   in Loop: Header=BB3_28 Depth=1
	global_load_dwordx2 v[12:13], v31, s[12:13]
	s_add_i32 s16, s17, -8
.LBB3_52:                               ;   in Loop: Header=BB3_28 Depth=1
	s_add_u32 s12, s0, 8
	s_addc_u32 s13, s1, 0
	s_cmp_gt_u32 s16, 7
	s_cbranch_scc1 .LBB3_56
; %bb.53:                               ;   in Loop: Header=BB3_28 Depth=1
	s_cmp_eq_u32 s16, 0
	s_cbranch_scc1 .LBB3_57
; %bb.54:                               ;   in Loop: Header=BB3_28 Depth=1
	s_mov_b64 s[12:13], 0
	v_mov_b64_e32 v[14:15], 0
	s_mov_b64 s[14:15], 0
.LBB3_55:                               ;   Parent Loop BB3_28 Depth=1
                                        ; =>  This Inner Loop Header: Depth=2
	s_add_u32 s18, s0, s14
	s_addc_u32 s19, s1, s15
	global_load_ubyte v6, v31, s[18:19]
	s_add_u32 s14, s14, 1
	s_addc_u32 s15, s15, 0
	s_waitcnt vmcnt(0)
	v_and_b32_e32 v30, 0xffff, v6
	v_lshlrev_b64 v[6:7], s12, v[30:31]
	s_add_u32 s12, s12, 8
	s_addc_u32 s13, s13, 0
	v_or_b32_e32 v14, v6, v14
	s_cmp_lg_u32 s16, s14
	v_or_b32_e32 v15, v7, v15
	s_cbranch_scc1 .LBB3_55
	s_branch .LBB3_58
.LBB3_56:                               ;   in Loop: Header=BB3_28 Depth=1
                                        ; implicit-def: $vgpr14_vgpr15
	s_mov_b32 s17, 0
	s_branch .LBB3_59
.LBB3_57:                               ;   in Loop: Header=BB3_28 Depth=1
	v_mov_b64_e32 v[14:15], 0
.LBB3_58:                               ;   in Loop: Header=BB3_28 Depth=1
	s_mov_b64 s[12:13], s[0:1]
	s_mov_b32 s17, 0
	s_cbranch_execnz .LBB3_60
.LBB3_59:                               ;   in Loop: Header=BB3_28 Depth=1
	global_load_dwordx2 v[14:15], v31, s[0:1]
	s_add_i32 s17, s16, -8
.LBB3_60:                               ;   in Loop: Header=BB3_28 Depth=1
	s_add_u32 s0, s12, 8
	s_addc_u32 s1, s13, 0
	s_cmp_gt_u32 s17, 7
	s_cbranch_scc1 .LBB3_64
; %bb.61:                               ;   in Loop: Header=BB3_28 Depth=1
	s_cmp_eq_u32 s17, 0
	s_cbranch_scc1 .LBB3_65
; %bb.62:                               ;   in Loop: Header=BB3_28 Depth=1
	s_mov_b64 s[0:1], 0
	v_mov_b64_e32 v[16:17], 0
	s_mov_b64 s[14:15], 0
.LBB3_63:                               ;   Parent Loop BB3_28 Depth=1
                                        ; =>  This Inner Loop Header: Depth=2
	s_add_u32 s18, s12, s14
	s_addc_u32 s19, s13, s15
	global_load_ubyte v6, v31, s[18:19]
	s_add_u32 s14, s14, 1
	s_addc_u32 s15, s15, 0
	s_waitcnt vmcnt(0)
	v_and_b32_e32 v30, 0xffff, v6
	v_lshlrev_b64 v[6:7], s0, v[30:31]
	s_add_u32 s0, s0, 8
	s_addc_u32 s1, s1, 0
	v_or_b32_e32 v16, v6, v16
	s_cmp_lg_u32 s17, s14
	v_or_b32_e32 v17, v7, v17
	s_cbranch_scc1 .LBB3_63
	s_branch .LBB3_66
.LBB3_64:                               ;   in Loop: Header=BB3_28 Depth=1
	s_mov_b32 s16, 0
	s_branch .LBB3_67
.LBB3_65:                               ;   in Loop: Header=BB3_28 Depth=1
	v_mov_b64_e32 v[16:17], 0
.LBB3_66:                               ;   in Loop: Header=BB3_28 Depth=1
	s_mov_b64 s[0:1], s[12:13]
	s_mov_b32 s16, 0
	s_cbranch_execnz .LBB3_68
.LBB3_67:                               ;   in Loop: Header=BB3_28 Depth=1
	global_load_dwordx2 v[16:17], v31, s[12:13]
	s_add_i32 s16, s17, -8
.LBB3_68:                               ;   in Loop: Header=BB3_28 Depth=1
	s_add_u32 s12, s0, 8
	s_addc_u32 s13, s1, 0
	s_cmp_gt_u32 s16, 7
	s_cbranch_scc1 .LBB3_72
; %bb.69:                               ;   in Loop: Header=BB3_28 Depth=1
	s_cmp_eq_u32 s16, 0
	s_cbranch_scc1 .LBB3_73
; %bb.70:                               ;   in Loop: Header=BB3_28 Depth=1
	s_mov_b64 s[12:13], 0
	v_mov_b64_e32 v[18:19], 0
	s_mov_b64 s[14:15], 0
.LBB3_71:                               ;   Parent Loop BB3_28 Depth=1
                                        ; =>  This Inner Loop Header: Depth=2
	s_add_u32 s18, s0, s14
	s_addc_u32 s19, s1, s15
	global_load_ubyte v6, v31, s[18:19]
	s_add_u32 s14, s14, 1
	s_addc_u32 s15, s15, 0
	s_waitcnt vmcnt(0)
	v_and_b32_e32 v30, 0xffff, v6
	v_lshlrev_b64 v[6:7], s12, v[30:31]
	s_add_u32 s12, s12, 8
	s_addc_u32 s13, s13, 0
	v_or_b32_e32 v18, v6, v18
	s_cmp_lg_u32 s16, s14
	v_or_b32_e32 v19, v7, v19
	s_cbranch_scc1 .LBB3_71
	s_branch .LBB3_74
.LBB3_72:                               ;   in Loop: Header=BB3_28 Depth=1
                                        ; implicit-def: $vgpr18_vgpr19
	s_mov_b32 s17, 0
	s_branch .LBB3_75
.LBB3_73:                               ;   in Loop: Header=BB3_28 Depth=1
	v_mov_b64_e32 v[18:19], 0
.LBB3_74:                               ;   in Loop: Header=BB3_28 Depth=1
	s_mov_b64 s[12:13], s[0:1]
	s_mov_b32 s17, 0
	s_cbranch_execnz .LBB3_76
.LBB3_75:                               ;   in Loop: Header=BB3_28 Depth=1
	global_load_dwordx2 v[18:19], v31, s[0:1]
	s_add_i32 s17, s16, -8
.LBB3_76:                               ;   in Loop: Header=BB3_28 Depth=1
	s_cmp_gt_u32 s17, 7
	s_cbranch_scc1 .LBB3_80
; %bb.77:                               ;   in Loop: Header=BB3_28 Depth=1
	s_cmp_eq_u32 s17, 0
	s_cbranch_scc1 .LBB3_81
; %bb.78:                               ;   in Loop: Header=BB3_28 Depth=1
	s_mov_b64 s[0:1], 0
	v_mov_b64_e32 v[20:21], 0
	s_mov_b64 s[14:15], s[12:13]
.LBB3_79:                               ;   Parent Loop BB3_28 Depth=1
                                        ; =>  This Inner Loop Header: Depth=2
	global_load_ubyte v6, v31, s[14:15]
	s_add_i32 s17, s17, -1
	s_waitcnt vmcnt(0)
	v_and_b32_e32 v30, 0xffff, v6
	v_lshlrev_b64 v[6:7], s0, v[30:31]
	s_add_u32 s0, s0, 8
	s_addc_u32 s1, s1, 0
	s_add_u32 s14, s14, 1
	s_addc_u32 s15, s15, 0
	v_or_b32_e32 v20, v6, v20
	s_cmp_lg_u32 s17, 0
	v_or_b32_e32 v21, v7, v21
	s_cbranch_scc1 .LBB3_79
	s_branch .LBB3_82
.LBB3_80:                               ;   in Loop: Header=BB3_28 Depth=1
	s_branch .LBB3_83
.LBB3_81:                               ;   in Loop: Header=BB3_28 Depth=1
	v_mov_b64_e32 v[20:21], 0
.LBB3_82:                               ;   in Loop: Header=BB3_28 Depth=1
	s_cbranch_execnz .LBB3_84
.LBB3_83:                               ;   in Loop: Header=BB3_28 Depth=1
	global_load_dwordx2 v[20:21], v31, s[12:13]
.LBB3_84:                               ;   in Loop: Header=BB3_28 Depth=1
	v_readfirstlane_b32 s0, v29
	v_mov_b64_e32 v[6:7], 0
	s_nop 0
	v_cmp_eq_u32_e64 s[0:1], s0, v29
	s_and_saveexec_b64 s[12:13], s[0:1]
	s_cbranch_execz .LBB3_90
; %bb.85:                               ;   in Loop: Header=BB3_28 Depth=1
	global_load_dwordx2 v[24:25], v31, s[2:3] offset:24 sc0 sc1
	s_waitcnt vmcnt(0)
	buffer_inv sc0 sc1
	global_load_dwordx2 v[6:7], v31, s[2:3] offset:40
	global_load_dwordx2 v[22:23], v31, s[2:3]
	s_waitcnt vmcnt(1)
	v_and_b32_e32 v6, v6, v24
	v_and_b32_e32 v7, v7, v25
	v_mul_lo_u32 v7, v7, 24
	v_mul_hi_u32 v27, v6, 24
	v_add_u32_e32 v7, v27, v7
	v_mul_lo_u32 v6, v6, 24
	s_waitcnt vmcnt(0)
	v_lshl_add_u64 v[6:7], v[22:23], 0, v[6:7]
	global_load_dwordx2 v[22:23], v[6:7], off sc0 sc1
	s_waitcnt vmcnt(0)
	global_atomic_cmpswap_x2 v[6:7], v31, v[22:25], s[2:3] offset:24 sc0 sc1
	s_waitcnt vmcnt(0)
	buffer_inv sc0 sc1
	v_cmp_ne_u64_e32 vcc, v[6:7], v[24:25]
	s_and_saveexec_b64 s[14:15], vcc
	s_cbranch_execz .LBB3_89
; %bb.86:                               ;   in Loop: Header=BB3_28 Depth=1
	s_mov_b64 s[16:17], 0
.LBB3_87:                               ;   Parent Loop BB3_28 Depth=1
                                        ; =>  This Inner Loop Header: Depth=2
	s_sleep 1
	global_load_dwordx2 v[22:23], v31, s[2:3] offset:40
	global_load_dwordx2 v[32:33], v31, s[2:3]
	v_mov_b64_e32 v[24:25], v[6:7]
	s_waitcnt vmcnt(1)
	v_and_b32_e32 v6, v22, v24
	s_waitcnt vmcnt(0)
	v_mad_u64_u32 v[6:7], s[18:19], v6, 24, v[32:33]
	v_and_b32_e32 v23, v23, v25
	v_mov_b32_e32 v22, v7
	v_mad_u64_u32 v[22:23], s[18:19], v23, 24, v[22:23]
	v_mov_b32_e32 v7, v22
	global_load_dwordx2 v[22:23], v[6:7], off sc0 sc1
	s_waitcnt vmcnt(0)
	global_atomic_cmpswap_x2 v[6:7], v31, v[22:25], s[2:3] offset:24 sc0 sc1
	s_waitcnt vmcnt(0)
	buffer_inv sc0 sc1
	v_cmp_eq_u64_e32 vcc, v[6:7], v[24:25]
	s_or_b64 s[16:17], vcc, s[16:17]
	s_andn2_b64 exec, exec, s[16:17]
	s_cbranch_execnz .LBB3_87
; %bb.88:                               ;   in Loop: Header=BB3_28 Depth=1
	s_or_b64 exec, exec, s[16:17]
.LBB3_89:                               ;   in Loop: Header=BB3_28 Depth=1
	s_or_b64 exec, exec, s[14:15]
.LBB3_90:                               ;   in Loop: Header=BB3_28 Depth=1
	s_or_b64 exec, exec, s[12:13]
	global_load_dwordx2 v[32:33], v31, s[2:3] offset:40
	global_load_dwordx4 v[22:25], v31, s[2:3]
	v_readfirstlane_b32 s13, v7
	v_readfirstlane_b32 s12, v6
	s_mov_b64 s[14:15], exec
	s_waitcnt vmcnt(1)
	v_readfirstlane_b32 s16, v32
	v_readfirstlane_b32 s17, v33
	s_and_b64 s[16:17], s[16:17], s[12:13]
	s_mul_i32 s18, s17, 24
	s_mul_hi_u32 s19, s16, 24
	s_add_i32 s19, s19, s18
	s_mul_i32 s18, s16, 24
	s_waitcnt vmcnt(0)
	v_lshl_add_u64 v[32:33], v[22:23], 0, s[18:19]
	s_and_saveexec_b64 s[18:19], s[0:1]
	s_cbranch_execz .LBB3_92
; %bb.91:                               ;   in Loop: Header=BB3_28 Depth=1
	v_mov_b64_e32 v[6:7], s[14:15]
	global_store_dwordx4 v[32:33], v[6:9], off offset:8
.LBB3_92:                               ;   in Loop: Header=BB3_28 Depth=1
	s_or_b64 exec, exec, s[18:19]
	s_lshl_b64 s[14:15], s[16:17], 12
	v_lshl_add_u64 v[6:7], v[24:25], 0, s[14:15]
	v_cmp_lt_u64_e64 vcc, s[6:7], 57
	s_lshl_b32 s14, s10, 2
	s_add_i32 s14, s14, 28
	v_cndmask_b32_e32 v24, 0, v28, vcc
	v_and_b32_e32 v0, 0xffffff1f, v0
	s_and_b32 s14, s14, 0x1e0
	v_or_b32_e32 v0, v0, v24
	v_or_b32_e32 v0, s14, v0
	v_readfirstlane_b32 s14, v6
	v_readfirstlane_b32 s15, v7
	s_nop 4
	global_store_dwordx4 v26, v[0:3], s[14:15]
	global_store_dwordx4 v26, v[10:13], s[14:15] offset:16
	global_store_dwordx4 v26, v[14:17], s[14:15] offset:32
	;; [unrolled: 1-line block ×3, first 2 shown]
	s_and_saveexec_b64 s[14:15], s[0:1]
	s_cbranch_execz .LBB3_100
; %bb.93:                               ;   in Loop: Header=BB3_28 Depth=1
	global_load_dwordx2 v[14:15], v31, s[2:3] offset:32 sc0 sc1
	global_load_dwordx2 v[0:1], v31, s[2:3] offset:40
	v_mov_b32_e32 v12, s12
	v_mov_b32_e32 v13, s13
	s_waitcnt vmcnt(0)
	v_readfirstlane_b32 s16, v0
	v_readfirstlane_b32 s17, v1
	s_and_b64 s[16:17], s[16:17], s[12:13]
	s_mul_i32 s17, s17, 24
	s_mul_hi_u32 s18, s16, 24
	s_mul_i32 s16, s16, 24
	s_add_i32 s17, s18, s17
	v_lshl_add_u64 v[10:11], v[22:23], 0, s[16:17]
	global_store_dwordx2 v[10:11], v[14:15], off
	buffer_wbl2 sc0 sc1
	s_waitcnt vmcnt(0)
	global_atomic_cmpswap_x2 v[2:3], v31, v[12:15], s[2:3] offset:32 sc0 sc1
	s_waitcnt vmcnt(0)
	v_cmp_ne_u64_e32 vcc, v[2:3], v[14:15]
	s_and_saveexec_b64 s[16:17], vcc
	s_cbranch_execz .LBB3_96
; %bb.94:                               ;   in Loop: Header=BB3_28 Depth=1
	s_mov_b64 s[18:19], 0
.LBB3_95:                               ;   Parent Loop BB3_28 Depth=1
                                        ; =>  This Inner Loop Header: Depth=2
	s_sleep 1
	global_store_dwordx2 v[10:11], v[2:3], off
	v_mov_b32_e32 v0, s12
	v_mov_b32_e32 v1, s13
	buffer_wbl2 sc0 sc1
	s_waitcnt vmcnt(0)
	global_atomic_cmpswap_x2 v[0:1], v31, v[0:3], s[2:3] offset:32 sc0 sc1
	s_waitcnt vmcnt(0)
	v_cmp_eq_u64_e32 vcc, v[0:1], v[2:3]
	s_or_b64 s[18:19], vcc, s[18:19]
	v_mov_b64_e32 v[2:3], v[0:1]
	s_andn2_b64 exec, exec, s[18:19]
	s_cbranch_execnz .LBB3_95
.LBB3_96:                               ;   in Loop: Header=BB3_28 Depth=1
	s_or_b64 exec, exec, s[16:17]
	global_load_dwordx2 v[0:1], v31, s[2:3] offset:16
	s_mov_b64 s[18:19], exec
	v_mbcnt_lo_u32_b32 v2, s18, 0
	v_mbcnt_hi_u32_b32 v2, s19, v2
	v_cmp_eq_u32_e32 vcc, 0, v2
	s_and_saveexec_b64 s[16:17], vcc
	s_cbranch_execz .LBB3_98
; %bb.97:                               ;   in Loop: Header=BB3_28 Depth=1
	s_bcnt1_i32_b64 s18, s[18:19]
	v_mov_b32_e32 v30, s18
	buffer_wbl2 sc0 sc1
	s_waitcnt vmcnt(0)
	global_atomic_add_x2 v[0:1], v[30:31], off offset:8 sc1
.LBB3_98:                               ;   in Loop: Header=BB3_28 Depth=1
	s_or_b64 exec, exec, s[16:17]
	s_waitcnt vmcnt(0)
	global_load_dwordx2 v[2:3], v[0:1], off offset:16
	s_waitcnt vmcnt(0)
	v_cmp_eq_u64_e32 vcc, 0, v[2:3]
	s_cbranch_vccnz .LBB3_100
; %bb.99:                               ;   in Loop: Header=BB3_28 Depth=1
	global_load_dword v30, v[0:1], off offset:24
	s_waitcnt vmcnt(0)
	v_readfirstlane_b32 s16, v30
	s_and_b32 m0, s16, 0xffffff
	buffer_wbl2 sc0 sc1
	global_store_dwordx2 v[2:3], v[30:31], off sc0 sc1
	s_sendmsg sendmsg(MSG_INTERRUPT)
.LBB3_100:                              ;   in Loop: Header=BB3_28 Depth=1
	s_or_b64 exec, exec, s[14:15]
	v_mov_b32_e32 v27, v31
	v_lshl_add_u64 v[0:1], v[6:7], 0, v[26:27]
	s_branch .LBB3_104
.LBB3_101:                              ;   in Loop: Header=BB3_104 Depth=2
	s_or_b64 exec, exec, s[14:15]
	v_readfirstlane_b32 s14, v2
	s_cmp_eq_u32 s14, 0
	s_cbranch_scc1 .LBB3_103
; %bb.102:                              ;   in Loop: Header=BB3_104 Depth=2
	s_sleep 1
	s_cbranch_execnz .LBB3_104
	s_branch .LBB3_106
.LBB3_103:                              ;   in Loop: Header=BB3_28 Depth=1
	s_branch .LBB3_106
.LBB3_104:                              ;   Parent Loop BB3_28 Depth=1
                                        ; =>  This Inner Loop Header: Depth=2
	v_mov_b32_e32 v2, 1
	s_and_saveexec_b64 s[14:15], s[0:1]
	s_cbranch_execz .LBB3_101
; %bb.105:                              ;   in Loop: Header=BB3_104 Depth=2
	global_load_dword v2, v[32:33], off offset:20 sc0 sc1
	s_waitcnt vmcnt(0)
	buffer_inv sc0 sc1
	v_and_b32_e32 v2, 1, v2
	s_branch .LBB3_101
.LBB3_106:                              ;   in Loop: Header=BB3_28 Depth=1
	global_load_dwordx2 v[0:1], v[0:1], off
	s_and_saveexec_b64 s[14:15], s[0:1]
	s_cbranch_execz .LBB3_27
; %bb.107:                              ;   in Loop: Header=BB3_28 Depth=1
	global_load_dwordx2 v[2:3], v31, s[2:3] offset:40
	global_load_dwordx2 v[14:15], v31, s[2:3] offset:24 sc0 sc1
	global_load_dwordx2 v[6:7], v31, s[2:3]
	s_waitcnt vmcnt(2)
	v_readfirstlane_b32 s16, v2
	v_readfirstlane_b32 s17, v3
	s_add_u32 s18, s16, 1
	s_addc_u32 s19, s17, 0
	s_add_u32 s0, s18, s12
	s_addc_u32 s1, s19, s13
	s_cmp_eq_u64 s[0:1], 0
	s_cselect_b32 s1, s19, s1
	s_cselect_b32 s0, s18, s0
	s_and_b64 s[12:13], s[0:1], s[16:17]
	s_mul_i32 s13, s13, 24
	s_mul_hi_u32 s16, s12, 24
	s_mul_i32 s12, s12, 24
	s_add_i32 s13, s16, s13
	s_waitcnt vmcnt(0)
	v_lshl_add_u64 v[2:3], v[6:7], 0, s[12:13]
	v_mov_b32_e32 v12, s0
	global_store_dwordx2 v[2:3], v[14:15], off
	v_mov_b32_e32 v13, s1
	buffer_wbl2 sc0 sc1
	s_waitcnt vmcnt(0)
	global_atomic_cmpswap_x2 v[12:13], v31, v[12:15], s[2:3] offset:24 sc0 sc1
	s_waitcnt vmcnt(0)
	v_cmp_ne_u64_e32 vcc, v[12:13], v[14:15]
	s_and_b64 exec, exec, vcc
	s_cbranch_execz .LBB3_27
; %bb.108:                              ;   in Loop: Header=BB3_28 Depth=1
	s_mov_b64 s[12:13], 0
.LBB3_109:                              ;   Parent Loop BB3_28 Depth=1
                                        ; =>  This Inner Loop Header: Depth=2
	s_sleep 1
	global_store_dwordx2 v[2:3], v[12:13], off
	v_mov_b32_e32 v10, s0
	v_mov_b32_e32 v11, s1
	buffer_wbl2 sc0 sc1
	s_waitcnt vmcnt(0)
	global_atomic_cmpswap_x2 v[6:7], v31, v[10:13], s[2:3] offset:24 sc0 sc1
	s_waitcnt vmcnt(0)
	v_cmp_eq_u64_e32 vcc, v[6:7], v[12:13]
	s_or_b64 s[12:13], vcc, s[12:13]
	v_mov_b64_e32 v[12:13], v[6:7]
	s_andn2_b64 exec, exec, s[12:13]
	s_cbranch_execnz .LBB3_109
	s_branch .LBB3_27
.LBB3_110:
                                        ; implicit-def: $vgpr0_vgpr1
	s_cbranch_execnz .LBB3_112
	s_branch .LBB3_138
.LBB3_111:
	s_branch .LBB3_138
.LBB3_112:
	v_readfirstlane_b32 s0, v29
	v_mov_b64_e32 v[6:7], 0
	s_nop 0
	v_cmp_eq_u32_e64 s[0:1], s0, v29
	s_and_saveexec_b64 s[4:5], s[0:1]
	s_cbranch_execz .LBB3_118
; %bb.113:
	s_waitcnt vmcnt(0)
	v_mov_b32_e32 v0, 0
	global_load_dwordx2 v[8:9], v0, s[2:3] offset:24 sc0 sc1
	s_waitcnt vmcnt(0)
	buffer_inv sc0 sc1
	global_load_dwordx2 v[2:3], v0, s[2:3] offset:40
	global_load_dwordx2 v[6:7], v0, s[2:3]
	s_waitcnt vmcnt(1)
	v_and_b32_e32 v1, v2, v8
	v_and_b32_e32 v2, v3, v9
	v_mul_lo_u32 v2, v2, 24
	v_mul_hi_u32 v3, v1, 24
	v_add_u32_e32 v3, v3, v2
	v_mul_lo_u32 v2, v1, 24
	s_waitcnt vmcnt(0)
	v_lshl_add_u64 v[2:3], v[6:7], 0, v[2:3]
	global_load_dwordx2 v[6:7], v[2:3], off sc0 sc1
	s_waitcnt vmcnt(0)
	global_atomic_cmpswap_x2 v[6:7], v0, v[6:9], s[2:3] offset:24 sc0 sc1
	s_waitcnt vmcnt(0)
	buffer_inv sc0 sc1
	v_cmp_ne_u64_e32 vcc, v[6:7], v[8:9]
	s_and_saveexec_b64 s[6:7], vcc
	s_cbranch_execz .LBB3_117
; %bb.114:
	s_mov_b64 s[10:11], 0
.LBB3_115:                              ; =>This Inner Loop Header: Depth=1
	s_sleep 1
	global_load_dwordx2 v[2:3], v0, s[2:3] offset:40
	global_load_dwordx2 v[10:11], v0, s[2:3]
	v_mov_b64_e32 v[8:9], v[6:7]
	s_waitcnt vmcnt(1)
	v_and_b32_e32 v2, v2, v8
	v_and_b32_e32 v1, v3, v9
	s_waitcnt vmcnt(0)
	v_mad_u64_u32 v[2:3], s[12:13], v2, 24, v[10:11]
	v_mov_b32_e32 v6, v3
	v_mad_u64_u32 v[6:7], s[12:13], v1, 24, v[6:7]
	v_mov_b32_e32 v3, v6
	global_load_dwordx2 v[6:7], v[2:3], off sc0 sc1
	s_waitcnt vmcnt(0)
	global_atomic_cmpswap_x2 v[6:7], v0, v[6:9], s[2:3] offset:24 sc0 sc1
	s_waitcnt vmcnt(0)
	buffer_inv sc0 sc1
	v_cmp_eq_u64_e32 vcc, v[6:7], v[8:9]
	s_or_b64 s[10:11], vcc, s[10:11]
	s_andn2_b64 exec, exec, s[10:11]
	s_cbranch_execnz .LBB3_115
; %bb.116:
	s_or_b64 exec, exec, s[10:11]
.LBB3_117:
	s_or_b64 exec, exec, s[6:7]
.LBB3_118:
	s_or_b64 exec, exec, s[4:5]
	v_mov_b32_e32 v27, 0
	global_load_dwordx2 v[8:9], v27, s[2:3] offset:40
	global_load_dwordx4 v[0:3], v27, s[2:3]
	v_readfirstlane_b32 s5, v7
	v_readfirstlane_b32 s4, v6
	s_mov_b64 s[6:7], exec
	s_waitcnt vmcnt(1)
	v_readfirstlane_b32 s10, v8
	v_readfirstlane_b32 s11, v9
	s_and_b64 s[10:11], s[10:11], s[4:5]
	s_mul_i32 s12, s11, 24
	s_mul_hi_u32 s13, s10, 24
	s_add_i32 s13, s13, s12
	s_mul_i32 s12, s10, 24
	s_waitcnt vmcnt(0)
	v_lshl_add_u64 v[8:9], v[0:1], 0, s[12:13]
	s_and_saveexec_b64 s[12:13], s[0:1]
	s_cbranch_execz .LBB3_120
; %bb.119:
	v_mov_b64_e32 v[10:11], s[6:7]
	v_mov_b32_e32 v12, 2
	v_mov_b32_e32 v13, 1
	global_store_dwordx4 v[8:9], v[10:13], off offset:8
.LBB3_120:
	s_or_b64 exec, exec, s[12:13]
	s_lshl_b64 s[6:7], s[10:11], 12
	v_lshl_add_u64 v[10:11], v[2:3], 0, s[6:7]
	s_movk_i32 s6, 0xff1f
	s_mov_b32 s12, 0
	v_and_or_b32 v4, v4, s6, 32
	v_mov_b32_e32 v6, v27
	v_mov_b32_e32 v7, v27
	v_readfirstlane_b32 s6, v10
	v_readfirstlane_b32 s7, v11
	s_mov_b32 s13, s12
	s_mov_b32 s14, s12
	;; [unrolled: 1-line block ×3, first 2 shown]
	s_nop 1
	global_store_dwordx4 v26, v[4:7], s[6:7]
	v_mov_b64_e32 v[2:3], s[12:13]
	s_nop 0
	v_mov_b64_e32 v[4:5], s[14:15]
	global_store_dwordx4 v26, v[2:5], s[6:7] offset:16
	global_store_dwordx4 v26, v[2:5], s[6:7] offset:32
	;; [unrolled: 1-line block ×3, first 2 shown]
	s_and_saveexec_b64 s[6:7], s[0:1]
	s_cbranch_execz .LBB3_128
; %bb.121:
	v_mov_b32_e32 v6, 0
	global_load_dwordx2 v[14:15], v6, s[2:3] offset:32 sc0 sc1
	global_load_dwordx2 v[2:3], v6, s[2:3] offset:40
	v_mov_b32_e32 v12, s4
	v_mov_b32_e32 v13, s5
	s_waitcnt vmcnt(0)
	v_readfirstlane_b32 s10, v2
	v_readfirstlane_b32 s11, v3
	s_and_b64 s[10:11], s[10:11], s[4:5]
	s_mul_i32 s11, s11, 24
	s_mul_hi_u32 s12, s10, 24
	s_mul_i32 s10, s10, 24
	s_add_i32 s11, s12, s11
	v_lshl_add_u64 v[4:5], v[0:1], 0, s[10:11]
	global_store_dwordx2 v[4:5], v[14:15], off
	buffer_wbl2 sc0 sc1
	s_waitcnt vmcnt(0)
	global_atomic_cmpswap_x2 v[2:3], v6, v[12:15], s[2:3] offset:32 sc0 sc1
	s_waitcnt vmcnt(0)
	v_cmp_ne_u64_e32 vcc, v[2:3], v[14:15]
	s_and_saveexec_b64 s[10:11], vcc
	s_cbranch_execz .LBB3_124
; %bb.122:
	s_mov_b64 s[12:13], 0
.LBB3_123:                              ; =>This Inner Loop Header: Depth=1
	s_sleep 1
	global_store_dwordx2 v[4:5], v[2:3], off
	v_mov_b32_e32 v0, s4
	v_mov_b32_e32 v1, s5
	buffer_wbl2 sc0 sc1
	s_waitcnt vmcnt(0)
	global_atomic_cmpswap_x2 v[0:1], v6, v[0:3], s[2:3] offset:32 sc0 sc1
	s_waitcnt vmcnt(0)
	v_cmp_eq_u64_e32 vcc, v[0:1], v[2:3]
	s_or_b64 s[12:13], vcc, s[12:13]
	v_mov_b64_e32 v[2:3], v[0:1]
	s_andn2_b64 exec, exec, s[12:13]
	s_cbranch_execnz .LBB3_123
.LBB3_124:
	s_or_b64 exec, exec, s[10:11]
	v_mov_b32_e32 v3, 0
	global_load_dwordx2 v[0:1], v3, s[2:3] offset:16
	s_mov_b64 s[10:11], exec
	v_mbcnt_lo_u32_b32 v2, s10, 0
	v_mbcnt_hi_u32_b32 v2, s11, v2
	v_cmp_eq_u32_e32 vcc, 0, v2
	s_and_saveexec_b64 s[12:13], vcc
	s_cbranch_execz .LBB3_126
; %bb.125:
	s_bcnt1_i32_b64 s10, s[10:11]
	v_mov_b32_e32 v2, s10
	buffer_wbl2 sc0 sc1
	s_waitcnt vmcnt(0)
	global_atomic_add_x2 v[0:1], v[2:3], off offset:8 sc1
.LBB3_126:
	s_or_b64 exec, exec, s[12:13]
	s_waitcnt vmcnt(0)
	global_load_dwordx2 v[2:3], v[0:1], off offset:16
	s_waitcnt vmcnt(0)
	v_cmp_eq_u64_e32 vcc, 0, v[2:3]
	s_cbranch_vccnz .LBB3_128
; %bb.127:
	global_load_dword v0, v[0:1], off offset:24
	v_mov_b32_e32 v1, 0
	s_waitcnt vmcnt(0)
	v_readfirstlane_b32 s10, v0
	s_and_b32 m0, s10, 0xffffff
	buffer_wbl2 sc0 sc1
	global_store_dwordx2 v[2:3], v[0:1], off sc0 sc1
	s_sendmsg sendmsg(MSG_INTERRUPT)
.LBB3_128:
	s_or_b64 exec, exec, s[6:7]
	v_lshl_add_u64 v[0:1], v[10:11], 0, v[26:27]
	s_branch .LBB3_132
.LBB3_129:                              ;   in Loop: Header=BB3_132 Depth=1
	s_or_b64 exec, exec, s[6:7]
	v_readfirstlane_b32 s6, v2
	s_cmp_eq_u32 s6, 0
	s_cbranch_scc1 .LBB3_131
; %bb.130:                              ;   in Loop: Header=BB3_132 Depth=1
	s_sleep 1
	s_cbranch_execnz .LBB3_132
	s_branch .LBB3_134
.LBB3_131:
	s_branch .LBB3_134
.LBB3_132:                              ; =>This Inner Loop Header: Depth=1
	v_mov_b32_e32 v2, 1
	s_and_saveexec_b64 s[6:7], s[0:1]
	s_cbranch_execz .LBB3_129
; %bb.133:                              ;   in Loop: Header=BB3_132 Depth=1
	global_load_dword v2, v[8:9], off offset:20 sc0 sc1
	s_waitcnt vmcnt(0)
	buffer_inv sc0 sc1
	v_and_b32_e32 v2, 1, v2
	s_branch .LBB3_129
.LBB3_134:
	global_load_dwordx2 v[0:1], v[0:1], off
	s_and_saveexec_b64 s[6:7], s[0:1]
	s_cbranch_execz .LBB3_137
; %bb.135:
	v_mov_b32_e32 v8, 0
	global_load_dwordx2 v[2:3], v8, s[2:3] offset:40
	global_load_dwordx2 v[12:13], v8, s[2:3] offset:24 sc0 sc1
	global_load_dwordx2 v[4:5], v8, s[2:3]
	s_waitcnt vmcnt(2)
	v_readfirstlane_b32 s10, v2
	v_readfirstlane_b32 s11, v3
	s_add_u32 s12, s10, 1
	s_addc_u32 s13, s11, 0
	s_add_u32 s0, s12, s4
	s_addc_u32 s1, s13, s5
	s_cmp_eq_u64 s[0:1], 0
	s_cselect_b32 s1, s13, s1
	s_cselect_b32 s0, s12, s0
	s_and_b64 s[4:5], s[0:1], s[10:11]
	s_mul_i32 s5, s5, 24
	s_mul_hi_u32 s10, s4, 24
	s_mul_i32 s4, s4, 24
	s_add_i32 s5, s10, s5
	s_waitcnt vmcnt(0)
	v_lshl_add_u64 v[6:7], v[4:5], 0, s[4:5]
	v_mov_b32_e32 v10, s0
	global_store_dwordx2 v[6:7], v[12:13], off
	v_mov_b32_e32 v11, s1
	buffer_wbl2 sc0 sc1
	s_waitcnt vmcnt(0)
	global_atomic_cmpswap_x2 v[4:5], v8, v[10:13], s[2:3] offset:24 sc0 sc1
	s_mov_b64 s[4:5], 0
	s_waitcnt vmcnt(0)
	v_cmp_ne_u64_e32 vcc, v[4:5], v[12:13]
	s_and_b64 exec, exec, vcc
	s_cbranch_execz .LBB3_137
.LBB3_136:                              ; =>This Inner Loop Header: Depth=1
	s_sleep 1
	global_store_dwordx2 v[6:7], v[4:5], off
	v_mov_b32_e32 v2, s0
	v_mov_b32_e32 v3, s1
	buffer_wbl2 sc0 sc1
	s_waitcnt vmcnt(0)
	global_atomic_cmpswap_x2 v[2:3], v8, v[2:5], s[2:3] offset:24 sc0 sc1
	s_waitcnt vmcnt(0)
	v_cmp_eq_u64_e32 vcc, v[2:3], v[4:5]
	s_or_b64 s[4:5], vcc, s[4:5]
	v_mov_b64_e32 v[4:5], v[2:3]
	s_andn2_b64 exec, exec, s[4:5]
	s_cbranch_execnz .LBB3_136
.LBB3_137:
	s_or_b64 exec, exec, s[6:7]
.LBB3_138:
	s_getpc_b64 s[4:5]
	s_add_u32 s4, s4, .str.3@rel32@lo+4
	s_addc_u32 s5, s5, .str.3@rel32@hi+12
	s_cmp_lg_u64 s[4:5], 0
	s_cselect_b64 s[0:1], -1, 0
	s_cmp_eq_u64 s[4:5], 0
	s_mov_b64 s[4:5], 0
	s_cbranch_scc1 .LBB3_142
; %bb.139:
	v_mov_b32_e32 v2, 0
	s_getpc_b64 s[4:5]
	s_add_u32 s4, s4, .str.3@rel32@lo+3
	s_addc_u32 s5, s5, .str.3@rel32@hi+11
.LBB3_140:                              ; =>This Inner Loop Header: Depth=1
	global_load_ubyte v3, v2, s[4:5] offset:1
	s_add_u32 s6, s4, 1
	s_addc_u32 s7, s5, 0
	s_mov_b64 s[4:5], s[6:7]
	s_waitcnt vmcnt(0)
	v_cmp_ne_u32_e32 vcc, 0, v3
	s_cbranch_vccnz .LBB3_140
; %bb.141:
	s_getpc_b64 s[4:5]
	s_add_u32 s4, s4, .str.3@rel32@lo+4
	s_addc_u32 s5, s5, .str.3@rel32@hi+12
	s_sub_u32 s4, s6, s4
	s_subb_u32 s5, s7, s5
	s_add_u32 s4, s4, 1
	s_addc_u32 s5, s5, 0
.LBB3_142:
	s_and_b64 vcc, exec, s[0:1]
	s_cbranch_vccz .LBB3_227
; %bb.143:
	s_waitcnt vmcnt(0)
	v_and_b32_e32 v28, 2, v0
	v_mov_b32_e32 v31, 0
	v_and_b32_e32 v2, -3, v0
	v_mov_b32_e32 v3, v1
	v_mov_b32_e32 v8, 2
	;; [unrolled: 1-line block ×3, first 2 shown]
	s_getpc_b64 s[6:7]
	s_add_u32 s6, s6, .str.3@rel32@lo+4
	s_addc_u32 s7, s7, .str.3@rel32@hi+12
	s_branch .LBB3_145
.LBB3_144:                              ;   in Loop: Header=BB3_145 Depth=1
	s_or_b64 exec, exec, s[14:15]
	s_sub_u32 s4, s4, s10
	s_subb_u32 s5, s5, s11
	s_add_u32 s6, s6, s10
	s_addc_u32 s7, s7, s11
	s_cmp_lg_u64 s[4:5], 0
	s_cbranch_scc0 .LBB3_228
.LBB3_145:                              ; =>This Loop Header: Depth=1
                                        ;     Child Loop BB3_148 Depth 2
                                        ;     Child Loop BB3_156 Depth 2
	;; [unrolled: 1-line block ×11, first 2 shown]
	v_cmp_lt_u64_e64 s[0:1], s[4:5], 56
	s_and_b64 s[0:1], s[0:1], exec
	s_cselect_b32 s11, s5, 0
	s_cselect_b32 s10, s4, 56
	v_cmp_gt_u64_e64 s[12:13], s[4:5], 7
	s_add_u32 s0, s6, 8
	s_addc_u32 s1, s7, 0
	s_and_b64 vcc, exec, s[12:13]
	s_cbranch_vccnz .LBB3_149
; %bb.146:                              ;   in Loop: Header=BB3_145 Depth=1
	s_cmp_eq_u64 s[4:5], 0
	s_cbranch_scc1 .LBB3_150
; %bb.147:                              ;   in Loop: Header=BB3_145 Depth=1
	s_lshl_b64 s[0:1], s[10:11], 3
	s_mov_b64 s[12:13], 0
	v_mov_b64_e32 v[4:5], 0
	s_mov_b64 s[14:15], s[6:7]
.LBB3_148:                              ;   Parent Loop BB3_145 Depth=1
                                        ; =>  This Inner Loop Header: Depth=2
	global_load_ubyte v6, v31, s[14:15]
	s_waitcnt vmcnt(0)
	v_and_b32_e32 v30, 0xffff, v6
	v_lshlrev_b64 v[6:7], s12, v[30:31]
	s_add_u32 s12, s12, 8
	s_addc_u32 s13, s13, 0
	s_add_u32 s14, s14, 1
	s_addc_u32 s15, s15, 0
	v_or_b32_e32 v4, v6, v4
	s_cmp_lg_u32 s0, s12
	v_or_b32_e32 v5, v7, v5
	s_cbranch_scc1 .LBB3_148
	s_branch .LBB3_151
.LBB3_149:                              ;   in Loop: Header=BB3_145 Depth=1
	s_mov_b32 s16, 0
	s_branch .LBB3_152
.LBB3_150:                              ;   in Loop: Header=BB3_145 Depth=1
	v_mov_b64_e32 v[4:5], 0
.LBB3_151:                              ;   in Loop: Header=BB3_145 Depth=1
	s_mov_b64 s[0:1], s[6:7]
	s_mov_b32 s16, 0
	s_cbranch_execnz .LBB3_153
.LBB3_152:                              ;   in Loop: Header=BB3_145 Depth=1
	global_load_dwordx2 v[4:5], v31, s[6:7]
	s_add_i32 s16, s10, -8
.LBB3_153:                              ;   in Loop: Header=BB3_145 Depth=1
	s_add_u32 s12, s0, 8
	s_addc_u32 s13, s1, 0
	s_cmp_gt_u32 s16, 7
	s_cbranch_scc1 .LBB3_157
; %bb.154:                              ;   in Loop: Header=BB3_145 Depth=1
	s_cmp_eq_u32 s16, 0
	s_cbranch_scc1 .LBB3_158
; %bb.155:                              ;   in Loop: Header=BB3_145 Depth=1
	s_mov_b64 s[12:13], 0
	v_mov_b64_e32 v[10:11], 0
	s_mov_b64 s[14:15], 0
.LBB3_156:                              ;   Parent Loop BB3_145 Depth=1
                                        ; =>  This Inner Loop Header: Depth=2
	s_add_u32 s18, s0, s14
	s_addc_u32 s19, s1, s15
	global_load_ubyte v6, v31, s[18:19]
	s_add_u32 s14, s14, 1
	s_addc_u32 s15, s15, 0
	s_waitcnt vmcnt(0)
	v_and_b32_e32 v30, 0xffff, v6
	v_lshlrev_b64 v[6:7], s12, v[30:31]
	s_add_u32 s12, s12, 8
	s_addc_u32 s13, s13, 0
	v_or_b32_e32 v10, v6, v10
	s_cmp_lg_u32 s16, s14
	v_or_b32_e32 v11, v7, v11
	s_cbranch_scc1 .LBB3_156
	s_branch .LBB3_159
.LBB3_157:                              ;   in Loop: Header=BB3_145 Depth=1
                                        ; implicit-def: $vgpr10_vgpr11
	s_mov_b32 s17, 0
	s_branch .LBB3_160
.LBB3_158:                              ;   in Loop: Header=BB3_145 Depth=1
	v_mov_b64_e32 v[10:11], 0
.LBB3_159:                              ;   in Loop: Header=BB3_145 Depth=1
	s_mov_b64 s[12:13], s[0:1]
	s_mov_b32 s17, 0
	s_cbranch_execnz .LBB3_161
.LBB3_160:                              ;   in Loop: Header=BB3_145 Depth=1
	global_load_dwordx2 v[10:11], v31, s[0:1]
	s_add_i32 s17, s16, -8
.LBB3_161:                              ;   in Loop: Header=BB3_145 Depth=1
	s_add_u32 s0, s12, 8
	s_addc_u32 s1, s13, 0
	s_cmp_gt_u32 s17, 7
	s_cbranch_scc1 .LBB3_165
; %bb.162:                              ;   in Loop: Header=BB3_145 Depth=1
	s_cmp_eq_u32 s17, 0
	s_cbranch_scc1 .LBB3_166
; %bb.163:                              ;   in Loop: Header=BB3_145 Depth=1
	s_mov_b64 s[0:1], 0
	v_mov_b64_e32 v[12:13], 0
	s_mov_b64 s[14:15], 0
.LBB3_164:                              ;   Parent Loop BB3_145 Depth=1
                                        ; =>  This Inner Loop Header: Depth=2
	s_add_u32 s18, s12, s14
	s_addc_u32 s19, s13, s15
	global_load_ubyte v6, v31, s[18:19]
	s_add_u32 s14, s14, 1
	s_addc_u32 s15, s15, 0
	s_waitcnt vmcnt(0)
	v_and_b32_e32 v30, 0xffff, v6
	v_lshlrev_b64 v[6:7], s0, v[30:31]
	s_add_u32 s0, s0, 8
	s_addc_u32 s1, s1, 0
	v_or_b32_e32 v12, v6, v12
	s_cmp_lg_u32 s17, s14
	v_or_b32_e32 v13, v7, v13
	s_cbranch_scc1 .LBB3_164
	s_branch .LBB3_167
.LBB3_165:                              ;   in Loop: Header=BB3_145 Depth=1
	s_mov_b32 s16, 0
	s_branch .LBB3_168
.LBB3_166:                              ;   in Loop: Header=BB3_145 Depth=1
	v_mov_b64_e32 v[12:13], 0
.LBB3_167:                              ;   in Loop: Header=BB3_145 Depth=1
	s_mov_b64 s[0:1], s[12:13]
	s_mov_b32 s16, 0
	s_cbranch_execnz .LBB3_169
.LBB3_168:                              ;   in Loop: Header=BB3_145 Depth=1
	global_load_dwordx2 v[12:13], v31, s[12:13]
	s_add_i32 s16, s17, -8
.LBB3_169:                              ;   in Loop: Header=BB3_145 Depth=1
	s_add_u32 s12, s0, 8
	s_addc_u32 s13, s1, 0
	s_cmp_gt_u32 s16, 7
	s_cbranch_scc1 .LBB3_173
; %bb.170:                              ;   in Loop: Header=BB3_145 Depth=1
	s_cmp_eq_u32 s16, 0
	s_cbranch_scc1 .LBB3_174
; %bb.171:                              ;   in Loop: Header=BB3_145 Depth=1
	s_mov_b64 s[12:13], 0
	v_mov_b64_e32 v[14:15], 0
	s_mov_b64 s[14:15], 0
.LBB3_172:                              ;   Parent Loop BB3_145 Depth=1
                                        ; =>  This Inner Loop Header: Depth=2
	s_add_u32 s18, s0, s14
	s_addc_u32 s19, s1, s15
	global_load_ubyte v6, v31, s[18:19]
	s_add_u32 s14, s14, 1
	s_addc_u32 s15, s15, 0
	s_waitcnt vmcnt(0)
	v_and_b32_e32 v30, 0xffff, v6
	v_lshlrev_b64 v[6:7], s12, v[30:31]
	s_add_u32 s12, s12, 8
	s_addc_u32 s13, s13, 0
	v_or_b32_e32 v14, v6, v14
	s_cmp_lg_u32 s16, s14
	v_or_b32_e32 v15, v7, v15
	s_cbranch_scc1 .LBB3_172
	s_branch .LBB3_175
.LBB3_173:                              ;   in Loop: Header=BB3_145 Depth=1
                                        ; implicit-def: $vgpr14_vgpr15
	s_mov_b32 s17, 0
	s_branch .LBB3_176
.LBB3_174:                              ;   in Loop: Header=BB3_145 Depth=1
	v_mov_b64_e32 v[14:15], 0
.LBB3_175:                              ;   in Loop: Header=BB3_145 Depth=1
	s_mov_b64 s[12:13], s[0:1]
	s_mov_b32 s17, 0
	s_cbranch_execnz .LBB3_177
.LBB3_176:                              ;   in Loop: Header=BB3_145 Depth=1
	global_load_dwordx2 v[14:15], v31, s[0:1]
	s_add_i32 s17, s16, -8
.LBB3_177:                              ;   in Loop: Header=BB3_145 Depth=1
	s_add_u32 s0, s12, 8
	s_addc_u32 s1, s13, 0
	s_cmp_gt_u32 s17, 7
	s_cbranch_scc1 .LBB3_181
; %bb.178:                              ;   in Loop: Header=BB3_145 Depth=1
	s_cmp_eq_u32 s17, 0
	s_cbranch_scc1 .LBB3_182
; %bb.179:                              ;   in Loop: Header=BB3_145 Depth=1
	s_mov_b64 s[0:1], 0
	v_mov_b64_e32 v[16:17], 0
	s_mov_b64 s[14:15], 0
.LBB3_180:                              ;   Parent Loop BB3_145 Depth=1
                                        ; =>  This Inner Loop Header: Depth=2
	s_add_u32 s18, s12, s14
	s_addc_u32 s19, s13, s15
	global_load_ubyte v6, v31, s[18:19]
	s_add_u32 s14, s14, 1
	s_addc_u32 s15, s15, 0
	s_waitcnt vmcnt(0)
	v_and_b32_e32 v30, 0xffff, v6
	v_lshlrev_b64 v[6:7], s0, v[30:31]
	s_add_u32 s0, s0, 8
	s_addc_u32 s1, s1, 0
	v_or_b32_e32 v16, v6, v16
	s_cmp_lg_u32 s17, s14
	v_or_b32_e32 v17, v7, v17
	s_cbranch_scc1 .LBB3_180
	s_branch .LBB3_183
.LBB3_181:                              ;   in Loop: Header=BB3_145 Depth=1
	s_mov_b32 s16, 0
	s_branch .LBB3_184
.LBB3_182:                              ;   in Loop: Header=BB3_145 Depth=1
	v_mov_b64_e32 v[16:17], 0
.LBB3_183:                              ;   in Loop: Header=BB3_145 Depth=1
	s_mov_b64 s[0:1], s[12:13]
	s_mov_b32 s16, 0
	s_cbranch_execnz .LBB3_185
.LBB3_184:                              ;   in Loop: Header=BB3_145 Depth=1
	global_load_dwordx2 v[16:17], v31, s[12:13]
	s_add_i32 s16, s17, -8
.LBB3_185:                              ;   in Loop: Header=BB3_145 Depth=1
	s_add_u32 s12, s0, 8
	s_addc_u32 s13, s1, 0
	s_cmp_gt_u32 s16, 7
	s_cbranch_scc1 .LBB3_189
; %bb.186:                              ;   in Loop: Header=BB3_145 Depth=1
	s_cmp_eq_u32 s16, 0
	s_cbranch_scc1 .LBB3_190
; %bb.187:                              ;   in Loop: Header=BB3_145 Depth=1
	s_mov_b64 s[12:13], 0
	v_mov_b64_e32 v[18:19], 0
	s_mov_b64 s[14:15], 0
.LBB3_188:                              ;   Parent Loop BB3_145 Depth=1
                                        ; =>  This Inner Loop Header: Depth=2
	s_add_u32 s18, s0, s14
	s_addc_u32 s19, s1, s15
	global_load_ubyte v6, v31, s[18:19]
	s_add_u32 s14, s14, 1
	s_addc_u32 s15, s15, 0
	s_waitcnt vmcnt(0)
	v_and_b32_e32 v30, 0xffff, v6
	v_lshlrev_b64 v[6:7], s12, v[30:31]
	s_add_u32 s12, s12, 8
	s_addc_u32 s13, s13, 0
	v_or_b32_e32 v18, v6, v18
	s_cmp_lg_u32 s16, s14
	v_or_b32_e32 v19, v7, v19
	s_cbranch_scc1 .LBB3_188
	s_branch .LBB3_191
.LBB3_189:                              ;   in Loop: Header=BB3_145 Depth=1
                                        ; implicit-def: $vgpr18_vgpr19
	s_mov_b32 s17, 0
	s_branch .LBB3_192
.LBB3_190:                              ;   in Loop: Header=BB3_145 Depth=1
	v_mov_b64_e32 v[18:19], 0
.LBB3_191:                              ;   in Loop: Header=BB3_145 Depth=1
	s_mov_b64 s[12:13], s[0:1]
	s_mov_b32 s17, 0
	s_cbranch_execnz .LBB3_193
.LBB3_192:                              ;   in Loop: Header=BB3_145 Depth=1
	global_load_dwordx2 v[18:19], v31, s[0:1]
	s_add_i32 s17, s16, -8
.LBB3_193:                              ;   in Loop: Header=BB3_145 Depth=1
	s_cmp_gt_u32 s17, 7
	s_cbranch_scc1 .LBB3_197
; %bb.194:                              ;   in Loop: Header=BB3_145 Depth=1
	s_cmp_eq_u32 s17, 0
	s_cbranch_scc1 .LBB3_198
; %bb.195:                              ;   in Loop: Header=BB3_145 Depth=1
	s_mov_b64 s[0:1], 0
	v_mov_b64_e32 v[20:21], 0
	s_mov_b64 s[14:15], s[12:13]
.LBB3_196:                              ;   Parent Loop BB3_145 Depth=1
                                        ; =>  This Inner Loop Header: Depth=2
	global_load_ubyte v6, v31, s[14:15]
	s_add_i32 s17, s17, -1
	s_waitcnt vmcnt(0)
	v_and_b32_e32 v30, 0xffff, v6
	v_lshlrev_b64 v[6:7], s0, v[30:31]
	s_add_u32 s0, s0, 8
	s_addc_u32 s1, s1, 0
	s_add_u32 s14, s14, 1
	s_addc_u32 s15, s15, 0
	v_or_b32_e32 v20, v6, v20
	s_cmp_lg_u32 s17, 0
	v_or_b32_e32 v21, v7, v21
	s_cbranch_scc1 .LBB3_196
	s_branch .LBB3_199
.LBB3_197:                              ;   in Loop: Header=BB3_145 Depth=1
	s_branch .LBB3_200
.LBB3_198:                              ;   in Loop: Header=BB3_145 Depth=1
	v_mov_b64_e32 v[20:21], 0
.LBB3_199:                              ;   in Loop: Header=BB3_145 Depth=1
	s_cbranch_execnz .LBB3_201
.LBB3_200:                              ;   in Loop: Header=BB3_145 Depth=1
	global_load_dwordx2 v[20:21], v31, s[12:13]
.LBB3_201:                              ;   in Loop: Header=BB3_145 Depth=1
	v_readfirstlane_b32 s0, v29
	v_mov_b64_e32 v[6:7], 0
	s_nop 0
	v_cmp_eq_u32_e64 s[0:1], s0, v29
	s_and_saveexec_b64 s[12:13], s[0:1]
	s_cbranch_execz .LBB3_207
; %bb.202:                              ;   in Loop: Header=BB3_145 Depth=1
	global_load_dwordx2 v[24:25], v31, s[2:3] offset:24 sc0 sc1
	s_waitcnt vmcnt(0)
	buffer_inv sc0 sc1
	global_load_dwordx2 v[6:7], v31, s[2:3] offset:40
	global_load_dwordx2 v[22:23], v31, s[2:3]
	s_waitcnt vmcnt(1)
	v_and_b32_e32 v6, v6, v24
	v_and_b32_e32 v7, v7, v25
	v_mul_lo_u32 v7, v7, 24
	v_mul_hi_u32 v27, v6, 24
	v_add_u32_e32 v7, v27, v7
	v_mul_lo_u32 v6, v6, 24
	s_waitcnt vmcnt(0)
	v_lshl_add_u64 v[6:7], v[22:23], 0, v[6:7]
	global_load_dwordx2 v[22:23], v[6:7], off sc0 sc1
	s_waitcnt vmcnt(0)
	global_atomic_cmpswap_x2 v[6:7], v31, v[22:25], s[2:3] offset:24 sc0 sc1
	s_waitcnt vmcnt(0)
	buffer_inv sc0 sc1
	v_cmp_ne_u64_e32 vcc, v[6:7], v[24:25]
	s_and_saveexec_b64 s[14:15], vcc
	s_cbranch_execz .LBB3_206
; %bb.203:                              ;   in Loop: Header=BB3_145 Depth=1
	s_mov_b64 s[16:17], 0
.LBB3_204:                              ;   Parent Loop BB3_145 Depth=1
                                        ; =>  This Inner Loop Header: Depth=2
	s_sleep 1
	global_load_dwordx2 v[22:23], v31, s[2:3] offset:40
	global_load_dwordx2 v[32:33], v31, s[2:3]
	v_mov_b64_e32 v[24:25], v[6:7]
	s_waitcnt vmcnt(1)
	v_and_b32_e32 v6, v22, v24
	s_waitcnt vmcnt(0)
	v_mad_u64_u32 v[6:7], s[18:19], v6, 24, v[32:33]
	v_and_b32_e32 v23, v23, v25
	v_mov_b32_e32 v22, v7
	v_mad_u64_u32 v[22:23], s[18:19], v23, 24, v[22:23]
	v_mov_b32_e32 v7, v22
	global_load_dwordx2 v[22:23], v[6:7], off sc0 sc1
	s_waitcnt vmcnt(0)
	global_atomic_cmpswap_x2 v[6:7], v31, v[22:25], s[2:3] offset:24 sc0 sc1
	s_waitcnt vmcnt(0)
	buffer_inv sc0 sc1
	v_cmp_eq_u64_e32 vcc, v[6:7], v[24:25]
	s_or_b64 s[16:17], vcc, s[16:17]
	s_andn2_b64 exec, exec, s[16:17]
	s_cbranch_execnz .LBB3_204
; %bb.205:                              ;   in Loop: Header=BB3_145 Depth=1
	s_or_b64 exec, exec, s[16:17]
.LBB3_206:                              ;   in Loop: Header=BB3_145 Depth=1
	s_or_b64 exec, exec, s[14:15]
.LBB3_207:                              ;   in Loop: Header=BB3_145 Depth=1
	s_or_b64 exec, exec, s[12:13]
	global_load_dwordx2 v[32:33], v31, s[2:3] offset:40
	global_load_dwordx4 v[22:25], v31, s[2:3]
	v_readfirstlane_b32 s13, v7
	v_readfirstlane_b32 s12, v6
	s_mov_b64 s[14:15], exec
	s_waitcnt vmcnt(1)
	v_readfirstlane_b32 s16, v32
	v_readfirstlane_b32 s17, v33
	s_and_b64 s[16:17], s[16:17], s[12:13]
	s_mul_i32 s18, s17, 24
	s_mul_hi_u32 s19, s16, 24
	s_add_i32 s19, s19, s18
	s_mul_i32 s18, s16, 24
	s_waitcnt vmcnt(0)
	v_lshl_add_u64 v[32:33], v[22:23], 0, s[18:19]
	s_and_saveexec_b64 s[18:19], s[0:1]
	s_cbranch_execz .LBB3_209
; %bb.208:                              ;   in Loop: Header=BB3_145 Depth=1
	v_mov_b64_e32 v[6:7], s[14:15]
	global_store_dwordx4 v[32:33], v[6:9], off offset:8
.LBB3_209:                              ;   in Loop: Header=BB3_145 Depth=1
	s_or_b64 exec, exec, s[18:19]
	s_lshl_b64 s[14:15], s[16:17], 12
	v_lshl_add_u64 v[6:7], v[24:25], 0, s[14:15]
	v_cmp_lt_u64_e64 vcc, s[4:5], 57
	s_lshl_b32 s14, s10, 2
	s_add_i32 s14, s14, 28
	v_cndmask_b32_e32 v24, 0, v28, vcc
	v_and_b32_e32 v2, 0xffffff1f, v2
	s_and_b32 s14, s14, 0x1e0
	v_or_b32_e32 v2, v2, v24
	v_or_b32_e32 v2, s14, v2
	v_readfirstlane_b32 s14, v6
	v_readfirstlane_b32 s15, v7
	s_nop 4
	global_store_dwordx4 v26, v[2:5], s[14:15]
	global_store_dwordx4 v26, v[10:13], s[14:15] offset:16
	global_store_dwordx4 v26, v[14:17], s[14:15] offset:32
	;; [unrolled: 1-line block ×3, first 2 shown]
	s_and_saveexec_b64 s[14:15], s[0:1]
	s_cbranch_execz .LBB3_217
; %bb.210:                              ;   in Loop: Header=BB3_145 Depth=1
	global_load_dwordx2 v[14:15], v31, s[2:3] offset:32 sc0 sc1
	global_load_dwordx2 v[2:3], v31, s[2:3] offset:40
	v_mov_b32_e32 v12, s12
	v_mov_b32_e32 v13, s13
	s_waitcnt vmcnt(0)
	v_readfirstlane_b32 s16, v2
	v_readfirstlane_b32 s17, v3
	s_and_b64 s[16:17], s[16:17], s[12:13]
	s_mul_i32 s17, s17, 24
	s_mul_hi_u32 s18, s16, 24
	s_mul_i32 s16, s16, 24
	s_add_i32 s17, s18, s17
	v_lshl_add_u64 v[10:11], v[22:23], 0, s[16:17]
	global_store_dwordx2 v[10:11], v[14:15], off
	buffer_wbl2 sc0 sc1
	s_waitcnt vmcnt(0)
	global_atomic_cmpswap_x2 v[4:5], v31, v[12:15], s[2:3] offset:32 sc0 sc1
	s_waitcnt vmcnt(0)
	v_cmp_ne_u64_e32 vcc, v[4:5], v[14:15]
	s_and_saveexec_b64 s[16:17], vcc
	s_cbranch_execz .LBB3_213
; %bb.211:                              ;   in Loop: Header=BB3_145 Depth=1
	s_mov_b64 s[18:19], 0
.LBB3_212:                              ;   Parent Loop BB3_145 Depth=1
                                        ; =>  This Inner Loop Header: Depth=2
	s_sleep 1
	global_store_dwordx2 v[10:11], v[4:5], off
	v_mov_b32_e32 v2, s12
	v_mov_b32_e32 v3, s13
	buffer_wbl2 sc0 sc1
	s_waitcnt vmcnt(0)
	global_atomic_cmpswap_x2 v[2:3], v31, v[2:5], s[2:3] offset:32 sc0 sc1
	s_waitcnt vmcnt(0)
	v_cmp_eq_u64_e32 vcc, v[2:3], v[4:5]
	s_or_b64 s[18:19], vcc, s[18:19]
	v_mov_b64_e32 v[4:5], v[2:3]
	s_andn2_b64 exec, exec, s[18:19]
	s_cbranch_execnz .LBB3_212
.LBB3_213:                              ;   in Loop: Header=BB3_145 Depth=1
	s_or_b64 exec, exec, s[16:17]
	global_load_dwordx2 v[2:3], v31, s[2:3] offset:16
	s_mov_b64 s[18:19], exec
	v_mbcnt_lo_u32_b32 v4, s18, 0
	v_mbcnt_hi_u32_b32 v4, s19, v4
	v_cmp_eq_u32_e32 vcc, 0, v4
	s_and_saveexec_b64 s[16:17], vcc
	s_cbranch_execz .LBB3_215
; %bb.214:                              ;   in Loop: Header=BB3_145 Depth=1
	s_bcnt1_i32_b64 s18, s[18:19]
	v_mov_b32_e32 v30, s18
	buffer_wbl2 sc0 sc1
	s_waitcnt vmcnt(0)
	global_atomic_add_x2 v[2:3], v[30:31], off offset:8 sc1
.LBB3_215:                              ;   in Loop: Header=BB3_145 Depth=1
	s_or_b64 exec, exec, s[16:17]
	s_waitcnt vmcnt(0)
	global_load_dwordx2 v[4:5], v[2:3], off offset:16
	s_waitcnt vmcnt(0)
	v_cmp_eq_u64_e32 vcc, 0, v[4:5]
	s_cbranch_vccnz .LBB3_217
; %bb.216:                              ;   in Loop: Header=BB3_145 Depth=1
	global_load_dword v30, v[2:3], off offset:24
	s_waitcnt vmcnt(0)
	v_readfirstlane_b32 s16, v30
	s_and_b32 m0, s16, 0xffffff
	buffer_wbl2 sc0 sc1
	global_store_dwordx2 v[4:5], v[30:31], off sc0 sc1
	s_sendmsg sendmsg(MSG_INTERRUPT)
.LBB3_217:                              ;   in Loop: Header=BB3_145 Depth=1
	s_or_b64 exec, exec, s[14:15]
	v_mov_b32_e32 v27, v31
	v_lshl_add_u64 v[2:3], v[6:7], 0, v[26:27]
	s_branch .LBB3_221
.LBB3_218:                              ;   in Loop: Header=BB3_221 Depth=2
	s_or_b64 exec, exec, s[14:15]
	v_readfirstlane_b32 s14, v4
	s_cmp_eq_u32 s14, 0
	s_cbranch_scc1 .LBB3_220
; %bb.219:                              ;   in Loop: Header=BB3_221 Depth=2
	s_sleep 1
	s_cbranch_execnz .LBB3_221
	s_branch .LBB3_223
.LBB3_220:                              ;   in Loop: Header=BB3_145 Depth=1
	s_branch .LBB3_223
.LBB3_221:                              ;   Parent Loop BB3_145 Depth=1
                                        ; =>  This Inner Loop Header: Depth=2
	v_mov_b32_e32 v4, 1
	s_and_saveexec_b64 s[14:15], s[0:1]
	s_cbranch_execz .LBB3_218
; %bb.222:                              ;   in Loop: Header=BB3_221 Depth=2
	global_load_dword v4, v[32:33], off offset:20 sc0 sc1
	s_waitcnt vmcnt(0)
	buffer_inv sc0 sc1
	v_and_b32_e32 v4, 1, v4
	s_branch .LBB3_218
.LBB3_223:                              ;   in Loop: Header=BB3_145 Depth=1
	global_load_dwordx2 v[2:3], v[2:3], off
	s_and_saveexec_b64 s[14:15], s[0:1]
	s_cbranch_execz .LBB3_144
; %bb.224:                              ;   in Loop: Header=BB3_145 Depth=1
	global_load_dwordx2 v[4:5], v31, s[2:3] offset:40
	global_load_dwordx2 v[14:15], v31, s[2:3] offset:24 sc0 sc1
	global_load_dwordx2 v[6:7], v31, s[2:3]
	s_waitcnt vmcnt(2)
	v_readfirstlane_b32 s16, v4
	v_readfirstlane_b32 s17, v5
	s_add_u32 s18, s16, 1
	s_addc_u32 s19, s17, 0
	s_add_u32 s0, s18, s12
	s_addc_u32 s1, s19, s13
	s_cmp_eq_u64 s[0:1], 0
	s_cselect_b32 s1, s19, s1
	s_cselect_b32 s0, s18, s0
	s_and_b64 s[12:13], s[0:1], s[16:17]
	s_mul_i32 s13, s13, 24
	s_mul_hi_u32 s16, s12, 24
	s_mul_i32 s12, s12, 24
	s_add_i32 s13, s16, s13
	s_waitcnt vmcnt(0)
	v_lshl_add_u64 v[10:11], v[6:7], 0, s[12:13]
	v_mov_b32_e32 v12, s0
	global_store_dwordx2 v[10:11], v[14:15], off
	v_mov_b32_e32 v13, s1
	buffer_wbl2 sc0 sc1
	s_waitcnt vmcnt(0)
	global_atomic_cmpswap_x2 v[6:7], v31, v[12:15], s[2:3] offset:24 sc0 sc1
	s_waitcnt vmcnt(0)
	v_cmp_ne_u64_e32 vcc, v[6:7], v[14:15]
	s_and_b64 exec, exec, vcc
	s_cbranch_execz .LBB3_144
; %bb.225:                              ;   in Loop: Header=BB3_145 Depth=1
	s_mov_b64 s[12:13], 0
.LBB3_226:                              ;   Parent Loop BB3_145 Depth=1
                                        ; =>  This Inner Loop Header: Depth=2
	s_sleep 1
	global_store_dwordx2 v[10:11], v[6:7], off
	v_mov_b32_e32 v4, s0
	v_mov_b32_e32 v5, s1
	buffer_wbl2 sc0 sc1
	s_waitcnt vmcnt(0)
	global_atomic_cmpswap_x2 v[4:5], v31, v[4:7], s[2:3] offset:24 sc0 sc1
	s_waitcnt vmcnt(0)
	v_cmp_eq_u64_e32 vcc, v[4:5], v[6:7]
	s_or_b64 s[12:13], vcc, s[12:13]
	v_mov_b64_e32 v[6:7], v[4:5]
	s_andn2_b64 exec, exec, s[12:13]
	s_cbranch_execnz .LBB3_226
	s_branch .LBB3_144
.LBB3_227:
                                        ; implicit-def: $vgpr2_vgpr3
	s_cbranch_execnz .LBB3_229
	s_branch .LBB3_255
.LBB3_228:
	s_branch .LBB3_255
.LBB3_229:
	v_readfirstlane_b32 s0, v29
	s_waitcnt vmcnt(0)
	v_mov_b64_e32 v[2:3], 0
	v_cmp_eq_u32_e64 s[0:1], s0, v29
	s_and_saveexec_b64 s[4:5], s[0:1]
	s_cbranch_execz .LBB3_235
; %bb.230:
	v_mov_b32_e32 v4, 0
	global_load_dwordx2 v[8:9], v4, s[2:3] offset:24 sc0 sc1
	s_waitcnt vmcnt(0)
	buffer_inv sc0 sc1
	global_load_dwordx2 v[2:3], v4, s[2:3] offset:40
	global_load_dwordx2 v[6:7], v4, s[2:3]
	s_waitcnt vmcnt(1)
	v_and_b32_e32 v2, v2, v8
	v_and_b32_e32 v3, v3, v9
	v_mul_lo_u32 v3, v3, 24
	v_mul_hi_u32 v5, v2, 24
	v_add_u32_e32 v3, v5, v3
	v_mul_lo_u32 v2, v2, 24
	s_waitcnt vmcnt(0)
	v_lshl_add_u64 v[2:3], v[6:7], 0, v[2:3]
	global_load_dwordx2 v[6:7], v[2:3], off sc0 sc1
	s_waitcnt vmcnt(0)
	global_atomic_cmpswap_x2 v[2:3], v4, v[6:9], s[2:3] offset:24 sc0 sc1
	s_waitcnt vmcnt(0)
	buffer_inv sc0 sc1
	v_cmp_ne_u64_e32 vcc, v[2:3], v[8:9]
	s_and_saveexec_b64 s[6:7], vcc
	s_cbranch_execz .LBB3_234
; %bb.231:
	s_mov_b64 s[10:11], 0
.LBB3_232:                              ; =>This Inner Loop Header: Depth=1
	s_sleep 1
	global_load_dwordx2 v[6:7], v4, s[2:3] offset:40
	global_load_dwordx2 v[10:11], v4, s[2:3]
	v_mov_b64_e32 v[8:9], v[2:3]
	s_waitcnt vmcnt(1)
	v_and_b32_e32 v2, v6, v8
	s_waitcnt vmcnt(0)
	v_mad_u64_u32 v[2:3], s[12:13], v2, 24, v[10:11]
	v_and_b32_e32 v5, v7, v9
	v_mov_b32_e32 v6, v3
	v_mad_u64_u32 v[6:7], s[12:13], v5, 24, v[6:7]
	v_mov_b32_e32 v3, v6
	global_load_dwordx2 v[6:7], v[2:3], off sc0 sc1
	s_waitcnt vmcnt(0)
	global_atomic_cmpswap_x2 v[2:3], v4, v[6:9], s[2:3] offset:24 sc0 sc1
	s_waitcnt vmcnt(0)
	buffer_inv sc0 sc1
	v_cmp_eq_u64_e32 vcc, v[2:3], v[8:9]
	s_or_b64 s[10:11], vcc, s[10:11]
	s_andn2_b64 exec, exec, s[10:11]
	s_cbranch_execnz .LBB3_232
; %bb.233:
	s_or_b64 exec, exec, s[10:11]
.LBB3_234:
	s_or_b64 exec, exec, s[6:7]
.LBB3_235:
	s_or_b64 exec, exec, s[4:5]
	v_mov_b32_e32 v27, 0
	global_load_dwordx2 v[8:9], v27, s[2:3] offset:40
	global_load_dwordx4 v[4:7], v27, s[2:3]
	v_readfirstlane_b32 s5, v3
	v_readfirstlane_b32 s4, v2
	s_mov_b64 s[6:7], exec
	s_waitcnt vmcnt(1)
	v_readfirstlane_b32 s10, v8
	v_readfirstlane_b32 s11, v9
	s_and_b64 s[10:11], s[10:11], s[4:5]
	s_mul_i32 s12, s11, 24
	s_mul_hi_u32 s13, s10, 24
	s_add_i32 s13, s13, s12
	s_mul_i32 s12, s10, 24
	s_waitcnt vmcnt(0)
	v_lshl_add_u64 v[8:9], v[4:5], 0, s[12:13]
	s_and_saveexec_b64 s[12:13], s[0:1]
	s_cbranch_execz .LBB3_237
; %bb.236:
	v_mov_b64_e32 v[10:11], s[6:7]
	v_mov_b32_e32 v12, 2
	v_mov_b32_e32 v13, 1
	global_store_dwordx4 v[8:9], v[10:13], off offset:8
.LBB3_237:
	s_or_b64 exec, exec, s[12:13]
	s_lshl_b64 s[6:7], s[10:11], 12
	v_lshl_add_u64 v[6:7], v[6:7], 0, s[6:7]
	s_movk_i32 s6, 0xff1f
	s_mov_b32 s12, 0
	v_and_or_b32 v0, v0, s6, 32
	v_mov_b32_e32 v2, v27
	v_mov_b32_e32 v3, v27
	v_readfirstlane_b32 s6, v6
	v_readfirstlane_b32 s7, v7
	s_mov_b32 s13, s12
	s_mov_b32 s14, s12
	;; [unrolled: 1-line block ×3, first 2 shown]
	s_nop 1
	global_store_dwordx4 v26, v[0:3], s[6:7]
	s_nop 1
	v_mov_b64_e32 v[0:1], s[12:13]
	v_mov_b64_e32 v[2:3], s[14:15]
	global_store_dwordx4 v26, v[0:3], s[6:7] offset:16
	global_store_dwordx4 v26, v[0:3], s[6:7] offset:32
	global_store_dwordx4 v26, v[0:3], s[6:7] offset:48
	s_and_saveexec_b64 s[6:7], s[0:1]
	s_cbranch_execz .LBB3_245
; %bb.238:
	v_mov_b32_e32 v10, 0
	global_load_dwordx2 v[14:15], v10, s[2:3] offset:32 sc0 sc1
	global_load_dwordx2 v[0:1], v10, s[2:3] offset:40
	v_mov_b32_e32 v12, s4
	v_mov_b32_e32 v13, s5
	s_waitcnt vmcnt(0)
	v_readfirstlane_b32 s10, v0
	v_readfirstlane_b32 s11, v1
	s_and_b64 s[10:11], s[10:11], s[4:5]
	s_mul_i32 s11, s11, 24
	s_mul_hi_u32 s12, s10, 24
	s_mul_i32 s10, s10, 24
	s_add_i32 s11, s12, s11
	v_lshl_add_u64 v[4:5], v[4:5], 0, s[10:11]
	global_store_dwordx2 v[4:5], v[14:15], off
	buffer_wbl2 sc0 sc1
	s_waitcnt vmcnt(0)
	global_atomic_cmpswap_x2 v[2:3], v10, v[12:15], s[2:3] offset:32 sc0 sc1
	s_waitcnt vmcnt(0)
	v_cmp_ne_u64_e32 vcc, v[2:3], v[14:15]
	s_and_saveexec_b64 s[10:11], vcc
	s_cbranch_execz .LBB3_241
; %bb.239:
	s_mov_b64 s[12:13], 0
.LBB3_240:                              ; =>This Inner Loop Header: Depth=1
	s_sleep 1
	global_store_dwordx2 v[4:5], v[2:3], off
	v_mov_b32_e32 v0, s4
	v_mov_b32_e32 v1, s5
	buffer_wbl2 sc0 sc1
	s_waitcnt vmcnt(0)
	global_atomic_cmpswap_x2 v[0:1], v10, v[0:3], s[2:3] offset:32 sc0 sc1
	s_waitcnt vmcnt(0)
	v_cmp_eq_u64_e32 vcc, v[0:1], v[2:3]
	s_or_b64 s[12:13], vcc, s[12:13]
	v_mov_b64_e32 v[2:3], v[0:1]
	s_andn2_b64 exec, exec, s[12:13]
	s_cbranch_execnz .LBB3_240
.LBB3_241:
	s_or_b64 exec, exec, s[10:11]
	v_mov_b32_e32 v3, 0
	global_load_dwordx2 v[0:1], v3, s[2:3] offset:16
	s_mov_b64 s[10:11], exec
	v_mbcnt_lo_u32_b32 v2, s10, 0
	v_mbcnt_hi_u32_b32 v2, s11, v2
	v_cmp_eq_u32_e32 vcc, 0, v2
	s_and_saveexec_b64 s[12:13], vcc
	s_cbranch_execz .LBB3_243
; %bb.242:
	s_bcnt1_i32_b64 s10, s[10:11]
	v_mov_b32_e32 v2, s10
	buffer_wbl2 sc0 sc1
	s_waitcnt vmcnt(0)
	global_atomic_add_x2 v[0:1], v[2:3], off offset:8 sc1
.LBB3_243:
	s_or_b64 exec, exec, s[12:13]
	s_waitcnt vmcnt(0)
	global_load_dwordx2 v[2:3], v[0:1], off offset:16
	s_waitcnt vmcnt(0)
	v_cmp_eq_u64_e32 vcc, 0, v[2:3]
	s_cbranch_vccnz .LBB3_245
; %bb.244:
	global_load_dword v0, v[0:1], off offset:24
	v_mov_b32_e32 v1, 0
	s_waitcnt vmcnt(0)
	v_readfirstlane_b32 s10, v0
	s_and_b32 m0, s10, 0xffffff
	buffer_wbl2 sc0 sc1
	global_store_dwordx2 v[2:3], v[0:1], off sc0 sc1
	s_sendmsg sendmsg(MSG_INTERRUPT)
.LBB3_245:
	s_or_b64 exec, exec, s[6:7]
	v_lshl_add_u64 v[0:1], v[6:7], 0, v[26:27]
	s_branch .LBB3_249
.LBB3_246:                              ;   in Loop: Header=BB3_249 Depth=1
	s_or_b64 exec, exec, s[6:7]
	v_readfirstlane_b32 s6, v2
	s_cmp_eq_u32 s6, 0
	s_cbranch_scc1 .LBB3_248
; %bb.247:                              ;   in Loop: Header=BB3_249 Depth=1
	s_sleep 1
	s_cbranch_execnz .LBB3_249
	s_branch .LBB3_251
.LBB3_248:
	s_branch .LBB3_251
.LBB3_249:                              ; =>This Inner Loop Header: Depth=1
	v_mov_b32_e32 v2, 1
	s_and_saveexec_b64 s[6:7], s[0:1]
	s_cbranch_execz .LBB3_246
; %bb.250:                              ;   in Loop: Header=BB3_249 Depth=1
	global_load_dword v2, v[8:9], off offset:20 sc0 sc1
	s_waitcnt vmcnt(0)
	buffer_inv sc0 sc1
	v_and_b32_e32 v2, 1, v2
	s_branch .LBB3_246
.LBB3_251:
	global_load_dwordx2 v[2:3], v[0:1], off
	s_and_saveexec_b64 s[6:7], s[0:1]
	s_cbranch_execz .LBB3_254
; %bb.252:
	v_mov_b32_e32 v8, 0
	global_load_dwordx2 v[0:1], v8, s[2:3] offset:40
	global_load_dwordx2 v[12:13], v8, s[2:3] offset:24 sc0 sc1
	global_load_dwordx2 v[4:5], v8, s[2:3]
	s_waitcnt vmcnt(2)
	v_readfirstlane_b32 s10, v0
	v_readfirstlane_b32 s11, v1
	s_add_u32 s12, s10, 1
	s_addc_u32 s13, s11, 0
	s_add_u32 s0, s12, s4
	s_addc_u32 s1, s13, s5
	s_cmp_eq_u64 s[0:1], 0
	s_cselect_b32 s1, s13, s1
	s_cselect_b32 s0, s12, s0
	s_and_b64 s[4:5], s[0:1], s[10:11]
	s_mul_i32 s5, s5, 24
	s_mul_hi_u32 s10, s4, 24
	s_mul_i32 s4, s4, 24
	s_add_i32 s5, s10, s5
	s_waitcnt vmcnt(0)
	v_lshl_add_u64 v[0:1], v[4:5], 0, s[4:5]
	v_mov_b32_e32 v10, s0
	global_store_dwordx2 v[0:1], v[12:13], off
	v_mov_b32_e32 v11, s1
	buffer_wbl2 sc0 sc1
	s_waitcnt vmcnt(0)
	global_atomic_cmpswap_x2 v[6:7], v8, v[10:13], s[2:3] offset:24 sc0 sc1
	s_mov_b64 s[4:5], 0
	s_waitcnt vmcnt(0)
	v_cmp_ne_u64_e32 vcc, v[6:7], v[12:13]
	s_and_b64 exec, exec, vcc
	s_cbranch_execz .LBB3_254
.LBB3_253:                              ; =>This Inner Loop Header: Depth=1
	s_sleep 1
	global_store_dwordx2 v[0:1], v[6:7], off
	v_mov_b32_e32 v4, s0
	v_mov_b32_e32 v5, s1
	buffer_wbl2 sc0 sc1
	s_waitcnt vmcnt(0)
	global_atomic_cmpswap_x2 v[4:5], v8, v[4:7], s[2:3] offset:24 sc0 sc1
	s_waitcnt vmcnt(0)
	v_cmp_eq_u64_e32 vcc, v[4:5], v[6:7]
	s_or_b64 s[4:5], vcc, s[4:5]
	v_mov_b64_e32 v[6:7], v[4:5]
	s_andn2_b64 exec, exec, s[4:5]
	s_cbranch_execnz .LBB3_253
.LBB3_254:
	s_or_b64 exec, exec, s[6:7]
.LBB3_255:
	v_readfirstlane_b32 s0, v29
	s_waitcnt vmcnt(0)
	v_mov_b64_e32 v[0:1], 0
	v_cmp_eq_u32_e64 s[0:1], s0, v29
	s_and_saveexec_b64 s[4:5], s[0:1]
	s_cbranch_execz .LBB3_261
; %bb.256:
	v_mov_b32_e32 v4, 0
	global_load_dwordx2 v[8:9], v4, s[2:3] offset:24 sc0 sc1
	s_waitcnt vmcnt(0)
	buffer_inv sc0 sc1
	global_load_dwordx2 v[0:1], v4, s[2:3] offset:40
	global_load_dwordx2 v[6:7], v4, s[2:3]
	s_waitcnt vmcnt(1)
	v_and_b32_e32 v0, v0, v8
	v_and_b32_e32 v1, v1, v9
	v_mul_lo_u32 v1, v1, 24
	v_mul_hi_u32 v5, v0, 24
	v_add_u32_e32 v1, v5, v1
	v_mul_lo_u32 v0, v0, 24
	s_waitcnt vmcnt(0)
	v_lshl_add_u64 v[0:1], v[6:7], 0, v[0:1]
	global_load_dwordx2 v[6:7], v[0:1], off sc0 sc1
	s_waitcnt vmcnt(0)
	global_atomic_cmpswap_x2 v[0:1], v4, v[6:9], s[2:3] offset:24 sc0 sc1
	s_waitcnt vmcnt(0)
	buffer_inv sc0 sc1
	v_cmp_ne_u64_e32 vcc, v[0:1], v[8:9]
	s_and_saveexec_b64 s[6:7], vcc
	s_cbranch_execz .LBB3_260
; %bb.257:
	s_mov_b64 s[10:11], 0
.LBB3_258:                              ; =>This Inner Loop Header: Depth=1
	s_sleep 1
	global_load_dwordx2 v[6:7], v4, s[2:3] offset:40
	global_load_dwordx2 v[10:11], v4, s[2:3]
	v_mov_b64_e32 v[8:9], v[0:1]
	s_waitcnt vmcnt(1)
	v_and_b32_e32 v0, v6, v8
	s_waitcnt vmcnt(0)
	v_mad_u64_u32 v[0:1], s[12:13], v0, 24, v[10:11]
	v_and_b32_e32 v5, v7, v9
	v_mov_b32_e32 v6, v1
	v_mad_u64_u32 v[6:7], s[12:13], v5, 24, v[6:7]
	v_mov_b32_e32 v1, v6
	global_load_dwordx2 v[6:7], v[0:1], off sc0 sc1
	s_waitcnt vmcnt(0)
	global_atomic_cmpswap_x2 v[0:1], v4, v[6:9], s[2:3] offset:24 sc0 sc1
	s_waitcnt vmcnt(0)
	buffer_inv sc0 sc1
	v_cmp_eq_u64_e32 vcc, v[0:1], v[8:9]
	s_or_b64 s[10:11], vcc, s[10:11]
	s_andn2_b64 exec, exec, s[10:11]
	s_cbranch_execnz .LBB3_258
; %bb.259:
	s_or_b64 exec, exec, s[10:11]
.LBB3_260:
	s_or_b64 exec, exec, s[6:7]
.LBB3_261:
	s_or_b64 exec, exec, s[4:5]
	v_mov_b32_e32 v27, 0
	global_load_dwordx2 v[4:5], v27, s[2:3] offset:40
	global_load_dwordx4 v[6:9], v27, s[2:3]
	v_readfirstlane_b32 s5, v1
	v_readfirstlane_b32 s4, v0
	s_mov_b64 s[6:7], exec
	s_waitcnt vmcnt(1)
	v_readfirstlane_b32 s10, v4
	v_readfirstlane_b32 s11, v5
	s_and_b64 s[10:11], s[10:11], s[4:5]
	s_mul_i32 s12, s11, 24
	s_mul_hi_u32 s13, s10, 24
	s_add_i32 s13, s13, s12
	s_mul_i32 s12, s10, 24
	s_waitcnt vmcnt(0)
	v_lshl_add_u64 v[10:11], v[6:7], 0, s[12:13]
	s_and_saveexec_b64 s[12:13], s[0:1]
	s_cbranch_execz .LBB3_263
; %bb.262:
	v_mov_b64_e32 v[12:13], s[6:7]
	v_mov_b32_e32 v14, 2
	v_mov_b32_e32 v15, 1
	global_store_dwordx4 v[10:11], v[12:15], off offset:8
.LBB3_263:
	s_or_b64 exec, exec, s[12:13]
	s_lshl_b64 s[6:7], s[10:11], 12
	v_lshl_add_u64 v[8:9], v[8:9], 0, s[6:7]
	s_movk_i32 s6, 0xff1f
	s_mov_b32 s12, 0
	v_and_or_b32 v2, v2, s6, 32
	v_mov_b32_e32 v4, 0x6cc
	v_mov_b32_e32 v5, v27
	v_readfirstlane_b32 s6, v8
	v_readfirstlane_b32 s7, v9
	s_mov_b32 s13, s12
	s_mov_b32 s14, s12
	;; [unrolled: 1-line block ×3, first 2 shown]
	s_nop 1
	global_store_dwordx4 v26, v[2:5], s[6:7]
	v_mov_b64_e32 v[0:1], s[12:13]
	s_nop 0
	v_mov_b64_e32 v[2:3], s[14:15]
	global_store_dwordx4 v26, v[0:3], s[6:7] offset:16
	global_store_dwordx4 v26, v[0:3], s[6:7] offset:32
	;; [unrolled: 1-line block ×3, first 2 shown]
	s_and_saveexec_b64 s[6:7], s[0:1]
	s_cbranch_execz .LBB3_271
; %bb.264:
	v_mov_b32_e32 v12, 0
	global_load_dwordx2 v[16:17], v12, s[2:3] offset:32 sc0 sc1
	global_load_dwordx2 v[0:1], v12, s[2:3] offset:40
	v_mov_b32_e32 v14, s4
	v_mov_b32_e32 v15, s5
	s_waitcnt vmcnt(0)
	v_readfirstlane_b32 s10, v0
	v_readfirstlane_b32 s11, v1
	s_and_b64 s[10:11], s[10:11], s[4:5]
	s_mul_i32 s11, s11, 24
	s_mul_hi_u32 s12, s10, 24
	s_mul_i32 s10, s10, 24
	s_add_i32 s11, s12, s11
	v_lshl_add_u64 v[4:5], v[6:7], 0, s[10:11]
	global_store_dwordx2 v[4:5], v[16:17], off
	buffer_wbl2 sc0 sc1
	s_waitcnt vmcnt(0)
	global_atomic_cmpswap_x2 v[2:3], v12, v[14:17], s[2:3] offset:32 sc0 sc1
	s_waitcnt vmcnt(0)
	v_cmp_ne_u64_e32 vcc, v[2:3], v[16:17]
	s_and_saveexec_b64 s[10:11], vcc
	s_cbranch_execz .LBB3_267
; %bb.265:
	s_mov_b64 s[12:13], 0
.LBB3_266:                              ; =>This Inner Loop Header: Depth=1
	s_sleep 1
	global_store_dwordx2 v[4:5], v[2:3], off
	v_mov_b32_e32 v0, s4
	v_mov_b32_e32 v1, s5
	buffer_wbl2 sc0 sc1
	s_waitcnt vmcnt(0)
	global_atomic_cmpswap_x2 v[0:1], v12, v[0:3], s[2:3] offset:32 sc0 sc1
	s_waitcnt vmcnt(0)
	v_cmp_eq_u64_e32 vcc, v[0:1], v[2:3]
	s_or_b64 s[12:13], vcc, s[12:13]
	v_mov_b64_e32 v[2:3], v[0:1]
	s_andn2_b64 exec, exec, s[12:13]
	s_cbranch_execnz .LBB3_266
.LBB3_267:
	s_or_b64 exec, exec, s[10:11]
	v_mov_b32_e32 v3, 0
	global_load_dwordx2 v[0:1], v3, s[2:3] offset:16
	s_mov_b64 s[10:11], exec
	v_mbcnt_lo_u32_b32 v2, s10, 0
	v_mbcnt_hi_u32_b32 v2, s11, v2
	v_cmp_eq_u32_e32 vcc, 0, v2
	s_and_saveexec_b64 s[12:13], vcc
	s_cbranch_execz .LBB3_269
; %bb.268:
	s_bcnt1_i32_b64 s10, s[10:11]
	v_mov_b32_e32 v2, s10
	buffer_wbl2 sc0 sc1
	s_waitcnt vmcnt(0)
	global_atomic_add_x2 v[0:1], v[2:3], off offset:8 sc1
.LBB3_269:
	s_or_b64 exec, exec, s[12:13]
	s_waitcnt vmcnt(0)
	global_load_dwordx2 v[2:3], v[0:1], off offset:16
	s_waitcnt vmcnt(0)
	v_cmp_eq_u64_e32 vcc, 0, v[2:3]
	s_cbranch_vccnz .LBB3_271
; %bb.270:
	global_load_dword v0, v[0:1], off offset:24
	v_mov_b32_e32 v1, 0
	s_waitcnt vmcnt(0)
	v_readfirstlane_b32 s10, v0
	s_and_b32 m0, s10, 0xffffff
	buffer_wbl2 sc0 sc1
	global_store_dwordx2 v[2:3], v[0:1], off sc0 sc1
	s_sendmsg sendmsg(MSG_INTERRUPT)
.LBB3_271:
	s_or_b64 exec, exec, s[6:7]
	v_lshl_add_u64 v[0:1], v[8:9], 0, v[26:27]
	s_branch .LBB3_275
.LBB3_272:                              ;   in Loop: Header=BB3_275 Depth=1
	s_or_b64 exec, exec, s[6:7]
	v_readfirstlane_b32 s6, v2
	s_cmp_eq_u32 s6, 0
	s_cbranch_scc1 .LBB3_274
; %bb.273:                              ;   in Loop: Header=BB3_275 Depth=1
	s_sleep 1
	s_cbranch_execnz .LBB3_275
	s_branch .LBB3_277
.LBB3_274:
	s_branch .LBB3_277
.LBB3_275:                              ; =>This Inner Loop Header: Depth=1
	v_mov_b32_e32 v2, 1
	s_and_saveexec_b64 s[6:7], s[0:1]
	s_cbranch_execz .LBB3_272
; %bb.276:                              ;   in Loop: Header=BB3_275 Depth=1
	global_load_dword v2, v[10:11], off offset:20 sc0 sc1
	s_waitcnt vmcnt(0)
	buffer_inv sc0 sc1
	v_and_b32_e32 v2, 1, v2
	s_branch .LBB3_272
.LBB3_277:
	global_load_dwordx2 v[0:1], v[0:1], off
	s_and_saveexec_b64 s[6:7], s[0:1]
	s_cbranch_execz .LBB3_280
; %bb.278:
	v_mov_b32_e32 v8, 0
	global_load_dwordx2 v[2:3], v8, s[2:3] offset:40
	global_load_dwordx2 v[12:13], v8, s[2:3] offset:24 sc0 sc1
	global_load_dwordx2 v[4:5], v8, s[2:3]
	s_waitcnt vmcnt(2)
	v_readfirstlane_b32 s10, v2
	v_readfirstlane_b32 s11, v3
	s_add_u32 s12, s10, 1
	s_addc_u32 s13, s11, 0
	s_add_u32 s0, s12, s4
	s_addc_u32 s1, s13, s5
	s_cmp_eq_u64 s[0:1], 0
	s_cselect_b32 s1, s13, s1
	s_cselect_b32 s0, s12, s0
	s_and_b64 s[4:5], s[0:1], s[10:11]
	s_mul_i32 s5, s5, 24
	s_mul_hi_u32 s10, s4, 24
	s_mul_i32 s4, s4, 24
	s_add_i32 s5, s10, s5
	s_waitcnt vmcnt(0)
	v_lshl_add_u64 v[6:7], v[4:5], 0, s[4:5]
	v_mov_b32_e32 v10, s0
	global_store_dwordx2 v[6:7], v[12:13], off
	v_mov_b32_e32 v11, s1
	buffer_wbl2 sc0 sc1
	s_waitcnt vmcnt(0)
	global_atomic_cmpswap_x2 v[4:5], v8, v[10:13], s[2:3] offset:24 sc0 sc1
	s_mov_b64 s[4:5], 0
	s_waitcnt vmcnt(0)
	v_cmp_ne_u64_e32 vcc, v[4:5], v[12:13]
	s_and_b64 exec, exec, vcc
	s_cbranch_execz .LBB3_280
.LBB3_279:                              ; =>This Inner Loop Header: Depth=1
	s_sleep 1
	global_store_dwordx2 v[6:7], v[4:5], off
	v_mov_b32_e32 v2, s0
	v_mov_b32_e32 v3, s1
	buffer_wbl2 sc0 sc1
	s_waitcnt vmcnt(0)
	global_atomic_cmpswap_x2 v[2:3], v8, v[2:5], s[2:3] offset:24 sc0 sc1
	s_waitcnt vmcnt(0)
	v_cmp_eq_u64_e32 vcc, v[2:3], v[4:5]
	s_or_b64 s[4:5], vcc, s[4:5]
	v_mov_b64_e32 v[4:5], v[2:3]
	s_andn2_b64 exec, exec, s[4:5]
	s_cbranch_execnz .LBB3_279
.LBB3_280:
	s_or_b64 exec, exec, s[6:7]
	s_getpc_b64 s[0:1]
	s_add_u32 s0, s0, __FUNCTION__._ZL18flash_attn_ext_f16ILi64ELi64ELi16ELi1ELb1ELb0EEvPKcS1_S1_S1_S1_PKiPfP15HIP_vector_typeIfLj2EEffffjfiS5_IjLj3EEiiiiiiiiiiiliiliiiiil@rel32@lo+4
	s_addc_u32 s1, s1, __FUNCTION__._ZL18flash_attn_ext_f16ILi64ELi64ELi16ELi1ELb1ELb0EEvPKcS1_S1_S1_S1_PKiPfP15HIP_vector_typeIfLj2EEffffjfiS5_IjLj3EEiiiiiiiiiiiliiliiiiil@rel32@hi+12
	s_cmp_lg_u64 s[0:1], 0
	s_cselect_b32 s4, 19, 0
	s_getpc_b64 s[2:3]
	s_add_u32 s2, s2, __ockl_printf_append_string_n@rel32@lo+4
	s_addc_u32 s3, s3, __ockl_printf_append_string_n@rel32@hi+12
	v_mov_b32_e32 v2, s0
	v_mov_b32_e32 v3, s1
	;; [unrolled: 1-line block ×4, first 2 shown]
	s_mov_b64 s[18:19], s[8:9]
	s_swappc_b64 s[30:31], s[2:3]
	s_getpc_b64 s[0:1]
	s_add_u32 s0, s0, __ockl_printf_append_args@rel32@lo+4
	s_addc_u32 s1, s1, __ockl_printf_append_args@rel32@hi+12
	s_mov_b64 s[8:9], s[18:19]
	v_mov_b32_e32 v2, 0x514
	v_mov_b32_e32 v3, 0
	;; [unrolled: 1-line block ×3, first 2 shown]
	s_swappc_b64 s[30:31], s[0:1]
	s_trap 2
.Lfunc_end3:
	.size	_ZL14no_device_codePKciS0_iS0_, .Lfunc_end3-_ZL14no_device_codePKciS0_iS0_
                                        ; -- End function
	.set .L_ZL14no_device_codePKciS0_iS0_.num_vgpr, max(36, .L__ockl_printf_append_string_n.num_vgpr, .L__ockl_printf_append_args.num_vgpr)
	.set .L_ZL14no_device_codePKciS0_iS0_.num_agpr, max(0, .L__ockl_printf_append_string_n.num_agpr, .L__ockl_printf_append_args.num_agpr)
	.set .L_ZL14no_device_codePKciS0_iS0_.numbered_sgpr, max(34, .L__ockl_printf_append_string_n.numbered_sgpr, .L__ockl_printf_append_args.numbered_sgpr)
	.set .L_ZL14no_device_codePKciS0_iS0_.num_named_barrier, max(0, .L__ockl_printf_append_string_n.num_named_barrier, .L__ockl_printf_append_args.num_named_barrier)
	.set .L_ZL14no_device_codePKciS0_iS0_.private_seg_size, 16+max(.L__ockl_printf_append_string_n.private_seg_size, .L__ockl_printf_append_args.private_seg_size)
	.set .L_ZL14no_device_codePKciS0_iS0_.uses_vcc, or(1, .L__ockl_printf_append_string_n.uses_vcc, .L__ockl_printf_append_args.uses_vcc)
	.set .L_ZL14no_device_codePKciS0_iS0_.uses_flat_scratch, or(0, .L__ockl_printf_append_string_n.uses_flat_scratch, .L__ockl_printf_append_args.uses_flat_scratch)
	.set .L_ZL14no_device_codePKciS0_iS0_.has_dyn_sized_stack, or(0, .L__ockl_printf_append_string_n.has_dyn_sized_stack, .L__ockl_printf_append_args.has_dyn_sized_stack)
	.set .L_ZL14no_device_codePKciS0_iS0_.has_recursion, or(0, .L__ockl_printf_append_string_n.has_recursion, .L__ockl_printf_append_args.has_recursion)
	.set .L_ZL14no_device_codePKciS0_iS0_.has_indirect_call, or(0, .L__ockl_printf_append_string_n.has_indirect_call, .L__ockl_printf_append_args.has_indirect_call)
	.section	.AMDGPU.csdata,"",@progbits
; Function info:
; codeLenInByte = 9536
; TotalNumSgprs: 40
; NumVgprs: 50
; NumAgprs: 0
; TotalNumVgprs: 50
; ScratchSize: 16
; MemoryBound: 0
	.section	.text._ZL18flash_attn_ext_f16ILi64ELi64ELi16ELi1ELb1ELb0EEvPKcS1_S1_S1_S1_PKiPfP15HIP_vector_typeIfLj2EEffffjfiS5_IjLj3EEiiiiiiiiiiiliiliiiiil,"axG",@progbits,_ZL18flash_attn_ext_f16ILi64ELi64ELi16ELi1ELb1ELb0EEvPKcS1_S1_S1_S1_PKiPfP15HIP_vector_typeIfLj2EEffffjfiS5_IjLj3EEiiiiiiiiiiiliiliiiiil,comdat
	.globl	_ZL18flash_attn_ext_f16ILi64ELi64ELi16ELi1ELb1ELb0EEvPKcS1_S1_S1_S1_PKiPfP15HIP_vector_typeIfLj2EEffffjfiS5_IjLj3EEiiiiiiiiiiiliiliiiiil ; -- Begin function _ZL18flash_attn_ext_f16ILi64ELi64ELi16ELi1ELb1ELb0EEvPKcS1_S1_S1_S1_PKiPfP15HIP_vector_typeIfLj2EEffffjfiS5_IjLj3EEiiiiiiiiiiiliiliiiiil
	.p2align	8
	.type	_ZL18flash_attn_ext_f16ILi64ELi64ELi16ELi1ELb1ELb0EEvPKcS1_S1_S1_S1_PKiPfP15HIP_vector_typeIfLj2EEffffjfiS5_IjLj3EEiiiiiiiiiiiliiliiiiil,@function
_ZL18flash_attn_ext_f16ILi64ELi64ELi16ELi1ELb1ELb0EEvPKcS1_S1_S1_S1_PKiPfP15HIP_vector_typeIfLj2EEffffjfiS5_IjLj3EEiiiiiiiiiiiliiliiiiil: ; @_ZL18flash_attn_ext_f16ILi64ELi64ELi16ELi1ELb1ELb0EEvPKcS1_S1_S1_S1_PKiPfP15HIP_vector_typeIfLj2EEffffjfiS5_IjLj3EEiiiiiiiiiiiliiliiiiil
; %bb.0:
	s_add_u32 s8, s0, 0xd0
	s_addc_u32 s9, s1, 0
	s_getpc_b64 s[0:1]
	s_add_u32 s0, s0, _ZL14no_device_codePKciS0_iS0_@rel32@lo+4
	s_addc_u32 s1, s1, _ZL14no_device_codePKciS0_iS0_@rel32@hi+12
	s_mov_b32 s32, 0
	s_swappc_b64 s[30:31], s[0:1]
	.section	.rodata,"a",@progbits
	.p2align	6, 0x0
	.amdhsa_kernel _ZL18flash_attn_ext_f16ILi64ELi64ELi16ELi1ELb1ELb0EEvPKcS1_S1_S1_S1_PKiPfP15HIP_vector_typeIfLj2EEffffjfiS5_IjLj3EEiiiiiiiiiiiliiliiiiil
		.amdhsa_group_segment_fixed_size 0
		.amdhsa_private_segment_fixed_size 16
		.amdhsa_kernarg_size 464
		.amdhsa_user_sgpr_count 2
		.amdhsa_user_sgpr_dispatch_ptr 0
		.amdhsa_user_sgpr_queue_ptr 0
		.amdhsa_user_sgpr_kernarg_segment_ptr 1
		.amdhsa_user_sgpr_dispatch_id 0
		.amdhsa_user_sgpr_kernarg_preload_length 0
		.amdhsa_user_sgpr_kernarg_preload_offset 0
		.amdhsa_user_sgpr_private_segment_size 0
		.amdhsa_uses_dynamic_stack 0
		.amdhsa_enable_private_segment 1
		.amdhsa_system_sgpr_workgroup_id_x 1
		.amdhsa_system_sgpr_workgroup_id_y 0
		.amdhsa_system_sgpr_workgroup_id_z 0
		.amdhsa_system_sgpr_workgroup_info 0
		.amdhsa_system_vgpr_workitem_id 0
		.amdhsa_next_free_vgpr 50
		.amdhsa_next_free_sgpr 34
		.amdhsa_accum_offset 52
		.amdhsa_reserve_vcc 1
		.amdhsa_float_round_mode_32 0
		.amdhsa_float_round_mode_16_64 0
		.amdhsa_float_denorm_mode_32 3
		.amdhsa_float_denorm_mode_16_64 3
		.amdhsa_dx10_clamp 1
		.amdhsa_ieee_mode 1
		.amdhsa_fp16_overflow 0
		.amdhsa_tg_split 0
		.amdhsa_exception_fp_ieee_invalid_op 0
		.amdhsa_exception_fp_denorm_src 0
		.amdhsa_exception_fp_ieee_div_zero 0
		.amdhsa_exception_fp_ieee_overflow 0
		.amdhsa_exception_fp_ieee_underflow 0
		.amdhsa_exception_fp_ieee_inexact 0
		.amdhsa_exception_int_div_zero 0
	.end_amdhsa_kernel
	.section	.text._ZL18flash_attn_ext_f16ILi64ELi64ELi16ELi1ELb1ELb0EEvPKcS1_S1_S1_S1_PKiPfP15HIP_vector_typeIfLj2EEffffjfiS5_IjLj3EEiiiiiiiiiiiliiliiiiil,"axG",@progbits,_ZL18flash_attn_ext_f16ILi64ELi64ELi16ELi1ELb1ELb0EEvPKcS1_S1_S1_S1_PKiPfP15HIP_vector_typeIfLj2EEffffjfiS5_IjLj3EEiiiiiiiiiiiliiliiiiil,comdat
.Lfunc_end4:
	.size	_ZL18flash_attn_ext_f16ILi64ELi64ELi16ELi1ELb1ELb0EEvPKcS1_S1_S1_S1_PKiPfP15HIP_vector_typeIfLj2EEffffjfiS5_IjLj3EEiiiiiiiiiiiliiliiiiil, .Lfunc_end4-_ZL18flash_attn_ext_f16ILi64ELi64ELi16ELi1ELb1ELb0EEvPKcS1_S1_S1_S1_PKiPfP15HIP_vector_typeIfLj2EEffffjfiS5_IjLj3EEiiiiiiiiiiiliiliiiiil
                                        ; -- End function
	.set _ZL18flash_attn_ext_f16ILi64ELi64ELi16ELi1ELb1ELb0EEvPKcS1_S1_S1_S1_PKiPfP15HIP_vector_typeIfLj2EEffffjfiS5_IjLj3EEiiiiiiiiiiiliiliiiiil.num_vgpr, max(0, .L_ZL14no_device_codePKciS0_iS0_.num_vgpr)
	.set _ZL18flash_attn_ext_f16ILi64ELi64ELi16ELi1ELb1ELb0EEvPKcS1_S1_S1_S1_PKiPfP15HIP_vector_typeIfLj2EEffffjfiS5_IjLj3EEiiiiiiiiiiiliiliiiiil.num_agpr, max(0, .L_ZL14no_device_codePKciS0_iS0_.num_agpr)
	.set _ZL18flash_attn_ext_f16ILi64ELi64ELi16ELi1ELb1ELb0EEvPKcS1_S1_S1_S1_PKiPfP15HIP_vector_typeIfLj2EEffffjfiS5_IjLj3EEiiiiiiiiiiiliiliiiiil.numbered_sgpr, max(33, .L_ZL14no_device_codePKciS0_iS0_.numbered_sgpr)
	.set _ZL18flash_attn_ext_f16ILi64ELi64ELi16ELi1ELb1ELb0EEvPKcS1_S1_S1_S1_PKiPfP15HIP_vector_typeIfLj2EEffffjfiS5_IjLj3EEiiiiiiiiiiiliiliiiiil.num_named_barrier, max(0, .L_ZL14no_device_codePKciS0_iS0_.num_named_barrier)
	.set _ZL18flash_attn_ext_f16ILi64ELi64ELi16ELi1ELb1ELb0EEvPKcS1_S1_S1_S1_PKiPfP15HIP_vector_typeIfLj2EEffffjfiS5_IjLj3EEiiiiiiiiiiiliiliiiiil.private_seg_size, 0+max(.L_ZL14no_device_codePKciS0_iS0_.private_seg_size)
	.set _ZL18flash_attn_ext_f16ILi64ELi64ELi16ELi1ELb1ELb0EEvPKcS1_S1_S1_S1_PKiPfP15HIP_vector_typeIfLj2EEffffjfiS5_IjLj3EEiiiiiiiiiiiliiliiiiil.uses_vcc, or(1, .L_ZL14no_device_codePKciS0_iS0_.uses_vcc)
	.set _ZL18flash_attn_ext_f16ILi64ELi64ELi16ELi1ELb1ELb0EEvPKcS1_S1_S1_S1_PKiPfP15HIP_vector_typeIfLj2EEffffjfiS5_IjLj3EEiiiiiiiiiiiliiliiiiil.uses_flat_scratch, or(0, .L_ZL14no_device_codePKciS0_iS0_.uses_flat_scratch)
	.set _ZL18flash_attn_ext_f16ILi64ELi64ELi16ELi1ELb1ELb0EEvPKcS1_S1_S1_S1_PKiPfP15HIP_vector_typeIfLj2EEffffjfiS5_IjLj3EEiiiiiiiiiiiliiliiiiil.has_dyn_sized_stack, or(0, .L_ZL14no_device_codePKciS0_iS0_.has_dyn_sized_stack)
	.set _ZL18flash_attn_ext_f16ILi64ELi64ELi16ELi1ELb1ELb0EEvPKcS1_S1_S1_S1_PKiPfP15HIP_vector_typeIfLj2EEffffjfiS5_IjLj3EEiiiiiiiiiiiliiliiiiil.has_recursion, or(0, .L_ZL14no_device_codePKciS0_iS0_.has_recursion)
	.set _ZL18flash_attn_ext_f16ILi64ELi64ELi16ELi1ELb1ELb0EEvPKcS1_S1_S1_S1_PKiPfP15HIP_vector_typeIfLj2EEffffjfiS5_IjLj3EEiiiiiiiiiiiliiliiiiil.has_indirect_call, or(0, .L_ZL14no_device_codePKciS0_iS0_.has_indirect_call)
	.section	.AMDGPU.csdata,"",@progbits
; Kernel info:
; codeLenInByte = 40
; TotalNumSgprs: 40
; NumVgprs: 50
; NumAgprs: 0
; TotalNumVgprs: 50
; ScratchSize: 16
; MemoryBound: 0
; FloatMode: 240
; IeeeMode: 1
; LDSByteSize: 0 bytes/workgroup (compile time only)
; SGPRBlocks: 4
; VGPRBlocks: 6
; NumSGPRsForWavesPerEU: 40
; NumVGPRsForWavesPerEU: 50
; AccumOffset: 52
; Occupancy: 8
; WaveLimiterHint : 1
; COMPUTE_PGM_RSRC2:SCRATCH_EN: 1
; COMPUTE_PGM_RSRC2:USER_SGPR: 2
; COMPUTE_PGM_RSRC2:TRAP_HANDLER: 0
; COMPUTE_PGM_RSRC2:TGID_X_EN: 1
; COMPUTE_PGM_RSRC2:TGID_Y_EN: 0
; COMPUTE_PGM_RSRC2:TGID_Z_EN: 0
; COMPUTE_PGM_RSRC2:TIDIG_COMP_CNT: 0
; COMPUTE_PGM_RSRC3_GFX90A:ACCUM_OFFSET: 12
; COMPUTE_PGM_RSRC3_GFX90A:TG_SPLIT: 0
	.section	.text._ZL25flash_attn_mask_to_KV_maxILi16EEvPK7__half2Piiii,"axG",@progbits,_ZL25flash_attn_mask_to_KV_maxILi16EEvPK7__half2Piiii,comdat
	.globl	_ZL25flash_attn_mask_to_KV_maxILi16EEvPK7__half2Piiii ; -- Begin function _ZL25flash_attn_mask_to_KV_maxILi16EEvPK7__half2Piiii
	.p2align	8
	.type	_ZL25flash_attn_mask_to_KV_maxILi16EEvPK7__half2Piiii,@function
_ZL25flash_attn_mask_to_KV_maxILi16EEvPK7__half2Piiii: ; @_ZL25flash_attn_mask_to_KV_maxILi16EEvPK7__half2Piiii
; %bb.0:
	s_load_dwordx4 s[4:7], s[0:1], 0x0
	v_cmp_gt_u32_e32 vcc, 32, v0
	s_and_saveexec_b64 s[8:9], vcc
; %bb.1:
	v_lshlrev_b32_e32 v1, 2, v0
	v_mov_b32_e32 v2, 1
	ds_write_b32 v1, v2
; %bb.2:
	s_or_b64 exec, exec, s[8:9]
	s_load_dwordx4 s[8:11], s[0:1], 0x10
	s_load_dword s33, s[0:1], 0x20
	v_and_b32_e32 v2, 31, v0
	v_lshlrev_b32_e32 v6, 2, v2
	v_lshrrev_b32_e32 v1, 3, v0
	s_waitcnt lgkmcnt(0)
	s_mul_i32 s1, s2, s9
	s_mul_i32 s0, s10, s3
	s_lshl_b32 s1, s1, 4
	s_add_i32 s0, s0, s1
	s_ashr_i32 s1, s0, 31
	s_lshl_b64 s[0:1], s[0:1], 2
	s_add_u32 s10, s4, s0
	s_addc_u32 s11, s5, s1
	v_cmp_eq_u32_e64 s[0:1], 0, v2
	v_mbcnt_lo_u32_b32 v2, -1, 0
	s_lshl_b32 s8, s8, 8
	s_mov_b64 s[12:13], 0
	v_mov_b32_e32 v3, 0
	s_movk_i32 s74, 0x204
	v_mbcnt_hi_u32_b32 v7, -1, v2
	s_barrier
                                        ; implicit-def: $sgpr4_sgpr5
	s_branch .LBB5_5
.LBB5_3:                                ;   in Loop: Header=BB5_5 Depth=1
	s_or_b64 exec, exec, s[14:15]
	s_waitcnt lgkmcnt(0)
	s_barrier
	ds_read_b32 v10, v6
	s_waitcnt lgkmcnt(0)
	s_barrier
	ds_bpermute_b32 v2, v2, v10
	v_cmp_ne_u32_e32 vcc, 0, v10
	s_waitcnt lgkmcnt(0)
	v_cmp_ne_u32_e64 s[4:5], 0, v2
	s_and_b64 s[4:5], vcc, s[4:5]
	s_nop 0
	v_cndmask_b32_e64 v2, 0, 1, s[4:5]
	ds_bpermute_b32 v2, v4, v2
	s_waitcnt lgkmcnt(0)
	v_cmp_ne_u32_e32 vcc, 0, v2
	s_and_b64 s[4:5], vcc, s[4:5]
	v_cndmask_b32_e64 v2, 0, 1, s[4:5]
	ds_bpermute_b32 v2, v5, v2
	s_waitcnt lgkmcnt(0)
	v_cmp_ne_u32_e32 vcc, 0, v2
	s_and_b64 s[4:5], vcc, s[4:5]
	;; [unrolled: 5-line block ×3, first 2 shown]
	v_cndmask_b32_e64 v2, 0, 1, s[4:5]
	ds_bpermute_b32 v2, v9, v2
	s_xor_b64 s[4:5], s[4:5], -1
	s_waitcnt lgkmcnt(0)
	v_cmp_eq_u32_e32 vcc, 0, v2
	s_or_b64 s[4:5], vcc, s[4:5]
.LBB5_4:                                ;   in Loop: Header=BB5_5 Depth=1
	s_and_b64 s[14:15], exec, s[4:5]
	s_or_b64 s[12:13], s[14:15], s[12:13]
	v_mov_b32_e32 v2, s8
	s_mov_b32 s8, s75
	s_andn2_b64 exec, exec, s[12:13]
	s_cbranch_execz .LBB5_68
.LBB5_5:                                ; =>This Inner Loop Header: Depth=1
	s_add_i32 s75, s8, 0xffffff00
	s_or_b64 s[4:5], s[4:5], exec
	s_cmp_lt_i32 s75, 0
	s_cbranch_scc1 .LBB5_4
; %bb.6:                                ;   in Loop: Header=BB5_5 Depth=1
	s_lshr_b32 s4, s75, 1
	v_add_u32_e32 v2, s4, v0
	v_lshl_add_u64 v[4:5], v[2:3], 2, s[10:11]
	global_load_dword v4, v[4:5], off
	v_mov_b32_e32 v5, 0
	s_waitcnt vmcnt(0)
	v_cmp_class_f16_e64 s[4:5], v4, s74
	v_cmp_class_f16_sdwa s[14:15], v4, s74 src0_sel:WORD_1 src1_sel:DWORD
	s_and_b64 s[14:15], s[4:5], s[14:15]
	s_and_saveexec_b64 s[4:5], s[14:15]
	s_cbranch_execz .LBB5_66
; %bb.7:                                ;   in Loop: Header=BB5_5 Depth=1
	v_add_u32_e32 v4, s9, v2
	v_ashrrev_i32_e32 v5, 31, v4
	v_lshl_add_u64 v[8:9], v[4:5], 2, s[10:11]
	global_load_dword v2, v[8:9], off
	v_mov_b32_e32 v5, 0
	s_waitcnt vmcnt(0)
	v_cmp_class_f16_e64 s[16:17], v2, s74
	s_and_saveexec_b64 s[14:15], s[16:17]
	s_cbranch_execz .LBB5_65
; %bb.8:                                ;   in Loop: Header=BB5_5 Depth=1
	v_cmp_class_f16_sdwa s[18:19], v2, s74 src0_sel:WORD_1 src1_sel:DWORD
	v_mov_b32_e32 v5, 0
	s_and_saveexec_b64 s[16:17], s[18:19]
	s_cbranch_execz .LBB5_64
; %bb.9:                                ;   in Loop: Header=BB5_5 Depth=1
	v_add_u32_e32 v4, s9, v4
	v_ashrrev_i32_e32 v5, 31, v4
	v_lshl_add_u64 v[8:9], v[4:5], 2, s[10:11]
	global_load_dword v2, v[8:9], off
	v_mov_b32_e32 v5, 0
	s_waitcnt vmcnt(0)
	v_cmp_class_f16_e64 s[20:21], v2, s74
	s_and_saveexec_b64 s[18:19], s[20:21]
	s_cbranch_execz .LBB5_63
; %bb.10:                               ;   in Loop: Header=BB5_5 Depth=1
	v_cmp_class_f16_sdwa s[22:23], v2, s74 src0_sel:WORD_1 src1_sel:DWORD
	v_mov_b32_e32 v5, 0
	s_and_saveexec_b64 s[20:21], s[22:23]
	s_cbranch_execz .LBB5_62
; %bb.11:                               ;   in Loop: Header=BB5_5 Depth=1
	v_add_u32_e32 v4, s9, v4
	v_ashrrev_i32_e32 v5, 31, v4
	v_lshl_add_u64 v[8:9], v[4:5], 2, s[10:11]
	global_load_dword v2, v[8:9], off
	v_mov_b32_e32 v5, 0
	s_waitcnt vmcnt(0)
	v_cmp_class_f16_e64 s[24:25], v2, s74
	s_and_saveexec_b64 s[22:23], s[24:25]
	s_cbranch_execz .LBB5_61
; %bb.12:                               ;   in Loop: Header=BB5_5 Depth=1
	v_cmp_class_f16_sdwa s[26:27], v2, s74 src0_sel:WORD_1 src1_sel:DWORD
	v_mov_b32_e32 v5, 0
	s_and_saveexec_b64 s[24:25], s[26:27]
	s_cbranch_execz .LBB5_60
; %bb.13:                               ;   in Loop: Header=BB5_5 Depth=1
	;; [unrolled: 15-line block ×13, first 2 shown]
	v_add_u32_e32 v4, s9, v4
	v_ashrrev_i32_e32 v5, 31, v4
	v_lshl_add_u64 v[4:5], v[4:5], 2, s[10:11]
	global_load_dword v2, v[4:5], off
	v_mov_b32_e32 v5, 0
	s_waitcnt vmcnt(0)
	v_cmp_class_f16_e64 s[76:77], v2, s74
	s_and_saveexec_b64 s[72:73], s[76:77]
; %bb.36:                               ;   in Loop: Header=BB5_5 Depth=1
	v_cmp_class_f16_sdwa s[76:77], v2, s74 src0_sel:WORD_1 src1_sel:DWORD
	s_nop 1
	v_cndmask_b32_e64 v5, 0, 1, s[76:77]
; %bb.37:                               ;   in Loop: Header=BB5_5 Depth=1
	s_or_b64 exec, exec, s[72:73]
.LBB5_38:                               ;   in Loop: Header=BB5_5 Depth=1
	s_or_b64 exec, exec, s[70:71]
.LBB5_39:                               ;   in Loop: Header=BB5_5 Depth=1
	s_or_b64 exec, exec, s[68:69]
.LBB5_40:                               ;   in Loop: Header=BB5_5 Depth=1
	s_or_b64 exec, exec, s[66:67]
.LBB5_41:                               ;   in Loop: Header=BB5_5 Depth=1
	s_or_b64 exec, exec, s[64:65]
.LBB5_42:                               ;   in Loop: Header=BB5_5 Depth=1
	s_or_b64 exec, exec, s[62:63]
.LBB5_43:                               ;   in Loop: Header=BB5_5 Depth=1
	s_or_b64 exec, exec, s[60:61]
.LBB5_44:                               ;   in Loop: Header=BB5_5 Depth=1
	s_or_b64 exec, exec, s[58:59]
.LBB5_45:                               ;   in Loop: Header=BB5_5 Depth=1
	s_or_b64 exec, exec, s[56:57]
.LBB5_46:                               ;   in Loop: Header=BB5_5 Depth=1
	s_or_b64 exec, exec, s[54:55]
.LBB5_47:                               ;   in Loop: Header=BB5_5 Depth=1
	s_or_b64 exec, exec, s[52:53]
.LBB5_48:                               ;   in Loop: Header=BB5_5 Depth=1
	s_or_b64 exec, exec, s[50:51]
.LBB5_49:                               ;   in Loop: Header=BB5_5 Depth=1
	s_or_b64 exec, exec, s[48:49]
.LBB5_50:                               ;   in Loop: Header=BB5_5 Depth=1
	s_or_b64 exec, exec, s[46:47]
.LBB5_51:                               ;   in Loop: Header=BB5_5 Depth=1
	s_or_b64 exec, exec, s[44:45]
.LBB5_52:                               ;   in Loop: Header=BB5_5 Depth=1
	s_or_b64 exec, exec, s[42:43]
.LBB5_53:                               ;   in Loop: Header=BB5_5 Depth=1
	s_or_b64 exec, exec, s[40:41]
.LBB5_54:                               ;   in Loop: Header=BB5_5 Depth=1
	s_or_b64 exec, exec, s[38:39]
.LBB5_55:                               ;   in Loop: Header=BB5_5 Depth=1
	s_or_b64 exec, exec, s[36:37]
.LBB5_56:                               ;   in Loop: Header=BB5_5 Depth=1
	s_or_b64 exec, exec, s[34:35]
.LBB5_57:                               ;   in Loop: Header=BB5_5 Depth=1
	s_or_b64 exec, exec, s[30:31]
.LBB5_58:                               ;   in Loop: Header=BB5_5 Depth=1
	s_or_b64 exec, exec, s[28:29]
.LBB5_59:                               ;   in Loop: Header=BB5_5 Depth=1
	s_or_b64 exec, exec, s[26:27]
.LBB5_60:                               ;   in Loop: Header=BB5_5 Depth=1
	s_or_b64 exec, exec, s[24:25]
.LBB5_61:                               ;   in Loop: Header=BB5_5 Depth=1
	s_or_b64 exec, exec, s[22:23]
.LBB5_62:                               ;   in Loop: Header=BB5_5 Depth=1
	s_or_b64 exec, exec, s[20:21]
.LBB5_63:                               ;   in Loop: Header=BB5_5 Depth=1
	s_or_b64 exec, exec, s[18:19]
.LBB5_64:                               ;   in Loop: Header=BB5_5 Depth=1
	s_or_b64 exec, exec, s[16:17]
.LBB5_65:                               ;   in Loop: Header=BB5_5 Depth=1
	s_or_b64 exec, exec, s[14:15]
.LBB5_66:                               ;   in Loop: Header=BB5_5 Depth=1
	s_or_b64 exec, exec, s[4:5]
	v_and_b32_e32 v2, 0x60, v7
	v_add_u32_e32 v9, 32, v2
	v_xor_b32_e32 v2, 16, v7
	v_cmp_lt_i32_e32 vcc, v2, v9
	v_xor_b32_e32 v11, 1, v7
	s_nop 0
	v_cndmask_b32_e32 v2, v7, v2, vcc
	v_lshlrev_b32_e32 v2, 2, v2
	ds_bpermute_b32 v4, v2, v5
	v_cmp_ne_u32_e32 vcc, 0, v5
	s_waitcnt lgkmcnt(0)
	v_cmp_ne_u32_e64 s[4:5], 0, v4
	v_xor_b32_e32 v4, 8, v7
	s_and_b64 s[4:5], vcc, s[4:5]
	v_cmp_lt_i32_e32 vcc, v4, v9
	v_cndmask_b32_e64 v5, 0, 1, s[4:5]
	s_nop 0
	v_cndmask_b32_e32 v4, v7, v4, vcc
	v_lshlrev_b32_e32 v4, 2, v4
	ds_bpermute_b32 v5, v4, v5
	s_waitcnt lgkmcnt(0)
	v_cmp_ne_u32_e32 vcc, 0, v5
	v_xor_b32_e32 v5, 4, v7
	s_and_b64 s[4:5], vcc, s[4:5]
	v_cmp_lt_i32_e32 vcc, v5, v9
	v_cndmask_b32_e64 v8, 0, 1, s[4:5]
	s_nop 0
	v_cndmask_b32_e32 v5, v7, v5, vcc
	v_lshlrev_b32_e32 v5, 2, v5
	ds_bpermute_b32 v8, v5, v8
	s_waitcnt lgkmcnt(0)
	v_cmp_ne_u32_e32 vcc, 0, v8
	;; [unrolled: 10-line block ×3, first 2 shown]
	s_and_b64 s[4:5], vcc, s[4:5]
	v_cmp_lt_i32_e32 vcc, v11, v9
	v_cndmask_b32_e64 v10, 0, 1, s[4:5]
	s_nop 0
	v_cndmask_b32_e32 v9, v7, v11, vcc
	v_lshlrev_b32_e32 v9, 2, v9
	ds_bpermute_b32 v10, v9, v10
	s_and_saveexec_b64 s[14:15], s[0:1]
	s_cbranch_execz .LBB5_3
; %bb.67:                               ;   in Loop: Header=BB5_5 Depth=1
	s_waitcnt lgkmcnt(0)
	v_cmp_ne_u32_e32 vcc, 0, v10
	s_and_b64 s[4:5], vcc, s[4:5]
	v_cndmask_b32_e64 v10, 0, 1, s[4:5]
	ds_write_b32 v1, v10
	s_branch .LBB5_3
.LBB5_68:
	s_or_b64 exec, exec, s[12:13]
	v_cmp_eq_u32_e32 vcc, 0, v0
	s_and_saveexec_b64 s[0:1], vcc
	s_cbranch_execz .LBB5_70
; %bb.69:
	s_mul_i32 s0, s33, s3
	s_add_i32 s0, s0, s2
	s_ashr_i32 s1, s0, 31
	s_lshl_b64 s[0:1], s[0:1], 2
	s_add_u32 s0, s6, s0
	s_addc_u32 s1, s7, s1
	v_mov_b32_e32 v0, 0
	global_store_dword v0, v2, s[0:1]
.LBB5_70:
	s_endpgm
	.section	.rodata,"a",@progbits
	.p2align	6, 0x0
	.amdhsa_kernel _ZL25flash_attn_mask_to_KV_maxILi16EEvPK7__half2Piiii
		.amdhsa_group_segment_fixed_size 128
		.amdhsa_private_segment_fixed_size 0
		.amdhsa_kernarg_size 288
		.amdhsa_user_sgpr_count 2
		.amdhsa_user_sgpr_dispatch_ptr 0
		.amdhsa_user_sgpr_queue_ptr 0
		.amdhsa_user_sgpr_kernarg_segment_ptr 1
		.amdhsa_user_sgpr_dispatch_id 0
		.amdhsa_user_sgpr_kernarg_preload_length 0
		.amdhsa_user_sgpr_kernarg_preload_offset 0
		.amdhsa_user_sgpr_private_segment_size 0
		.amdhsa_uses_dynamic_stack 0
		.amdhsa_enable_private_segment 0
		.amdhsa_system_sgpr_workgroup_id_x 1
		.amdhsa_system_sgpr_workgroup_id_y 1
		.amdhsa_system_sgpr_workgroup_id_z 0
		.amdhsa_system_sgpr_workgroup_info 0
		.amdhsa_system_vgpr_workitem_id 0
		.amdhsa_next_free_vgpr 12
		.amdhsa_next_free_sgpr 78
		.amdhsa_accum_offset 12
		.amdhsa_reserve_vcc 1
		.amdhsa_float_round_mode_32 0
		.amdhsa_float_round_mode_16_64 0
		.amdhsa_float_denorm_mode_32 3
		.amdhsa_float_denorm_mode_16_64 3
		.amdhsa_dx10_clamp 1
		.amdhsa_ieee_mode 1
		.amdhsa_fp16_overflow 0
		.amdhsa_tg_split 0
		.amdhsa_exception_fp_ieee_invalid_op 0
		.amdhsa_exception_fp_denorm_src 0
		.amdhsa_exception_fp_ieee_div_zero 0
		.amdhsa_exception_fp_ieee_overflow 0
		.amdhsa_exception_fp_ieee_underflow 0
		.amdhsa_exception_fp_ieee_inexact 0
		.amdhsa_exception_int_div_zero 0
	.end_amdhsa_kernel
	.section	.text._ZL25flash_attn_mask_to_KV_maxILi16EEvPK7__half2Piiii,"axG",@progbits,_ZL25flash_attn_mask_to_KV_maxILi16EEvPK7__half2Piiii,comdat
.Lfunc_end5:
	.size	_ZL25flash_attn_mask_to_KV_maxILi16EEvPK7__half2Piiii, .Lfunc_end5-_ZL25flash_attn_mask_to_KV_maxILi16EEvPK7__half2Piiii
                                        ; -- End function
	.set _ZL25flash_attn_mask_to_KV_maxILi16EEvPK7__half2Piiii.num_vgpr, 12
	.set _ZL25flash_attn_mask_to_KV_maxILi16EEvPK7__half2Piiii.num_agpr, 0
	.set _ZL25flash_attn_mask_to_KV_maxILi16EEvPK7__half2Piiii.numbered_sgpr, 78
	.set _ZL25flash_attn_mask_to_KV_maxILi16EEvPK7__half2Piiii.num_named_barrier, 0
	.set _ZL25flash_attn_mask_to_KV_maxILi16EEvPK7__half2Piiii.private_seg_size, 0
	.set _ZL25flash_attn_mask_to_KV_maxILi16EEvPK7__half2Piiii.uses_vcc, 1
	.set _ZL25flash_attn_mask_to_KV_maxILi16EEvPK7__half2Piiii.uses_flat_scratch, 0
	.set _ZL25flash_attn_mask_to_KV_maxILi16EEvPK7__half2Piiii.has_dyn_sized_stack, 0
	.set _ZL25flash_attn_mask_to_KV_maxILi16EEvPK7__half2Piiii.has_recursion, 0
	.set _ZL25flash_attn_mask_to_KV_maxILi16EEvPK7__half2Piiii.has_indirect_call, 0
	.section	.AMDGPU.csdata,"",@progbits
; Kernel info:
; codeLenInByte = 1900
; TotalNumSgprs: 84
; NumVgprs: 12
; NumAgprs: 0
; TotalNumVgprs: 12
; ScratchSize: 0
; MemoryBound: 0
; FloatMode: 240
; IeeeMode: 1
; LDSByteSize: 128 bytes/workgroup (compile time only)
; SGPRBlocks: 10
; VGPRBlocks: 1
; NumSGPRsForWavesPerEU: 84
; NumVGPRsForWavesPerEU: 12
; AccumOffset: 12
; Occupancy: 8
; WaveLimiterHint : 0
; COMPUTE_PGM_RSRC2:SCRATCH_EN: 0
; COMPUTE_PGM_RSRC2:USER_SGPR: 2
; COMPUTE_PGM_RSRC2:TRAP_HANDLER: 0
; COMPUTE_PGM_RSRC2:TGID_X_EN: 1
; COMPUTE_PGM_RSRC2:TGID_Y_EN: 1
; COMPUTE_PGM_RSRC2:TGID_Z_EN: 0
; COMPUTE_PGM_RSRC2:TIDIG_COMP_CNT: 0
; COMPUTE_PGM_RSRC3_GFX90A:ACCUM_OFFSET: 2
; COMPUTE_PGM_RSRC3_GFX90A:TG_SPLIT: 0
	.section	.text._ZL33flash_attn_stream_k_fixup_uniformILi64ELi16ELi1EEvPfPK15HIP_vector_typeIfLj2EEiiiiiiS1_IjLj3EES5_S5_,"axG",@progbits,_ZL33flash_attn_stream_k_fixup_uniformILi64ELi16ELi1EEvPfPK15HIP_vector_typeIfLj2EEiiiiiiS1_IjLj3EES5_S5_,comdat
	.globl	_ZL33flash_attn_stream_k_fixup_uniformILi64ELi16ELi1EEvPfPK15HIP_vector_typeIfLj2EEiiiiiiS1_IjLj3EES5_S5_ ; -- Begin function _ZL33flash_attn_stream_k_fixup_uniformILi64ELi16ELi1EEvPfPK15HIP_vector_typeIfLj2EEiiiiiiS1_IjLj3EES5_S5_
	.p2align	8
	.type	_ZL33flash_attn_stream_k_fixup_uniformILi64ELi16ELi1EEvPfPK15HIP_vector_typeIfLj2EEiiiiiiS1_IjLj3EES5_S5_,@function
_ZL33flash_attn_stream_k_fixup_uniformILi64ELi16ELi1EEvPfPK15HIP_vector_typeIfLj2EEiiiiiiS1_IjLj3EES5_S5_: ; @_ZL33flash_attn_stream_k_fixup_uniformILi64ELi16ELi1EEvPfPK15HIP_vector_typeIfLj2EEiiiiiiS1_IjLj3EES5_S5_
; %bb.0:
	s_load_dwordx8 s[8:15], s[0:1], 0x1c
	s_load_dwordx2 s[6:7], s[0:1], 0x10
	s_load_dwordx4 s[20:23], s[0:1], 0x3c
	s_waitcnt lgkmcnt(0)
	s_mul_hi_u32 s5, s11, s2
	s_add_i32 s5, s2, s5
	s_lshr_b32 s5, s5, s12
	s_mul_i32 s11, s5, s13
	s_sub_i32 s11, s2, s11
	s_mul_hi_u32 s12, s11, s14
	s_add_i32 s12, s11, s12
	s_lshr_b32 s16, s12, s15
	s_mul_i32 s12, s16, s20
	s_sub_i32 s12, s11, s12
	;; [unrolled: 5-line block ×3, first 2 shown]
	s_lshl_b32 s12, s17, 4
	s_add_i32 s12, s12, s3
	s_cmp_lt_i32 s12, s6
	s_cselect_b64 s[12:13], -1, 0
	s_add_i32 s14, s11, s4
	s_cmp_lt_i32 s14, s9
	s_cselect_b64 s[14:15], -1, 0
	s_and_b64 s[12:13], s[12:13], s[14:15]
	s_andn2_b64 vcc, exec, s[12:13]
	s_cbranch_vccnz .LBB6_6
; %bb.1:
	s_load_dwordx4 s[12:15], s[0:1], 0x0
	s_mul_i32 s0, s5, s6
	s_add_i32 s0, s0, s3
	s_mul_i32 s0, s0, s7
	s_mul_i32 s16, s16, s9
	s_add_i32 s0, s0, s4
	s_add_i32 s0, s0, s16
	s_mul_i32 s1, s7, s17
	s_add_i32 s0, s0, s11
	s_lshl_b32 s1, s1, 10
	s_lshl_b32 s0, s0, 6
	s_add_i32 s1, s1, s0
	v_or_b32_e32 v4, s1, v0
	s_waitcnt lgkmcnt(0)
	v_mov_b32_e32 v2, s12
	v_mov_b32_e32 v3, s13
	v_ashrrev_i32_e32 v5, 31, v4
	v_lshl_add_u64 v[2:3], v[4:5], 2, v[2:3]
	global_load_dword v5, v[2:3], off
	s_mul_i32 s6, s10, s2
	s_add_i32 s7, s6, s10
	s_add_i32 s3, s3, s4
	s_lshl_b32 s0, s7, 4
	s_add_i32 s0, s3, s0
	s_add_i32 s0, s0, -16
	s_ashr_i32 s1, s0, 31
	s_lshl_b64 s[0:1], s[0:1], 3
	s_add_u32 s0, s14, s0
	s_addc_u32 s1, s15, s1
	s_load_dword s9, s[0:1], 0x4
	s_add_i32 s4, s7, -2
	s_cmp_lt_i32 s4, s6
	s_cbranch_scc1 .LBB6_4
; %bb.2:
	s_lshl_b32 s4, s8, 6
	s_ashr_i32 s5, s4, 31
	s_lshl_b64 s[4:5], s[4:5], 2
	s_add_u32 s4, s14, s4
	s_addc_u32 s5, s15, s5
	s_add_i32 s2, s2, 1
	s_mul_i32 s2, s10, s2
	s_load_dword s0, s[0:1], 0x0
	s_lshl_b32 s1, s3, 6
	s_lshl_b32 s10, s2, 10
	s_add_i32 s1, s1, s10
	v_or_b32_e32 v0, s1, v0
	s_lshl_b32 s1, s2, 4
	s_add_i32 s1, s3, s1
	s_lshl_b32 s2, s8, 4
	s_add_i32 s1, s1, s2
	s_add_i32 s7, s7, -1
	v_add_u32_e32 v0, 0xfffff800, v0
	s_sub_i32 s2, s1, 32
	s_waitcnt lgkmcnt(0)
	v_mov_b32_e32 v7, s0
	v_mov_b32_e32 v4, s9
	s_mov_b32 s8, 0x3fb8aa3b
	s_mov_b32 s9, 0xc2ce8ed0
	;; [unrolled: 1-line block ×3, first 2 shown]
	v_mov_b32_e32 v6, 0x7f800000
	s_mov_b32 s11, 0xc1a00000
.LBB6_3:                                ; =>This Inner Loop Header: Depth=1
	v_ashrrev_i32_e32 v1, 31, v0
	v_lshl_add_u64 v[8:9], v[0:1], 2, s[4:5]
	global_load_dword v9, v[8:9], off
	s_ashr_i32 s3, s2, 31
	s_lshl_b64 s[0:1], s[2:3], 3
	s_add_u32 s0, s14, s0
	s_addc_u32 s1, s15, s1
	s_load_dwordx2 s[0:1], s[0:1], 0x0
	v_max_f32_e32 v1, v7, v7
	s_add_i32 s7, s7, -1
	s_add_i32 s2, s2, -16
	v_add_u32_e32 v0, 0xfffffc00, v0
	s_waitcnt lgkmcnt(0)
	v_max_f32_e64 v10, s0, s0
	v_max_f32_e32 v1, v1, v10
	v_sub_f32_e32 v11, s0, v1
	v_sub_f32_e32 v10, v7, v1
	v_mul_f32_e32 v12, 0x3fb8aa3b, v11
	v_mov_b32_e32 v7, v1
	v_mul_f32_e32 v1, 0x3fb8aa3b, v10
	v_fma_f32 v15, v11, s8, -v12
	v_rndne_f32_e32 v16, v12
	v_fma_f32 v13, v10, s8, -v1
	v_rndne_f32_e32 v14, v1
	v_fmac_f32_e32 v15, 0x32a5705f, v11
	v_sub_f32_e32 v12, v12, v16
	v_fmac_f32_e32 v13, 0x32a5705f, v10
	v_sub_f32_e32 v1, v1, v14
	v_add_f32_e32 v12, v12, v15
	v_cvt_i32_f32_e32 v16, v16
	v_add_f32_e32 v1, v1, v13
	v_exp_f32_e32 v12, v12
	v_cvt_i32_f32_e32 v14, v14
	v_exp_f32_e32 v1, v1
	v_cmp_ngt_f32_e32 vcc, s9, v11
	v_ldexp_f32 v12, v12, v16
	v_mov_b32_e32 v8, s1
	v_ldexp_f32 v1, v1, v14
	v_cmp_ngt_f32_e64 s[0:1], s9, v10
	v_cndmask_b32_e32 v12, 0, v12, vcc
	v_cmp_nlt_f32_e32 vcc, s10, v11
	v_cndmask_b32_e64 v1, 0, v1, s[0:1]
	v_cmp_nlt_f32_e64 s[0:1], s10, v10
	v_cndmask_b32_e32 v12, v6, v12, vcc
	v_cmp_le_f32_e32 vcc, s11, v11
	v_cndmask_b32_e64 v1, v6, v1, s[0:1]
	v_cmp_le_f32_e64 s[0:1], s11, v10
	v_cndmask_b32_e32 v12, 0, v12, vcc
	s_cmp_le_i32 s7, s6
	v_cndmask_b32_e64 v10, 0, v1, s[0:1]
	s_waitcnt vmcnt(0)
	v_pk_mul_f32 v[8:9], v[8:9], v[12:13] op_sel_hi:[1,0]
	s_nop 0
	v_pk_fma_f32 v[4:5], v[4:5], v[10:11], v[8:9] op_sel_hi:[1,0,1]
	s_cbranch_scc0 .LBB6_3
	s_branch .LBB6_5
.LBB6_4:
	s_waitcnt lgkmcnt(0)
	v_mov_b32_e32 v4, s9
.LBB6_5:
	s_waitcnt vmcnt(0)
	v_div_scale_f32 v0, s[0:1], v4, v4, v5
	v_rcp_f32_e32 v1, v0
	v_div_scale_f32 v6, vcc, v5, v4, v5
	v_fma_f32 v7, -v0, v1, 1.0
	v_fmac_f32_e32 v1, v7, v1
	v_mul_f32_e32 v7, v6, v1
	v_fma_f32 v8, -v0, v7, v6
	v_fmac_f32_e32 v7, v8, v1
	v_fma_f32 v0, -v0, v7, v6
	v_div_fmas_f32 v0, v0, v1, v7
	v_div_fixup_f32 v0, v0, v4, v5
	global_store_dword v[2:3], v0, off
.LBB6_6:
	s_endpgm
	.section	.rodata,"a",@progbits
	.p2align	6, 0x0
	.amdhsa_kernel _ZL33flash_attn_stream_k_fixup_uniformILi64ELi16ELi1EEvPfPK15HIP_vector_typeIfLj2EEiiiiiiS1_IjLj3EES5_S5_
		.amdhsa_group_segment_fixed_size 0
		.amdhsa_private_segment_fixed_size 0
		.amdhsa_kernarg_size 76
		.amdhsa_user_sgpr_count 2
		.amdhsa_user_sgpr_dispatch_ptr 0
		.amdhsa_user_sgpr_queue_ptr 0
		.amdhsa_user_sgpr_kernarg_segment_ptr 1
		.amdhsa_user_sgpr_dispatch_id 0
		.amdhsa_user_sgpr_kernarg_preload_length 0
		.amdhsa_user_sgpr_kernarg_preload_offset 0
		.amdhsa_user_sgpr_private_segment_size 0
		.amdhsa_uses_dynamic_stack 0
		.amdhsa_enable_private_segment 0
		.amdhsa_system_sgpr_workgroup_id_x 1
		.amdhsa_system_sgpr_workgroup_id_y 1
		.amdhsa_system_sgpr_workgroup_id_z 1
		.amdhsa_system_sgpr_workgroup_info 0
		.amdhsa_system_vgpr_workitem_id 0
		.amdhsa_next_free_vgpr 17
		.amdhsa_next_free_sgpr 24
		.amdhsa_accum_offset 20
		.amdhsa_reserve_vcc 1
		.amdhsa_float_round_mode_32 0
		.amdhsa_float_round_mode_16_64 0
		.amdhsa_float_denorm_mode_32 3
		.amdhsa_float_denorm_mode_16_64 3
		.amdhsa_dx10_clamp 1
		.amdhsa_ieee_mode 1
		.amdhsa_fp16_overflow 0
		.amdhsa_tg_split 0
		.amdhsa_exception_fp_ieee_invalid_op 0
		.amdhsa_exception_fp_denorm_src 0
		.amdhsa_exception_fp_ieee_div_zero 0
		.amdhsa_exception_fp_ieee_overflow 0
		.amdhsa_exception_fp_ieee_underflow 0
		.amdhsa_exception_fp_ieee_inexact 0
		.amdhsa_exception_int_div_zero 0
	.end_amdhsa_kernel
	.section	.text._ZL33flash_attn_stream_k_fixup_uniformILi64ELi16ELi1EEvPfPK15HIP_vector_typeIfLj2EEiiiiiiS1_IjLj3EES5_S5_,"axG",@progbits,_ZL33flash_attn_stream_k_fixup_uniformILi64ELi16ELi1EEvPfPK15HIP_vector_typeIfLj2EEiiiiiiS1_IjLj3EES5_S5_,comdat
.Lfunc_end6:
	.size	_ZL33flash_attn_stream_k_fixup_uniformILi64ELi16ELi1EEvPfPK15HIP_vector_typeIfLj2EEiiiiiiS1_IjLj3EES5_S5_, .Lfunc_end6-_ZL33flash_attn_stream_k_fixup_uniformILi64ELi16ELi1EEvPfPK15HIP_vector_typeIfLj2EEiiiiiiS1_IjLj3EES5_S5_
                                        ; -- End function
	.set _ZL33flash_attn_stream_k_fixup_uniformILi64ELi16ELi1EEvPfPK15HIP_vector_typeIfLj2EEiiiiiiS1_IjLj3EES5_S5_.num_vgpr, 17
	.set _ZL33flash_attn_stream_k_fixup_uniformILi64ELi16ELi1EEvPfPK15HIP_vector_typeIfLj2EEiiiiiiS1_IjLj3EES5_S5_.num_agpr, 0
	.set _ZL33flash_attn_stream_k_fixup_uniformILi64ELi16ELi1EEvPfPK15HIP_vector_typeIfLj2EEiiiiiiS1_IjLj3EES5_S5_.numbered_sgpr, 24
	.set _ZL33flash_attn_stream_k_fixup_uniformILi64ELi16ELi1EEvPfPK15HIP_vector_typeIfLj2EEiiiiiiS1_IjLj3EES5_S5_.num_named_barrier, 0
	.set _ZL33flash_attn_stream_k_fixup_uniformILi64ELi16ELi1EEvPfPK15HIP_vector_typeIfLj2EEiiiiiiS1_IjLj3EES5_S5_.private_seg_size, 0
	.set _ZL33flash_attn_stream_k_fixup_uniformILi64ELi16ELi1EEvPfPK15HIP_vector_typeIfLj2EEiiiiiiS1_IjLj3EES5_S5_.uses_vcc, 1
	.set _ZL33flash_attn_stream_k_fixup_uniformILi64ELi16ELi1EEvPfPK15HIP_vector_typeIfLj2EEiiiiiiS1_IjLj3EES5_S5_.uses_flat_scratch, 0
	.set _ZL33flash_attn_stream_k_fixup_uniformILi64ELi16ELi1EEvPfPK15HIP_vector_typeIfLj2EEiiiiiiS1_IjLj3EES5_S5_.has_dyn_sized_stack, 0
	.set _ZL33flash_attn_stream_k_fixup_uniformILi64ELi16ELi1EEvPfPK15HIP_vector_typeIfLj2EEiiiiiiS1_IjLj3EES5_S5_.has_recursion, 0
	.set _ZL33flash_attn_stream_k_fixup_uniformILi64ELi16ELi1EEvPfPK15HIP_vector_typeIfLj2EEiiiiiiS1_IjLj3EES5_S5_.has_indirect_call, 0
	.section	.AMDGPU.csdata,"",@progbits
; Kernel info:
; codeLenInByte = 816
; TotalNumSgprs: 30
; NumVgprs: 17
; NumAgprs: 0
; TotalNumVgprs: 17
; ScratchSize: 0
; MemoryBound: 0
; FloatMode: 240
; IeeeMode: 1
; LDSByteSize: 0 bytes/workgroup (compile time only)
; SGPRBlocks: 3
; VGPRBlocks: 2
; NumSGPRsForWavesPerEU: 30
; NumVGPRsForWavesPerEU: 17
; AccumOffset: 20
; Occupancy: 8
; WaveLimiterHint : 0
; COMPUTE_PGM_RSRC2:SCRATCH_EN: 0
; COMPUTE_PGM_RSRC2:USER_SGPR: 2
; COMPUTE_PGM_RSRC2:TRAP_HANDLER: 0
; COMPUTE_PGM_RSRC2:TGID_X_EN: 1
; COMPUTE_PGM_RSRC2:TGID_Y_EN: 1
; COMPUTE_PGM_RSRC2:TGID_Z_EN: 1
; COMPUTE_PGM_RSRC2:TIDIG_COMP_CNT: 0
; COMPUTE_PGM_RSRC3_GFX90A:ACCUM_OFFSET: 4
; COMPUTE_PGM_RSRC3_GFX90A:TG_SPLIT: 0
	.section	.text._ZL33flash_attn_stream_k_fixup_generalILi64ELi16ELi1EEvPfPK15HIP_vector_typeIfLj2EEiiiiS1_IjLj3EES5_S5_S5_,"axG",@progbits,_ZL33flash_attn_stream_k_fixup_generalILi64ELi16ELi1EEvPfPK15HIP_vector_typeIfLj2EEiiiiS1_IjLj3EES5_S5_S5_,comdat
	.globl	_ZL33flash_attn_stream_k_fixup_generalILi64ELi16ELi1EEvPfPK15HIP_vector_typeIfLj2EEiiiiS1_IjLj3EES5_S5_S5_ ; -- Begin function _ZL33flash_attn_stream_k_fixup_generalILi64ELi16ELi1EEvPfPK15HIP_vector_typeIfLj2EEiiiiS1_IjLj3EES5_S5_S5_
	.p2align	8
	.type	_ZL33flash_attn_stream_k_fixup_generalILi64ELi16ELi1EEvPfPK15HIP_vector_typeIfLj2EEiiiiS1_IjLj3EES5_S5_S5_,@function
_ZL33flash_attn_stream_k_fixup_generalILi64ELi16ELi1EEvPfPK15HIP_vector_typeIfLj2EEiiiiS1_IjLj3EES5_S5_S5_: ; @_ZL33flash_attn_stream_k_fixup_generalILi64ELi16ELi1EEvPfPK15HIP_vector_typeIfLj2EEiiiiS1_IjLj3EES5_S5_S5_
; %bb.0:
	s_load_dwordx4 s[8:11], s[0:1], 0x10
	s_load_dword s22, s[0:1], 0x50
	s_mov_b32 s12, 0
	s_waitcnt lgkmcnt(0)
	s_mul_hi_i32 s13, s11, s2
	s_cmp_lg_u64 s[12:13], 0
	s_mul_i32 s5, s11, s2
	s_cbranch_scc0 .LBB7_20
; %bb.1:
	s_add_u32 s6, s22, 0
	s_addc_u32 s7, 0, 0
	s_xor_b64 s[6:7], s[6:7], 0
	v_cvt_f32_u32_e32 v1, s6
	v_cvt_f32_u32_e32 v2, s7
	s_sub_u32 s12, 0, s6
	s_subb_u32 s18, 0, s7
	v_fmamk_f32 v1, v2, 0x4f800000, v1
	v_rcp_f32_e32 v1, v1
	s_nop 0
	v_mul_f32_e32 v1, 0x5f7ffffc, v1
	v_mul_f32_e32 v2, 0x2f800000, v1
	v_trunc_f32_e32 v2, v2
	v_fmamk_f32 v1, v2, 0xcf800000, v1
	v_cvt_u32_f32_e32 v2, v2
	v_cvt_u32_f32_e32 v1, v1
	v_readfirstlane_b32 s19, v2
	v_readfirstlane_b32 s14, v1
	s_mul_i32 s15, s12, s19
	s_mul_hi_u32 s21, s12, s14
	s_mul_i32 s20, s18, s14
	s_add_i32 s15, s21, s15
	s_add_i32 s15, s15, s20
	s_mul_i32 s23, s12, s14
	s_mul_i32 s21, s14, s15
	s_mul_hi_u32 s24, s14, s23
	s_mul_hi_u32 s20, s14, s15
	s_add_u32 s21, s24, s21
	s_addc_u32 s20, 0, s20
	s_mul_hi_u32 s25, s19, s23
	s_mul_i32 s23, s19, s23
	s_add_u32 s21, s21, s23
	s_mul_hi_u32 s24, s19, s15
	s_addc_u32 s20, s20, s25
	s_addc_u32 s21, s24, 0
	s_mul_i32 s15, s19, s15
	s_add_u32 s15, s20, s15
	s_addc_u32 s20, 0, s21
	s_add_u32 s21, s14, s15
	s_cselect_b64 s[14:15], -1, 0
	s_cmp_lg_u64 s[14:15], 0
	s_addc_u32 s19, s19, s20
	s_mul_i32 s14, s12, s19
	s_mul_hi_u32 s15, s12, s21
	s_add_i32 s14, s15, s14
	s_mul_i32 s18, s18, s21
	s_add_i32 s14, s14, s18
	s_mul_i32 s12, s12, s21
	s_mul_hi_u32 s18, s19, s12
	s_mul_i32 s20, s19, s12
	s_mul_i32 s24, s21, s14
	s_mul_hi_u32 s12, s21, s12
	s_mul_hi_u32 s23, s21, s14
	s_add_u32 s12, s12, s24
	s_addc_u32 s23, 0, s23
	s_add_u32 s12, s12, s20
	s_mul_hi_u32 s15, s19, s14
	s_addc_u32 s12, s23, s18
	s_addc_u32 s15, s15, 0
	s_mul_i32 s14, s19, s14
	s_add_u32 s12, s12, s14
	s_addc_u32 s18, 0, s15
	s_add_u32 s20, s21, s12
	s_cselect_b64 s[14:15], -1, 0
	s_cmp_lg_u64 s[14:15], 0
	s_addc_u32 s18, s19, s18
	s_ashr_i32 s14, s13, 31
	s_add_u32 s12, s5, s14
	s_mov_b32 s15, s14
	s_addc_u32 s13, s13, s14
	s_xor_b64 s[12:13], s[12:13], s[14:15]
	s_mul_i32 s21, s12, s18
	s_mul_hi_u32 s23, s12, s20
	s_mul_hi_u32 s19, s12, s18
	s_add_u32 s21, s23, s21
	s_addc_u32 s19, 0, s19
	s_mul_hi_u32 s24, s13, s20
	s_mul_i32 s20, s13, s20
	s_add_u32 s20, s21, s20
	s_mul_hi_u32 s23, s13, s18
	s_addc_u32 s19, s19, s24
	s_addc_u32 s20, s23, 0
	s_mul_i32 s18, s13, s18
	s_add_u32 s23, s19, s18
	s_addc_u32 s24, 0, s20
	s_mul_i32 s18, s6, s24
	s_mul_hi_u32 s19, s6, s23
	s_add_i32 s18, s19, s18
	s_mul_i32 s19, s7, s23
	s_add_i32 s25, s18, s19
	s_sub_i32 s20, s13, s25
	s_mul_i32 s18, s6, s23
	s_sub_u32 s12, s12, s18
	s_cselect_b64 s[18:19], -1, 0
	s_cmp_lg_u64 s[18:19], 0
	s_subb_u32 s26, s20, s7
	s_sub_u32 s27, s12, s6
	s_cselect_b64 s[20:21], -1, 0
	s_cmp_lg_u64 s[20:21], 0
	s_subb_u32 s20, s26, 0
	s_cmp_ge_u32 s20, s7
	s_cselect_b32 s21, -1, 0
	s_cmp_ge_u32 s27, s6
	s_cselect_b32 s26, -1, 0
	s_cmp_eq_u32 s20, s7
	s_cselect_b32 s20, s26, s21
	s_add_u32 s21, s23, 1
	s_addc_u32 s26, s24, 0
	s_add_u32 s27, s23, 2
	s_addc_u32 s28, s24, 0
	s_cmp_lg_u32 s20, 0
	s_cselect_b32 s20, s27, s21
	s_cselect_b32 s21, s28, s26
	s_cmp_lg_u64 s[18:19], 0
	s_subb_u32 s13, s13, s25
	s_cmp_ge_u32 s13, s7
	s_cselect_b32 s18, -1, 0
	s_cmp_ge_u32 s12, s6
	s_cselect_b32 s6, -1, 0
	s_cmp_eq_u32 s13, s7
	s_cselect_b32 s6, s6, s18
	s_cmp_lg_u32 s6, 0
	s_cselect_b32 s7, s21, s24
	s_cselect_b32 s6, s20, s23
	s_xor_b64 s[12:13], s[14:15], 0
	s_xor_b64 s[6:7], s[6:7], s[12:13]
	s_sub_u32 s6, s6, s12
	s_load_dwordx4 s[12:15], s[0:1], 0x44
	s_cbranch_execnz .LBB7_3
.LBB7_2:
	v_cvt_f32_u32_e32 v1, s22
	s_sub_i32 s6, 0, s22
	v_rcp_iflag_f32_e32 v1, v1
	s_nop 0
	v_mul_f32_e32 v1, 0x4f7ffffe, v1
	v_cvt_u32_f32_e32 v1, v1
	s_nop 0
	v_readfirstlane_b32 s7, v1
	s_mul_i32 s6, s6, s7
	s_mul_hi_u32 s6, s7, s6
	s_add_i32 s7, s7, s6
	s_mul_hi_u32 s6, s5, s7
	s_waitcnt lgkmcnt(0)
	s_mul_i32 s15, s6, s22
	s_sub_i32 s5, s5, s15
	s_add_i32 s7, s6, 1
	s_sub_i32 s15, s5, s22
	s_cmp_ge_u32 s5, s22
	s_cselect_b32 s6, s7, s6
	s_cselect_b32 s5, s15, s5
	s_add_i32 s7, s6, 1
	s_cmp_ge_u32 s5, s22
	s_cselect_b32 s6, s7, s6
.LBB7_3:
	s_add_i32 s5, s2, 1
	s_mul_hi_i32 s21, s11, s5
	s_mov_b32 s20, 0
	s_cmp_lg_u64 s[20:21], 0
	s_mul_i32 s5, s11, s5
	s_cbranch_scc0 .LBB7_21
; %bb.4:
	s_add_u32 s16, s22, 0
	s_addc_u32 s17, 0, 0
	s_xor_b64 s[18:19], s[16:17], 0
	v_cvt_f32_u32_e32 v1, s18
	v_cvt_f32_u32_e32 v2, s19
	s_sub_u32 s7, 0, s18
	s_waitcnt lgkmcnt(0)
	s_subb_u32 s15, 0, s19
	v_fmamk_f32 v1, v2, 0x4f800000, v1
	v_rcp_f32_e32 v1, v1
	s_nop 0
	v_mul_f32_e32 v1, 0x5f7ffffc, v1
	v_mul_f32_e32 v2, 0x2f800000, v1
	v_trunc_f32_e32 v2, v2
	v_fmamk_f32 v1, v2, 0xcf800000, v1
	v_cvt_u32_f32_e32 v2, v2
	v_cvt_u32_f32_e32 v1, v1
	v_readfirstlane_b32 s20, v2
	v_readfirstlane_b32 s23, v1
	s_mul_i32 s24, s7, s20
	s_mul_hi_u32 s26, s7, s23
	s_mul_i32 s25, s15, s23
	s_add_i32 s24, s26, s24
	s_add_i32 s24, s24, s25
	s_mul_i32 s27, s7, s23
	s_mul_i32 s26, s23, s24
	s_mul_hi_u32 s28, s23, s27
	s_mul_hi_u32 s25, s23, s24
	s_add_u32 s26, s28, s26
	s_addc_u32 s25, 0, s25
	s_mul_hi_u32 s29, s20, s27
	s_mul_i32 s27, s20, s27
	s_add_u32 s26, s26, s27
	s_mul_hi_u32 s28, s20, s24
	s_addc_u32 s25, s25, s29
	s_addc_u32 s26, s28, 0
	s_mul_i32 s24, s20, s24
	s_add_u32 s24, s25, s24
	s_addc_u32 s26, 0, s26
	s_add_u32 s23, s23, s24
	s_cselect_b64 s[24:25], -1, 0
	s_cmp_lg_u64 s[24:25], 0
	s_addc_u32 s20, s20, s26
	s_mul_i32 s24, s7, s20
	s_mul_hi_u32 s25, s7, s23
	s_add_i32 s24, s25, s24
	s_mul_i32 s15, s15, s23
	s_add_i32 s24, s24, s15
	s_mul_i32 s7, s7, s23
	s_mul_hi_u32 s25, s20, s7
	s_mul_i32 s26, s20, s7
	s_mul_i32 s28, s23, s24
	s_mul_hi_u32 s7, s23, s7
	s_mul_hi_u32 s27, s23, s24
	s_add_u32 s7, s7, s28
	s_addc_u32 s27, 0, s27
	s_add_u32 s7, s7, s26
	s_mul_hi_u32 s15, s20, s24
	s_addc_u32 s7, s27, s25
	s_addc_u32 s15, s15, 0
	s_mul_i32 s24, s20, s24
	s_add_u32 s7, s7, s24
	s_addc_u32 s15, 0, s15
	s_add_u32 s7, s23, s7
	s_cselect_b64 s[24:25], -1, 0
	s_cmp_lg_u64 s[24:25], 0
	s_addc_u32 s15, s20, s15
	s_ashr_i32 s24, s21, 31
	s_add_u32 s20, s5, s24
	s_mov_b32 s25, s24
	s_addc_u32 s21, s21, s24
	s_xor_b64 s[20:21], s[20:21], s[24:25]
	s_mul_i32 s26, s20, s15
	s_mul_hi_u32 s27, s20, s7
	s_mul_hi_u32 s23, s20, s15
	s_add_u32 s26, s27, s26
	s_addc_u32 s23, 0, s23
	s_mul_hi_u32 s28, s21, s7
	s_mul_i32 s7, s21, s7
	s_add_u32 s7, s26, s7
	s_mul_hi_u32 s27, s21, s15
	s_addc_u32 s7, s23, s28
	s_addc_u32 s23, s27, 0
	s_mul_i32 s15, s21, s15
	s_add_u32 s7, s7, s15
	s_addc_u32 s15, 0, s23
	s_mul_i32 s23, s18, s15
	s_mul_hi_u32 s26, s18, s7
	s_add_i32 s23, s26, s23
	s_mul_i32 s26, s19, s7
	s_add_i32 s23, s23, s26
	s_sub_i32 s28, s21, s23
	s_mul_i32 s26, s18, s7
	s_sub_u32 s20, s20, s26
	s_cselect_b64 s[26:27], -1, 0
	s_cmp_lg_u64 s[26:27], 0
	s_subb_u32 s30, s28, s19
	s_sub_u32 s31, s20, s18
	s_cselect_b64 s[28:29], -1, 0
	s_cmp_lg_u64 s[28:29], 0
	s_subb_u32 s28, s30, 0
	s_cmp_ge_u32 s28, s19
	s_cselect_b32 s29, -1, 0
	s_cmp_ge_u32 s31, s18
	s_cselect_b32 s30, -1, 0
	s_cmp_eq_u32 s28, s19
	s_cselect_b32 s28, s30, s29
	s_add_u32 s29, s7, 1
	s_addc_u32 s30, s15, 0
	s_add_u32 s31, s7, 2
	s_addc_u32 s33, s15, 0
	s_cmp_lg_u32 s28, 0
	s_cselect_b32 s28, s31, s29
	s_cselect_b32 s29, s33, s30
	s_cmp_lg_u64 s[26:27], 0
	s_subb_u32 s21, s21, s23
	s_cmp_ge_u32 s21, s19
	s_cselect_b32 s23, -1, 0
	s_cmp_ge_u32 s20, s18
	s_cselect_b32 s18, -1, 0
	s_cmp_eq_u32 s21, s19
	s_cselect_b32 s18, s18, s23
	s_cmp_lg_u32 s18, 0
	s_cselect_b32 s19, s29, s15
	s_cselect_b32 s18, s28, s7
	s_xor_b64 s[20:21], s[24:25], 0
	s_xor_b64 s[18:19], s[18:19], s[20:21]
	s_sub_u32 s18, s18, s20
	s_cbranch_execnz .LBB7_6
.LBB7_5:
	v_cvt_f32_u32_e32 v1, s22
	s_sub_i32 s7, 0, s22
	v_rcp_iflag_f32_e32 v1, v1
	s_nop 0
	v_mul_f32_e32 v1, 0x4f7ffffe, v1
	v_cvt_u32_f32_e32 v1, v1
	s_waitcnt lgkmcnt(0)
	v_readfirstlane_b32 s15, v1
	s_mul_i32 s7, s7, s15
	s_mul_hi_u32 s7, s15, s7
	s_add_i32 s15, s15, s7
	s_mul_hi_u32 s7, s5, s15
	s_mul_i32 s16, s7, s22
	s_sub_i32 s5, s5, s16
	s_add_i32 s15, s7, 1
	s_sub_i32 s16, s5, s22
	s_cmp_ge_u32 s5, s22
	s_cselect_b32 s7, s15, s7
	s_cselect_b32 s5, s16, s5
	s_add_i32 s15, s7, 1
	s_cmp_ge_u32 s5, s22
	s_cselect_b32 s18, s15, s7
.LBB7_6:
	s_cmp_eq_u32 s6, s18
	s_waitcnt lgkmcnt(0)
	s_mul_hi_u32 s5, s6, s12
	s_cselect_b64 s[16:17], -1, 0
	s_add_i32 s5, s5, s6
	s_lshr_b32 s7, s5, s13
	s_mul_i32 s5, s7, s14
	s_cmp_eq_u32 s5, s6
	s_mul_hi_u32 s5, s18, s12
	s_cselect_b64 s[20:21], -1, 0
	s_add_i32 s5, s5, s18
	s_lshr_b32 s5, s5, s13
	s_cmp_eq_u32 s7, s5
	s_mul_i32 s5, s5, s14
	s_cselect_b64 s[24:25], -1, 0
	s_cmp_lg_u32 s5, s18
	s_cselect_b64 s[18:19], -1, 0
	s_and_b64 s[18:19], s[24:25], s[18:19]
	s_or_b64 s[16:17], s[16:17], s[20:21]
	s_or_b64 s[16:17], s[16:17], s[18:19]
	s_and_b64 vcc, exec, s[16:17]
	s_cbranch_vccnz .LBB7_23
; %bb.7:
	s_load_dwordx8 s[24:31], s[0:1], 0x20
	s_load_dword s15, s[0:1], 0x40
	s_waitcnt lgkmcnt(0)
	s_mul_hi_u32 s5, s6, s24
	s_add_i32 s5, s5, s6
	s_lshr_b32 s5, s5, s25
	s_mul_i32 s16, s5, s26
	s_sub_i32 s16, s6, s16
	s_mul_hi_u32 s17, s16, s27
	s_add_i32 s17, s16, s17
	s_lshr_b32 s21, s17, s28
	s_mul_i32 s17, s21, s29
	s_sub_i32 s16, s16, s17
	;; [unrolled: 5-line block ×3, first 2 shown]
	s_mul_hi_u32 s16, s15, s12
	s_add_i32 s15, s15, s16
	s_lshr_b32 s23, s15, s13
	s_lshl_b32 s15, s23, 4
	s_add_i32 s15, s15, s3
	s_cmp_lt_i32 s15, s8
	s_cselect_b64 s[16:17], -1, 0
	s_add_i32 s15, s20, s4
	s_cmp_lt_i32 s15, s10
	s_cselect_b64 s[18:19], -1, 0
	s_and_b64 s[16:17], s[16:17], s[18:19]
	s_andn2_b64 vcc, exec, s[16:17]
	s_cbranch_vccnz .LBB7_23
; %bb.8:
	s_load_dwordx4 s[16:19], s[0:1], 0x0
	s_mov_b32 s0, 0
	s_lshl_b32 s24, s22, 6
	s_mov_b32 s25, s0
	s_add_i32 s15, s3, s4
	s_waitcnt lgkmcnt(0)
	v_mov_b32_e32 v2, s16
	v_mov_b32_e32 v3, s17
	s_lshl_b64 s[16:17], s[24:25], 2
	s_add_u32 s16, s18, s16
	s_mul_i32 s1, s5, s8
	s_addc_u32 s17, s19, s17
	s_add_i32 s1, s1, s3
	s_mul_i32 s1, s1, s9
	s_mul_i32 s21, s21, s10
	s_add_i32 s1, s1, s4
	s_add_i32 s1, s1, s21
	s_mul_i32 s5, s9, s23
	s_add_i32 s1, s1, s20
	s_lshl_b32 s5, s5, 10
	s_lshl_b32 s1, s1, 6
	s_add_i32 s5, s5, s1
	v_or_b32_e32 v4, s5, v0
	v_ashrrev_i32_e32 v5, 31, v4
	v_lshl_add_u64 v[2:3], v[4:5], 2, v[2:3]
	global_load_dword v1, v[2:3], off
	v_cvt_f32_u32_e32 v4, s22
	s_lshl_b32 s1, s2, 4
	s_add_i32 s4, s1, s15
	s_ashr_i32 s5, s4, 31
	s_lshl_b64 s[4:5], s[4:5], 3
	v_rcp_iflag_f32_e32 v4, v4
	s_add_u32 s4, s18, s4
	s_addc_u32 s5, s19, s5
	s_load_dwordx2 s[4:5], s[4:5], 0x0
	v_mul_f32_e32 v4, 0x4f7ffffe, v4
	v_cvt_u32_f32_e32 v7, v4
	s_add_i32 s24, s2, -1
	v_lshl_or_b32 v6, s15, 6, v0
	s_waitcnt lgkmcnt(0)
	v_mov_b32_e32 v0, s5
	v_mov_b32_e32 v9, s4
	s_mov_b32 s10, 0x3fb8aa3b
	s_mov_b32 s20, 0xc2ce8ed0
	;; [unrolled: 1-line block ×4, first 2 shown]
	v_mov_b32_e32 v8, 0x7f800000
	s_mul_hi_i32 s1, s24, s11
	s_cmp_lg_u64 s[0:1], 0
	s_mul_i32 s8, s24, s11
	s_cbranch_scc0 .LBB7_19
.LBB7_9:
	s_add_u32 s2, s22, 0
	s_addc_u32 s3, 0, 0
	s_xor_b64 s[2:3], s[2:3], 0
	v_cvt_f32_u32_e32 v4, s2
	v_cvt_f32_u32_e32 v5, s3
	s_sub_u32 s9, 0, s2
	s_subb_u32 s25, 0, s3
	v_fmac_f32_e32 v4, 0x4f800000, v5
	v_rcp_f32_e32 v4, v4
	s_nop 0
	v_mul_f32_e32 v4, 0x5f7ffffc, v4
	v_mul_f32_e32 v5, 0x2f800000, v4
	v_trunc_f32_e32 v5, v5
	v_fmac_f32_e32 v4, 0xcf800000, v5
	v_cvt_u32_f32_e32 v5, v5
	v_cvt_u32_f32_e32 v4, v4
	v_readfirstlane_b32 s26, v5
	v_readfirstlane_b32 s4, v4
	s_mul_i32 s5, s9, s26
	s_mul_hi_u32 s28, s9, s4
	s_mul_i32 s27, s25, s4
	s_add_i32 s5, s28, s5
	s_mul_i32 s29, s9, s4
	s_add_i32 s5, s5, s27
	s_mul_i32 s28, s4, s5
	s_mul_hi_u32 s30, s4, s29
	s_mul_hi_u32 s27, s4, s5
	s_add_u32 s28, s30, s28
	s_addc_u32 s27, 0, s27
	s_mul_hi_u32 s31, s26, s29
	s_mul_i32 s29, s26, s29
	s_add_u32 s28, s28, s29
	s_mul_hi_u32 s30, s26, s5
	s_addc_u32 s27, s27, s31
	s_addc_u32 s28, s30, 0
	s_mul_i32 s5, s26, s5
	s_add_u32 s5, s27, s5
	s_addc_u32 s27, 0, s28
	s_add_u32 s28, s4, s5
	s_cselect_b64 s[4:5], -1, 0
	s_cmp_lg_u64 s[4:5], 0
	s_addc_u32 s26, s26, s27
	s_mul_i32 s4, s9, s26
	s_mul_hi_u32 s5, s9, s28
	s_add_i32 s4, s5, s4
	s_mul_i32 s25, s25, s28
	s_add_i32 s4, s4, s25
	s_mul_i32 s9, s9, s28
	s_mul_hi_u32 s25, s26, s9
	s_mul_i32 s27, s26, s9
	s_mul_i32 s30, s28, s4
	s_mul_hi_u32 s9, s28, s9
	s_mul_hi_u32 s29, s28, s4
	s_add_u32 s9, s9, s30
	s_addc_u32 s29, 0, s29
	s_add_u32 s9, s9, s27
	s_mul_hi_u32 s5, s26, s4
	s_addc_u32 s9, s29, s25
	s_addc_u32 s5, s5, 0
	s_mul_i32 s4, s26, s4
	s_add_u32 s4, s9, s4
	s_addc_u32 s9, 0, s5
	s_add_u32 s25, s28, s4
	s_cselect_b64 s[4:5], -1, 0
	s_cmp_lg_u64 s[4:5], 0
	s_addc_u32 s9, s26, s9
	s_ashr_i32 s4, s1, 31
	s_add_u32 s26, s8, s4
	s_mov_b32 s5, s4
	s_addc_u32 s27, s1, s4
	s_xor_b64 s[26:27], s[26:27], s[4:5]
	s_mul_i32 s28, s26, s9
	s_mul_hi_u32 s29, s26, s25
	s_mul_hi_u32 s1, s26, s9
	s_add_u32 s28, s29, s28
	s_addc_u32 s1, 0, s1
	s_mul_hi_u32 s30, s27, s25
	s_mul_i32 s25, s27, s25
	s_add_u32 s25, s28, s25
	s_mul_hi_u32 s29, s27, s9
	s_addc_u32 s1, s1, s30
	s_addc_u32 s25, s29, 0
	s_mul_i32 s9, s27, s9
	s_add_u32 s1, s1, s9
	s_addc_u32 s9, 0, s25
	s_mul_i32 s25, s2, s9
	s_mul_hi_u32 s28, s2, s1
	s_add_i32 s25, s28, s25
	s_mul_i32 s28, s3, s1
	s_add_i32 s25, s25, s28
	s_sub_i32 s30, s27, s25
	s_mul_i32 s28, s2, s1
	s_sub_u32 s26, s26, s28
	s_cselect_b64 s[28:29], -1, 0
	s_cmp_lg_u64 s[28:29], 0
	s_subb_u32 s33, s30, s3
	s_sub_u32 s34, s26, s2
	s_cselect_b64 s[30:31], -1, 0
	s_cmp_lg_u64 s[30:31], 0
	s_subb_u32 s30, s33, 0
	s_cmp_ge_u32 s30, s3
	s_cselect_b32 s31, -1, 0
	s_cmp_ge_u32 s34, s2
	s_cselect_b32 s33, -1, 0
	s_cmp_eq_u32 s30, s3
	s_cselect_b32 s30, s33, s31
	s_add_u32 s31, s1, 1
	s_addc_u32 s33, s9, 0
	s_add_u32 s34, s1, 2
	s_addc_u32 s35, s9, 0
	s_cmp_lg_u32 s30, 0
	s_cselect_b32 s30, s34, s31
	s_cselect_b32 s31, s35, s33
	s_cmp_lg_u64 s[28:29], 0
	s_subb_u32 s25, s27, s25
	s_cmp_ge_u32 s25, s3
	s_cselect_b32 s27, -1, 0
	s_cmp_ge_u32 s26, s2
	s_cselect_b32 s2, -1, 0
	s_cmp_eq_u32 s25, s3
	s_cselect_b32 s2, s2, s27
	s_cmp_lg_u32 s2, 0
	s_cselect_b32 s3, s31, s9
	s_cselect_b32 s2, s30, s1
	s_xor_b64 s[4:5], s[4:5], 0
	s_xor_b64 s[2:3], s[2:3], s[4:5]
	s_sub_u32 s4, s2, s4
	s_cbranch_execnz .LBB7_11
.LBB7_10:
	s_sub_i32 s1, 0, s22
	v_readfirstlane_b32 s2, v7
	s_mul_i32 s1, s1, s2
	s_mul_hi_u32 s1, s2, s1
	s_add_i32 s2, s2, s1
	s_mul_hi_u32 s1, s8, s2
	s_mul_i32 s3, s1, s22
	s_sub_i32 s3, s8, s3
	s_add_i32 s2, s1, 1
	s_sub_i32 s4, s3, s22
	s_cmp_ge_u32 s3, s22
	s_cselect_b32 s1, s2, s1
	s_cselect_b32 s3, s4, s3
	s_add_i32 s2, s1, 1
	s_cmp_ge_u32 s3, s22
	s_cselect_b32 s4, s2, s1
.LBB7_11:
	s_cmp_lg_u32 s6, s4
	s_cbranch_scc0 .LBB7_15
; %bb.12:
	s_add_i32 s1, s24, s22
	s_lshl_b32 s1, s1, 4
	s_add_i32 s2, s1, s15
	s_mov_b32 s3, s0
	s_lshl_b64 s[2:3], s[2:3], 3
	s_add_u32 s8, s18, s2
	s_mul_hi_u32 s1, s4, s12
	s_addc_u32 s9, s19, s3
	s_add_i32 s1, s1, s4
	s_lshr_b32 s1, s1, s13
	s_mul_i32 s2, s1, s14
	s_cmp_eq_u32 s2, s4
	s_cselect_b64 s[2:3], -1, 0
	s_cmp_lt_u32 s1, s7
	s_cselect_b64 s[26:27], -1, 0
	s_or_b64 s[26:27], s[26:27], s[2:3]
	s_mov_b64 s[2:3], -1
	s_and_b64 vcc, exec, s[26:27]
	s_mov_b32 s1, s24
	s_mov_b32 s25, s6
	s_cbranch_vccnz .LBB7_14
; %bb.13:
	s_add_i32 s1, s24, -1
	s_mov_b64 s[2:3], 0
	s_mov_b32 s25, s4
.LBB7_14:
	v_lshl_add_u32 v4, s24, 10, v6
	v_ashrrev_i32_e32 v5, 31, v4
	v_lshl_add_u64 v[4:5], v[4:5], 2, s[16:17]
	global_load_dword v5, v[4:5], off
	s_load_dwordx2 s[4:5], s[8:9], 0x0
	v_max_f32_e32 v4, v9, v9
	s_waitcnt lgkmcnt(0)
	v_max_f32_e64 v10, s4, s4
	v_max_f32_e32 v10, v4, v10
	v_sub_f32_e32 v11, v9, v10
	v_sub_f32_e32 v13, s4, v10
	v_mul_f32_e32 v4, 0x3fb8aa3b, v11
	v_mul_f32_e32 v12, 0x3fb8aa3b, v13
	v_fma_f32 v14, v11, s10, -v4
	v_rndne_f32_e32 v15, v4
	v_fma_f32 v16, v13, s10, -v12
	v_rndne_f32_e32 v17, v12
	v_fmac_f32_e32 v14, 0x32a5705f, v11
	v_sub_f32_e32 v4, v4, v15
	v_fmac_f32_e32 v16, 0x32a5705f, v13
	v_sub_f32_e32 v12, v12, v17
	v_add_f32_e32 v4, v4, v14
	v_cvt_i32_f32_e32 v15, v15
	v_add_f32_e32 v12, v12, v16
	v_exp_f32_e32 v14, v4
	v_cvt_i32_f32_e32 v17, v17
	v_exp_f32_e32 v12, v12
	v_cmp_ngt_f32_e32 vcc, s20, v11
	v_ldexp_f32 v14, v14, v15
	v_mov_b32_e32 v4, s5
	v_ldexp_f32 v12, v12, v17
	v_cndmask_b32_e32 v14, 0, v14, vcc
	v_cmp_ngt_f32_e32 vcc, s20, v13
	s_nop 1
	v_cndmask_b32_e32 v12, 0, v12, vcc
	v_cmp_nlt_f32_e32 vcc, s21, v11
	s_nop 1
	v_cndmask_b32_e32 v14, v8, v14, vcc
	v_cmp_nlt_f32_e32 vcc, s21, v13
	s_nop 1
	v_cndmask_b32_e32 v15, v8, v12, vcc
	v_cmp_le_f32_e32 vcc, s23, v11
	s_nop 1
	v_cndmask_b32_e32 v12, 0, v14, vcc
	v_cmp_le_f32_e32 vcc, s23, v13
	s_nop 1
	v_cndmask_b32_e32 v14, 0, v15, vcc
	s_waitcnt vmcnt(0)
	v_pk_mul_f32 v[4:5], v[4:5], v[14:15] op_sel_hi:[1,0]
	s_nop 0
	v_pk_fma_f32 v[4:5], v[0:1], v[12:13], v[4:5] op_sel_hi:[1,0,1]
	s_cbranch_execz .LBB7_16
	s_branch .LBB7_17
.LBB7_15:
                                        ; implicit-def: $vgpr4_vgpr5
                                        ; implicit-def: $sgpr2_sgpr3
                                        ; implicit-def: $vgpr10
                                        ; implicit-def: $sgpr1
                                        ; implicit-def: $sgpr25
.LBB7_16:
	s_add_i32 s1, s24, -1
	s_mov_b64 s[2:3], 0
	s_mov_b32 s25, s6
	v_mov_b32_e32 v10, v9
	s_waitcnt vmcnt(0)
	v_mov_b64_e32 v[4:5], v[0:1]
.LBB7_17:
	s_andn2_b64 vcc, exec, s[2:3]
	s_cbranch_vccz .LBB7_22
; %bb.18:
	s_mov_b32 s6, s25
	s_mov_b32 s24, s1
	v_mov_b32_e32 v9, v10
	s_waitcnt vmcnt(0)
	v_mov_b64_e32 v[0:1], v[4:5]
	s_mul_hi_i32 s1, s24, s11
	s_cmp_lg_u64 s[0:1], 0
	s_mul_i32 s8, s24, s11
	s_cbranch_scc1 .LBB7_9
.LBB7_19:
                                        ; implicit-def: $sgpr4_sgpr5
	s_branch .LBB7_10
.LBB7_20:
                                        ; implicit-def: $sgpr6_sgpr7
	s_load_dwordx4 s[12:15], s[0:1], 0x44
	s_branch .LBB7_2
.LBB7_21:
                                        ; implicit-def: $sgpr18_sgpr19
	s_branch .LBB7_5
.LBB7_22:
	v_div_scale_f32 v0, s[0:1], v4, v4, v5
	s_waitcnt vmcnt(0)
	v_rcp_f32_e32 v1, v0
	v_div_scale_f32 v6, vcc, v5, v4, v5
	v_fma_f32 v7, -v0, v1, 1.0
	v_fmac_f32_e32 v1, v7, v1
	v_mul_f32_e32 v7, v6, v1
	v_fma_f32 v8, -v0, v7, v6
	v_fmac_f32_e32 v7, v8, v1
	v_fma_f32 v0, -v0, v7, v6
	v_div_fmas_f32 v0, v0, v1, v7
	v_div_fixup_f32 v0, v0, v4, v5
	global_store_dword v[2:3], v0, off
.LBB7_23:
	s_endpgm
	.section	.rodata,"a",@progbits
	.p2align	6, 0x0
	.amdhsa_kernel _ZL33flash_attn_stream_k_fixup_generalILi64ELi16ELi1EEvPfPK15HIP_vector_typeIfLj2EEiiiiS1_IjLj3EES5_S5_S5_
		.amdhsa_group_segment_fixed_size 0
		.amdhsa_private_segment_fixed_size 0
		.amdhsa_kernarg_size 336
		.amdhsa_user_sgpr_count 2
		.amdhsa_user_sgpr_dispatch_ptr 0
		.amdhsa_user_sgpr_queue_ptr 0
		.amdhsa_user_sgpr_kernarg_segment_ptr 1
		.amdhsa_user_sgpr_dispatch_id 0
		.amdhsa_user_sgpr_kernarg_preload_length 0
		.amdhsa_user_sgpr_kernarg_preload_offset 0
		.amdhsa_user_sgpr_private_segment_size 0
		.amdhsa_uses_dynamic_stack 0
		.amdhsa_enable_private_segment 0
		.amdhsa_system_sgpr_workgroup_id_x 1
		.amdhsa_system_sgpr_workgroup_id_y 1
		.amdhsa_system_sgpr_workgroup_id_z 1
		.amdhsa_system_sgpr_workgroup_info 0
		.amdhsa_system_vgpr_workitem_id 0
		.amdhsa_next_free_vgpr 18
		.amdhsa_next_free_sgpr 36
		.amdhsa_accum_offset 20
		.amdhsa_reserve_vcc 1
		.amdhsa_float_round_mode_32 0
		.amdhsa_float_round_mode_16_64 0
		.amdhsa_float_denorm_mode_32 3
		.amdhsa_float_denorm_mode_16_64 3
		.amdhsa_dx10_clamp 1
		.amdhsa_ieee_mode 1
		.amdhsa_fp16_overflow 0
		.amdhsa_tg_split 0
		.amdhsa_exception_fp_ieee_invalid_op 0
		.amdhsa_exception_fp_denorm_src 0
		.amdhsa_exception_fp_ieee_div_zero 0
		.amdhsa_exception_fp_ieee_overflow 0
		.amdhsa_exception_fp_ieee_underflow 0
		.amdhsa_exception_fp_ieee_inexact 0
		.amdhsa_exception_int_div_zero 0
	.end_amdhsa_kernel
	.section	.text._ZL33flash_attn_stream_k_fixup_generalILi64ELi16ELi1EEvPfPK15HIP_vector_typeIfLj2EEiiiiS1_IjLj3EES5_S5_S5_,"axG",@progbits,_ZL33flash_attn_stream_k_fixup_generalILi64ELi16ELi1EEvPfPK15HIP_vector_typeIfLj2EEiiiiS1_IjLj3EES5_S5_S5_,comdat
.Lfunc_end7:
	.size	_ZL33flash_attn_stream_k_fixup_generalILi64ELi16ELi1EEvPfPK15HIP_vector_typeIfLj2EEiiiiS1_IjLj3EES5_S5_S5_, .Lfunc_end7-_ZL33flash_attn_stream_k_fixup_generalILi64ELi16ELi1EEvPfPK15HIP_vector_typeIfLj2EEiiiiS1_IjLj3EES5_S5_S5_
                                        ; -- End function
	.set _ZL33flash_attn_stream_k_fixup_generalILi64ELi16ELi1EEvPfPK15HIP_vector_typeIfLj2EEiiiiS1_IjLj3EES5_S5_S5_.num_vgpr, 18
	.set _ZL33flash_attn_stream_k_fixup_generalILi64ELi16ELi1EEvPfPK15HIP_vector_typeIfLj2EEiiiiS1_IjLj3EES5_S5_S5_.num_agpr, 0
	.set _ZL33flash_attn_stream_k_fixup_generalILi64ELi16ELi1EEvPfPK15HIP_vector_typeIfLj2EEiiiiS1_IjLj3EES5_S5_S5_.numbered_sgpr, 36
	.set _ZL33flash_attn_stream_k_fixup_generalILi64ELi16ELi1EEvPfPK15HIP_vector_typeIfLj2EEiiiiS1_IjLj3EES5_S5_S5_.num_named_barrier, 0
	.set _ZL33flash_attn_stream_k_fixup_generalILi64ELi16ELi1EEvPfPK15HIP_vector_typeIfLj2EEiiiiS1_IjLj3EES5_S5_S5_.private_seg_size, 0
	.set _ZL33flash_attn_stream_k_fixup_generalILi64ELi16ELi1EEvPfPK15HIP_vector_typeIfLj2EEiiiiS1_IjLj3EES5_S5_S5_.uses_vcc, 1
	.set _ZL33flash_attn_stream_k_fixup_generalILi64ELi16ELi1EEvPfPK15HIP_vector_typeIfLj2EEiiiiS1_IjLj3EES5_S5_S5_.uses_flat_scratch, 0
	.set _ZL33flash_attn_stream_k_fixup_generalILi64ELi16ELi1EEvPfPK15HIP_vector_typeIfLj2EEiiiiS1_IjLj3EES5_S5_S5_.has_dyn_sized_stack, 0
	.set _ZL33flash_attn_stream_k_fixup_generalILi64ELi16ELi1EEvPfPK15HIP_vector_typeIfLj2EEiiiiS1_IjLj3EES5_S5_S5_.has_recursion, 0
	.set _ZL33flash_attn_stream_k_fixup_generalILi64ELi16ELi1EEvPfPK15HIP_vector_typeIfLj2EEiiiiS1_IjLj3EES5_S5_S5_.has_indirect_call, 0
	.section	.AMDGPU.csdata,"",@progbits
; Kernel info:
; codeLenInByte = 2932
; TotalNumSgprs: 42
; NumVgprs: 18
; NumAgprs: 0
; TotalNumVgprs: 18
; ScratchSize: 0
; MemoryBound: 0
; FloatMode: 240
; IeeeMode: 1
; LDSByteSize: 0 bytes/workgroup (compile time only)
; SGPRBlocks: 5
; VGPRBlocks: 2
; NumSGPRsForWavesPerEU: 42
; NumVGPRsForWavesPerEU: 18
; AccumOffset: 20
; Occupancy: 8
; WaveLimiterHint : 0
; COMPUTE_PGM_RSRC2:SCRATCH_EN: 0
; COMPUTE_PGM_RSRC2:USER_SGPR: 2
; COMPUTE_PGM_RSRC2:TRAP_HANDLER: 0
; COMPUTE_PGM_RSRC2:TGID_X_EN: 1
; COMPUTE_PGM_RSRC2:TGID_Y_EN: 1
; COMPUTE_PGM_RSRC2:TGID_Z_EN: 1
; COMPUTE_PGM_RSRC2:TIDIG_COMP_CNT: 0
; COMPUTE_PGM_RSRC3_GFX90A:ACCUM_OFFSET: 4
; COMPUTE_PGM_RSRC3_GFX90A:TG_SPLIT: 0
	.section	.text._ZL26flash_attn_combine_resultsILi64EEvPKfPK15HIP_vector_typeIfLj2EEPfi,"axG",@progbits,_ZL26flash_attn_combine_resultsILi64EEvPKfPK15HIP_vector_typeIfLj2EEPfi,comdat
	.globl	_ZL26flash_attn_combine_resultsILi64EEvPKfPK15HIP_vector_typeIfLj2EEPfi ; -- Begin function _ZL26flash_attn_combine_resultsILi64EEvPKfPK15HIP_vector_typeIfLj2EEPfi
	.p2align	8
	.type	_ZL26flash_attn_combine_resultsILi64EEvPKfPK15HIP_vector_typeIfLj2EEPfi,@function
_ZL26flash_attn_combine_resultsILi64EEvPKfPK15HIP_vector_typeIfLj2EEPfi: ; @_ZL26flash_attn_combine_resultsILi64EEvPKfPK15HIP_vector_typeIfLj2EEPfi
; %bb.0:
	s_load_dwordx2 s[6:7], s[0:1], 0x20
	s_load_dword s19, s[0:1], 0x18
	s_load_dwordx4 s[8:11], s[0:1], 0x0
	s_load_dwordx2 s[14:15], s[0:1], 0x10
	s_waitcnt lgkmcnt(0)
	s_mul_i32 s0, s6, s4
	s_add_i32 s0, s0, s2
	s_mul_i32 s18, s0, s7
	s_add_i32 s18, s18, s3
	s_lshl_b32 s20, s19, 1
	s_mul_i32 s2, s18, s19
	v_cmp_gt_i32_e32 vcc, s20, v0
	s_and_saveexec_b64 s[0:1], vcc
	s_cbranch_execz .LBB8_13
; %bb.1:
	v_xad_u32 v1, v0, -1, s20
	s_ashr_i32 s3, s2, 31
	v_cmp_lt_u32_e32 vcc, 63, v1
	s_mov_b64 s[6:7], -1
	v_mov_b32_e32 v2, v0
	s_and_saveexec_b64 s[4:5], vcc
	s_cbranch_execz .LBB8_10
; %bb.2:
	v_lshrrev_b32_e32 v6, 6, v1
	s_lshl_b64 s[6:7], s[2:3], 3
	v_add_u32_e32 v2, -1, v6
	s_add_u32 s6, s10, s6
	v_or_b32_e32 v1, 64, v0
	v_lshrrev_b32_e32 v3, 1, v2
	s_addc_u32 s7, s11, s7
	s_mov_b32 s21, 0
	v_add_u32_e32 v7, 1, v3
	v_cmp_lt_u32_e32 vcc, 13, v2
	v_mov_b32_e32 v4, 0
	v_mov_b64_e32 v[2:3], v[0:1]
	s_and_saveexec_b64 s[12:13], vcc
	s_cbranch_execz .LBB8_6
; %bb.3:
	v_and_b32_e32 v8, -8, v7
	v_lshl_add_u32 v9, v0, 2, 0
	s_mov_b64 s[16:17], 0
	v_mov_b32_e32 v5, 0
	v_mov_b64_e32 v[2:3], v[0:1]
.LBB8_4:                                ; =>This Inner Loop Header: Depth=1
	v_mov_b32_e32 v4, v2
	v_lshl_add_u64 v[24:25], v[4:5], 2, s[6:7]
	v_mov_b32_e32 v4, v3
	v_add_u32_e32 v10, 0x80, v3
	v_mov_b32_e32 v11, v5
	v_lshl_add_u64 v[26:27], v[4:5], 2, s[6:7]
	v_add_u32_e32 v4, 0x80, v2
	v_lshl_add_u64 v[10:11], v[10:11], 2, s[6:7]
	global_load_dword v1, v[24:25], off
	v_lshl_add_u64 v[24:25], v[4:5], 2, s[6:7]
	v_add_u32_e32 v4, 0x100, v2
	global_load_dword v28, v[26:27], off
	global_load_dword v29, v[24:25], off
	;; [unrolled: 1-line block ×3, first 2 shown]
	v_lshl_add_u64 v[10:11], v[4:5], 2, s[6:7]
	v_add_u32_e32 v4, 0x180, v2
	v_add_u32_e32 v12, 0x100, v3
	v_mov_b32_e32 v13, v5
	v_add_u32_e32 v14, 0x180, v3
	v_mov_b32_e32 v15, v5
	v_lshl_add_u64 v[24:25], v[4:5], 2, s[6:7]
	v_add_u32_e32 v4, 0x200, v2
	v_lshl_add_u64 v[12:13], v[12:13], 2, s[6:7]
	v_lshl_add_u64 v[14:15], v[14:15], 2, s[6:7]
	global_load_dword v26, v[10:11], off
	global_load_dword v27, v[12:13], off
	;; [unrolled: 1-line block ×4, first 2 shown]
	v_lshl_add_u64 v[10:11], v[4:5], 2, s[6:7]
	v_add_u32_e32 v4, 0x280, v2
	v_add_u32_e32 v16, 0x200, v3
	v_mov_b32_e32 v17, v5
	v_add_u32_e32 v18, 0x280, v3
	v_mov_b32_e32 v19, v5
	v_lshl_add_u64 v[12:13], v[4:5], 2, s[6:7]
	v_add_u32_e32 v4, 0x300, v2
	v_add_u32_e32 v20, 0x300, v3
	v_mov_b32_e32 v21, v5
	v_add_u32_e32 v22, 0x380, v3
	v_mov_b32_e32 v23, v5
	v_lshl_add_u64 v[16:17], v[16:17], 2, s[6:7]
	v_lshl_add_u64 v[18:19], v[18:19], 2, s[6:7]
	global_load_dword v14, v[10:11], off
	global_load_dword v15, v[16:17], off
	;; [unrolled: 1-line block ×4, first 2 shown]
	v_lshl_add_u64 v[10:11], v[4:5], 2, s[6:7]
	v_add_u32_e32 v4, 0x380, v2
	v_lshl_add_u64 v[20:21], v[20:21], 2, s[6:7]
	v_lshl_add_u64 v[22:23], v[22:23], 2, s[6:7]
	;; [unrolled: 1-line block ×3, first 2 shown]
	global_load_dword v16, v[10:11], off
	global_load_dword v17, v[20:21], off
	;; [unrolled: 1-line block ×4, first 2 shown]
	v_add_u32_e32 v8, -8, v8
	s_add_i32 s21, s21, 16
	v_cmp_eq_u32_e32 vcc, 0, v8
	v_add_u32_e32 v3, 0x400, v3
	v_mov_b32_e32 v4, s21
	s_or_b64 s[16:17], vcc, s[16:17]
	v_add_u32_e32 v2, 0x400, v2
	s_waitcnt vmcnt(14)
	ds_write2st64_b32 v9, v1, v28 offset1:1
	s_waitcnt vmcnt(12)
	ds_write2st64_b32 v9, v29, v30 offset0:2 offset1:3
	s_waitcnt vmcnt(10)
	ds_write2st64_b32 v9, v26, v27 offset0:4 offset1:5
	;; [unrolled: 2-line block ×7, first 2 shown]
	v_add_u32_e32 v9, 0x1000, v9
	s_andn2_b64 exec, exec, s[16:17]
	s_cbranch_execnz .LBB8_4
; %bb.5:
	s_or_b64 exec, exec, s[16:17]
.LBB8_6:
	s_or_b64 exec, exec, s[12:13]
	v_and_b32_e32 v1, 7, v7
	v_cmp_ne_u32_e32 vcc, 0, v1
	s_and_saveexec_b64 s[12:13], vcc
	s_cbranch_execz .LBB8_9
; %bb.7:
	v_lshlrev_b32_e32 v5, 2, v0
	v_lshl_or_b32 v4, v4, 8, v5
	v_add_u32_e32 v7, 0, v4
	s_mov_b64 s[16:17], 0
	v_mov_b32_e32 v5, 0
.LBB8_8:                                ; =>This Inner Loop Header: Depth=1
	v_mov_b32_e32 v4, v2
	v_lshl_add_u64 v[8:9], v[4:5], 2, s[6:7]
	v_mov_b32_e32 v4, v3
	v_lshl_add_u64 v[10:11], v[4:5], 2, s[6:7]
	global_load_dword v4, v[8:9], off
	global_load_dword v12, v[10:11], off
	v_add_u32_e32 v1, -1, v1
	v_cmp_eq_u32_e32 vcc, 0, v1
	v_add_u32_e32 v2, 0x80, v2
	v_add_u32_e32 v3, 0x80, v3
	s_or_b64 s[16:17], vcc, s[16:17]
	s_waitcnt vmcnt(0)
	ds_write2st64_b32 v7, v4, v12 offset1:1
	v_add_u32_e32 v7, 0x200, v7
	s_andn2_b64 exec, exec, s[16:17]
	s_cbranch_execnz .LBB8_8
.LBB8_9:
	s_or_b64 exec, exec, s[12:13]
	v_add_u32_e32 v1, 1, v6
	v_and_b32_e32 v3, 0x7fffffe, v1
	v_cmp_ne_u32_e32 vcc, v1, v3
	v_lshl_or_b32 v2, v3, 6, v0
	s_orn2_b64 s[6:7], vcc, exec
.LBB8_10:
	s_or_b64 exec, exec, s[4:5]
	s_and_b64 exec, exec, s[6:7]
	s_cbranch_execz .LBB8_13
; %bb.11:
	s_lshl_b64 s[4:5], s[2:3], 3
	s_add_u32 s4, s10, s4
	v_mov_b32_e32 v3, 0
	s_addc_u32 s5, s11, s5
	v_lshl_add_u64 v[4:5], v[2:3], 2, s[4:5]
	v_lshl_add_u32 v1, v2, 2, 0
	s_mov_b64 s[4:5], 0
	s_mov_b64 s[6:7], 0x100
.LBB8_12:                               ; =>This Inner Loop Header: Depth=1
	global_load_dword v3, v[4:5], off
	v_add_u32_e32 v2, 64, v2
	v_cmp_le_i32_e32 vcc, s20, v2
	v_lshl_add_u64 v[4:5], v[4:5], 0, s[6:7]
	s_or_b64 s[4:5], vcc, s[4:5]
	s_waitcnt vmcnt(0)
	ds_write_b32 v1, v3
	v_add_u32_e32 v1, 0x100, v1
	s_andn2_b64 exec, exec, s[4:5]
	s_cbranch_execnz .LBB8_12
.LBB8_13:
	s_or_b64 exec, exec, s[0:1]
	v_mov_b32_e32 v1, 0
	s_waitcnt lgkmcnt(0)
	; wave barrier
	ds_read_b32 v1, v1
	s_cmp_lt_i32 s19, 2
	s_cbranch_scc1 .LBB8_21
; %bb.14:
	s_cmp_eq_u32 s19, 2
	s_cbranch_scc1 .LBB8_18
; %bb.15:
	s_add_i32 s3, s19, -1
	s_and_b32 s4, s3, -2
	s_add_i32 s6, 0, 8
	s_mov_b32 s5, 2
	s_waitcnt lgkmcnt(0)
	v_mov_b32_e32 v4, v1
.LBB8_16:                               ; =>This Inner Loop Header: Depth=1
	v_mov_b32_e32 v2, v1
	v_mov_b32_e32 v1, s6
	;; [unrolled: 1-line block ×3, first 2 shown]
	ds_read2_b32 v[4:5], v1 offset1:2
	s_cmp_lg_u32 s4, s5
	s_cselect_b64 s[10:11], -1, 0
	v_max_f32_e32 v1, v3, v3
	v_max_f32_e32 v6, v2, v2
	s_waitcnt lgkmcnt(0)
	v_cmp_u_f32_e32 vcc, v5, v5
	v_max_f32_e32 v7, v5, v5
	v_max_f32_e32 v8, v4, v4
	v_cndmask_b32_e64 v5, 0, 1, vcc
	v_cmp_u_f32_e32 vcc, v4, v4
	v_readfirstlane_b32 s0, v5
	s_lshl_b32 s0, s0, 1
	v_cndmask_b32_e64 v9, 0, 1, vcc
	v_max_f32_e32 v4, v1, v7
	v_readfirstlane_b32 s1, v9
	s_or_b32 s0, s1, s0
	s_and_b32 s7, s0, 3
	s_cmp_lg_u32 s7, 0
	s_cselect_b64 s[0:1], -1, 0
	s_cmp_eq_u32 s7, 0
	s_cselect_b64 s[12:13], -1, 0
	s_and_b64 s[10:11], s[12:13], s[10:11]
	v_max_f32_e32 v1, v6, v8
	s_add_i32 s5, s5, 2
	s_add_i32 s6, s6, 16
	s_and_b64 vcc, exec, s[10:11]
	s_cbranch_vccnz .LBB8_16
; %bb.17:
	s_add_i32 s5, s5, -4
	s_and_b64 s[6:7], s[0:1], exec
	s_cselect_b32 s5, s5, s3
	s_or_b32 s5, s5, 1
	v_cndmask_b32_e64 v1, v1, v2, s[0:1]
	v_cndmask_b32_e64 v2, v4, v3, s[0:1]
	s_cmp_lg_u32 s3, s4
	v_max_f32_e32 v2, v2, v2
	v_max_f32_e32 v1, v1, v1
	s_cselect_b64 s[6:7], -1, 0
	v_max_f32_e32 v1, v1, v2
	s_or_b64 s[0:1], s[6:7], s[0:1]
	s_and_b64 vcc, exec, s[0:1]
	s_cbranch_vccnz .LBB8_19
	s_branch .LBB8_21
.LBB8_18:
	s_mov_b32 s5, 1
	s_cbranch_execz .LBB8_21
.LBB8_19:
	s_lshl_b32 s1, s5, 3
	s_sub_i32 s0, s19, s5
	s_add_i32 s1, s1, 0
.LBB8_20:                               ; =>This Inner Loop Header: Depth=1
	v_mov_b32_e32 v2, s1
	ds_read_b32 v2, v2
	s_waitcnt lgkmcnt(1)
	v_max_f32_e32 v1, v1, v1
	s_add_i32 s0, s0, -1
	s_add_i32 s1, s1, 8
	s_cmp_eq_u32 s0, 0
	s_waitcnt lgkmcnt(0)
	v_max_f32_e32 v2, v2, v2
	v_max_f32_e32 v1, v1, v2
	s_cbranch_scc0 .LBB8_20
.LBB8_21:
	s_cmp_lt_i32 s19, 1
	s_cbranch_scc1 .LBB8_26
; %bb.22:
	s_lshl_b32 s0, s2, 6
	s_ashr_i32 s1, s0, 31
	s_lshl_b64 s[0:1], s[0:1], 2
	s_add_u32 s16, s8, s0
	s_addc_u32 s17, s9, s1
	s_cmp_lt_u32 s19, 8
	s_cbranch_scc1 .LBB8_27
; %bb.23:
	v_mov_b32_e32 v7, 0
	s_and_b32 s20, s19, 0x7ffffff8
	v_or_b32_e32 v4, 0x1c0, v0
	s_mov_b32 s21, 0
	s_mov_b32 s22, 0x3fb8aa3b
	s_mov_b32 s23, 0xc2ce8ed0
	s_mov_b32 s24, 0x42b17218
	v_mov_b32_e32 v8, 0x7f800000
	s_mov_b32 s25, 0
	v_mov_b32_e32 v2, v7
	v_mov_b32_e32 v3, v7
.LBB8_24:                               ; =>This Inner Loop Header: Depth=1
	v_add_u32_e32 v6, 0xfffffe40, v4
	v_lshl_add_u64 v[26:27], v[6:7], 2, s[16:17]
	v_add_u32_e32 v6, 0xfffffe80, v4
	v_mov_b32_e32 v9, s21
	v_lshl_add_u64 v[30:31], v[6:7], 2, s[16:17]
	v_add_u32_e32 v6, 0xfffffec0, v4
	ds_read2_b64 v[10:13], v9 offset1:1
	ds_read2_b64 v[14:17], v9 offset0:2 offset1:3
	ds_read2_b64 v[18:21], v9 offset0:4 offset1:5
	;; [unrolled: 1-line block ×3, first 2 shown]
	global_load_dword v33, v[26:27], off
	global_load_dword v35, v[30:31], off
	v_lshl_add_u64 v[26:27], v[6:7], 2, s[16:17]
	v_add_u32_e32 v6, 0xffffff00, v4
	v_lshl_add_u64 v[30:31], v[6:7], 2, s[16:17]
	v_add_u32_e32 v6, 0xffffff40, v4
	global_load_dword v37, v[26:27], off
	global_load_dword v39, v[30:31], off
	v_lshl_add_u64 v[26:27], v[6:7], 2, s[16:17]
	v_add_u32_e32 v6, 0xffffff80, v4
	s_waitcnt lgkmcnt(3)
	v_mov_b32_e32 v32, v11
	v_sub_f32_e32 v9, v12, v1
	v_mov_b32_e32 v34, v13
	global_load_dword v11, v[26:27], off
	v_lshl_add_u64 v[12:13], v[6:7], 2, s[16:17]
	s_waitcnt lgkmcnt(2)
	v_mov_b32_e32 v36, v15
	v_subrev_u32_e32 v6, 64, v4
	global_load_dword v15, v[12:13], off
	v_mov_b32_e32 v5, v7
	v_lshl_add_u64 v[12:13], v[6:7], 2, s[16:17]
	v_lshl_add_u64 v[28:29], v[4:5], 2, s[16:17]
	v_sub_f32_e32 v5, v10, v1
	v_mov_b32_e32 v38, v17
	s_waitcnt lgkmcnt(1)
	v_mov_b32_e32 v10, v19
	global_load_dword v17, v[12:13], off
	global_load_dword v19, v[28:29], off
	v_sub_f32_e32 v30, v14, v1
	v_sub_f32_e32 v31, v16, v1
	;; [unrolled: 1-line block ×3, first 2 shown]
	v_mov_b32_e32 v14, v21
	s_waitcnt lgkmcnt(0)
	v_sub_f32_e32 v21, v22, v1
	v_mov_b32_e32 v16, v23
	v_sub_f32_e32 v22, v24, v1
	v_mul_f32_e32 v23, 0x3fb8aa3b, v5
	v_mov_b32_e32 v18, v25
	v_mul_f32_e32 v24, 0x3fb8aa3b, v9
	v_mul_f32_e32 v25, 0x3fb8aa3b, v30
	;; [unrolled: 1-line block ×5, first 2 shown]
	v_fma_f32 v43, v5, s22, -v23
	v_rndne_f32_e32 v44, v23
	v_sub_f32_e32 v20, v20, v1
	v_fma_f32 v45, v9, s22, -v24
	v_rndne_f32_e32 v46, v24
	v_fma_f32 v47, v30, s22, -v25
	v_rndne_f32_e32 v48, v25
	;; [unrolled: 2-line block ×5, first 2 shown]
	v_fmac_f32_e32 v43, 0x32a5705f, v5
	v_sub_f32_e32 v12, v23, v44
	v_mul_f32_e32 v26, 0x3fb8aa3b, v31
	v_mul_f32_e32 v41, 0x3fb8aa3b, v20
	v_fmac_f32_e32 v45, 0x32a5705f, v9
	v_sub_f32_e32 v23, v24, v46
	v_fmac_f32_e32 v47, 0x32a5705f, v30
	v_sub_f32_e32 v25, v25, v48
	;; [unrolled: 2-line block ×5, first 2 shown]
	v_add_f32_e32 v12, v12, v43
	v_fma_f32 v49, v31, s22, -v26
	v_rndne_f32_e32 v50, v26
	v_fma_f32 v53, v20, s22, -v41
	v_rndne_f32_e32 v54, v41
	v_cvt_i32_f32_e32 v13, v44
	v_add_f32_e32 v23, v23, v45
	v_add_f32_e32 v25, v25, v47
	;; [unrolled: 1-line block ×5, first 2 shown]
	v_exp_f32_e32 v12, v12
	v_cvt_i32_f32_e32 v24, v46
	v_cvt_i32_f32_e32 v28, v48
	v_fmac_f32_e32 v49, 0x32a5705f, v31
	v_sub_f32_e32 v26, v26, v50
	v_cvt_i32_f32_e32 v29, v50
	v_cvt_i32_f32_e32 v44, v52
	v_fmac_f32_e32 v53, 0x32a5705f, v20
	v_sub_f32_e32 v41, v41, v54
	v_cvt_i32_f32_e32 v48, v56
	v_cvt_i32_f32_e32 v50, v58
	v_exp_f32_e32 v23, v23
	v_exp_f32_e32 v25, v25
	;; [unrolled: 1-line block ×5, first 2 shown]
	v_add_f32_e32 v26, v26, v49
	v_add_f32_e32 v41, v41, v53
	v_cvt_i32_f32_e32 v46, v54
	v_exp_f32_e32 v26, v26
	v_exp_f32_e32 v41, v41
	v_ldexp_f32 v12, v12, v13
	v_cmp_ngt_f32_e64 s[12:13], s23, v5
	v_ldexp_f32 v13, v23, v24
	v_cmp_ngt_f32_e32 vcc, s23, v9
	v_ldexp_f32 v23, v25, v28
	v_ldexp_f32 v25, v27, v44
	;; [unrolled: 1-line block ×3, first 2 shown]
	v_cmp_ngt_f32_e64 s[8:9], s23, v21
	v_ldexp_f32 v6, v6, v50
	v_cmp_ngt_f32_e64 s[10:11], s23, v22
	v_cndmask_b32_e64 v12, 0, v12, s[12:13]
	v_cmp_nlt_f32_e64 s[12:13], s24, v5
	v_cmp_ngt_f32_e64 s[0:1], s23, v30
	v_cndmask_b32_e32 v13, 0, v13, vcc
	v_cmp_nlt_f32_e32 vcc, s24, v9
	v_cndmask_b32_e64 v27, 0, v27, s[8:9]
	v_cmp_nlt_f32_e64 s[8:9], s24, v21
	v_cndmask_b32_e64 v21, 0, v6, s[10:11]
	v_cndmask_b32_e64 v6, v8, v12, s[12:13]
	v_ldexp_f32 v24, v26, v29
	v_cmp_ngt_f32_e64 s[2:3], s23, v31
	v_cmp_ngt_f32_e64 s[4:5], s23, v40
	v_ldexp_f32 v26, v41, v46
	v_cmp_ngt_f32_e64 s[6:7], s23, v20
	v_cndmask_b32_e64 v9, 0, v23, s[0:1]
	v_cmp_nlt_f32_e64 s[0:1], s24, v30
	v_cndmask_b32_e32 v12, v8, v13, vcc
	s_waitcnt vmcnt(7)
	v_pk_fma_f32 v[2:3], v[6:7], v[32:33], v[2:3] op_sel_hi:[0,1,1]
	v_cndmask_b32_e64 v23, 0, v24, s[2:3]
	v_cmp_nlt_f32_e64 s[2:3], s24, v31
	v_cndmask_b32_e64 v24, 0, v25, s[4:5]
	v_cndmask_b32_e64 v25, 0, v26, s[6:7]
	v_cmp_nlt_f32_e64 s[6:7], s24, v20
	v_cndmask_b32_e64 v20, v8, v9, s[0:1]
	s_waitcnt vmcnt(6)
	v_pk_fma_f32 v[2:3], v[12:13], v[34:35], v[2:3] op_sel_hi:[0,1,1]
	v_cmp_nlt_f32_e64 s[4:5], s24, v40
	v_cmp_nlt_f32_e64 s[10:11], s24, v22
	v_cndmask_b32_e64 v22, v8, v23, s[2:3]
	s_waitcnt vmcnt(5)
	v_pk_fma_f32 v[2:3], v[20:21], v[36:37], v[2:3] op_sel_hi:[0,1,1]
	v_cndmask_b32_e64 v24, v8, v24, s[4:5]
	s_waitcnt vmcnt(4)
	v_pk_fma_f32 v[2:3], v[22:23], v[38:39], v[2:3] op_sel_hi:[0,1,1]
	;; [unrolled: 3-line block ×4, first 2 shown]
	s_add_i32 s25, s25, 8
	s_add_i32 s21, s21, 64
	v_cndmask_b32_e64 v30, v8, v21, s[10:11]
	s_waitcnt vmcnt(1)
	v_pk_fma_f32 v[2:3], v[28:29], v[16:17], v[2:3] op_sel_hi:[0,1,1]
	s_cmp_eq_u32 s20, s25
	v_add_u32_e32 v4, 0x200, v4
	s_waitcnt vmcnt(0)
	v_pk_fma_f32 v[2:3], v[30:31], v[18:19], v[2:3] op_sel_hi:[0,1,1]
	s_cbranch_scc0 .LBB8_24
; %bb.25:
	s_and_b32 s0, s19, 7
	s_cmp_eq_u32 s0, 0
	s_cbranch_scc0 .LBB8_28
	s_branch .LBB8_30
.LBB8_26:
	s_waitcnt lgkmcnt(0)
	v_mov_b32_e32 v1, 0x7fc00000
	s_branch .LBB8_31
.LBB8_27:
	v_mov_b32_e32 v2, 0
	s_mov_b32 s20, 0
	v_mov_b32_e32 v3, v2
	s_and_b32 s0, s19, 7
	s_cmp_eq_u32 s0, 0
	s_cbranch_scc1 .LBB8_30
.LBB8_28:
	s_lshl_b32 s1, s20, 3
	v_lshl_or_b32 v4, s20, 6, v0
	s_add_i32 s1, s1, 0
	s_mov_b32 s2, 0x3fb8aa3b
	s_mov_b32 s3, 0xc2ce8ed0
	;; [unrolled: 1-line block ×3, first 2 shown]
	v_mov_b32_e32 v6, 0x7f800000
	v_mov_b32_e32 v5, 0
.LBB8_29:                               ; =>This Inner Loop Header: Depth=1
	v_lshl_add_u64 v[8:9], v[4:5], 2, s[16:17]
	global_load_dword v9, v[8:9], off
	v_mov_b32_e32 v7, s1
	ds_read_b64 v[10:11], v7
	s_add_i32 s1, s1, 8
	s_add_i32 s0, s0, -1
	v_add_u32_e32 v4, 64, v4
	s_cmp_lg_u32 s0, 0
	s_waitcnt lgkmcnt(0)
	v_sub_f32_e32 v7, v10, v1
	v_mul_f32_e32 v8, 0x3fb8aa3b, v7
	v_fma_f32 v10, v7, s2, -v8
	v_rndne_f32_e32 v12, v8
	v_fmac_f32_e32 v10, 0x32a5705f, v7
	v_sub_f32_e32 v8, v8, v12
	v_add_f32_e32 v8, v8, v10
	v_cvt_i32_f32_e32 v12, v12
	v_exp_f32_e32 v10, v8
	v_cmp_ngt_f32_e32 vcc, s3, v7
	v_mov_b32_e32 v8, v11
	v_ldexp_f32 v10, v10, v12
	v_cndmask_b32_e32 v10, 0, v10, vcc
	v_cmp_nlt_f32_e32 vcc, s4, v7
	s_nop 1
	v_cndmask_b32_e32 v10, v6, v10, vcc
	s_waitcnt vmcnt(0)
	v_pk_fma_f32 v[2:3], v[10:11], v[8:9], v[2:3] op_sel_hi:[0,1,1]
	s_cbranch_scc1 .LBB8_29
.LBB8_30:
	s_waitcnt lgkmcnt(0)
	v_div_scale_f32 v1, s[0:1], v2, v2, v3
	v_rcp_f32_e32 v4, v1
	v_div_scale_f32 v5, vcc, v3, v2, v3
	v_fma_f32 v6, -v1, v4, 1.0
	v_fmac_f32_e32 v4, v6, v4
	v_mul_f32_e32 v6, v5, v4
	v_fma_f32 v7, -v1, v6, v5
	v_fmac_f32_e32 v6, v7, v4
	v_fma_f32 v1, -v1, v6, v5
	v_div_fmas_f32 v1, v1, v4, v6
	v_div_fixup_f32 v1, v1, v2, v3
.LBB8_31:
	s_lshl_b32 s0, s18, 6
	s_ashr_i32 s1, s0, 31
	s_lshl_b64 s[0:1], s[0:1], 2
	s_add_u32 s0, s14, s0
	s_addc_u32 s1, s15, s1
	v_lshlrev_b32_e32 v0, 2, v0
	global_store_dword v0, v1, s[0:1]
	s_endpgm
	.section	.rodata,"a",@progbits
	.p2align	6, 0x0
	.amdhsa_kernel _ZL26flash_attn_combine_resultsILi64EEvPKfPK15HIP_vector_typeIfLj2EEPfi
		.amdhsa_group_segment_fixed_size 0
		.amdhsa_private_segment_fixed_size 0
		.amdhsa_kernarg_size 288
		.amdhsa_user_sgpr_count 2
		.amdhsa_user_sgpr_dispatch_ptr 0
		.amdhsa_user_sgpr_queue_ptr 0
		.amdhsa_user_sgpr_kernarg_segment_ptr 1
		.amdhsa_user_sgpr_dispatch_id 0
		.amdhsa_user_sgpr_kernarg_preload_length 0
		.amdhsa_user_sgpr_kernarg_preload_offset 0
		.amdhsa_user_sgpr_private_segment_size 0
		.amdhsa_uses_dynamic_stack 0
		.amdhsa_enable_private_segment 0
		.amdhsa_system_sgpr_workgroup_id_x 1
		.amdhsa_system_sgpr_workgroup_id_y 1
		.amdhsa_system_sgpr_workgroup_id_z 1
		.amdhsa_system_sgpr_workgroup_info 0
		.amdhsa_system_vgpr_workitem_id 0
		.amdhsa_next_free_vgpr 59
		.amdhsa_next_free_sgpr 26
		.amdhsa_accum_offset 60
		.amdhsa_reserve_vcc 1
		.amdhsa_float_round_mode_32 0
		.amdhsa_float_round_mode_16_64 0
		.amdhsa_float_denorm_mode_32 3
		.amdhsa_float_denorm_mode_16_64 3
		.amdhsa_dx10_clamp 1
		.amdhsa_ieee_mode 1
		.amdhsa_fp16_overflow 0
		.amdhsa_tg_split 0
		.amdhsa_exception_fp_ieee_invalid_op 0
		.amdhsa_exception_fp_denorm_src 0
		.amdhsa_exception_fp_ieee_div_zero 0
		.amdhsa_exception_fp_ieee_overflow 0
		.amdhsa_exception_fp_ieee_underflow 0
		.amdhsa_exception_fp_ieee_inexact 0
		.amdhsa_exception_int_div_zero 0
	.end_amdhsa_kernel
	.section	.text._ZL26flash_attn_combine_resultsILi64EEvPKfPK15HIP_vector_typeIfLj2EEPfi,"axG",@progbits,_ZL26flash_attn_combine_resultsILi64EEvPKfPK15HIP_vector_typeIfLj2EEPfi,comdat
.Lfunc_end8:
	.size	_ZL26flash_attn_combine_resultsILi64EEvPKfPK15HIP_vector_typeIfLj2EEPfi, .Lfunc_end8-_ZL26flash_attn_combine_resultsILi64EEvPKfPK15HIP_vector_typeIfLj2EEPfi
                                        ; -- End function
	.set _ZL26flash_attn_combine_resultsILi64EEvPKfPK15HIP_vector_typeIfLj2EEPfi.num_vgpr, 59
	.set _ZL26flash_attn_combine_resultsILi64EEvPKfPK15HIP_vector_typeIfLj2EEPfi.num_agpr, 0
	.set _ZL26flash_attn_combine_resultsILi64EEvPKfPK15HIP_vector_typeIfLj2EEPfi.numbered_sgpr, 26
	.set _ZL26flash_attn_combine_resultsILi64EEvPKfPK15HIP_vector_typeIfLj2EEPfi.num_named_barrier, 0
	.set _ZL26flash_attn_combine_resultsILi64EEvPKfPK15HIP_vector_typeIfLj2EEPfi.private_seg_size, 0
	.set _ZL26flash_attn_combine_resultsILi64EEvPKfPK15HIP_vector_typeIfLj2EEPfi.uses_vcc, 1
	.set _ZL26flash_attn_combine_resultsILi64EEvPKfPK15HIP_vector_typeIfLj2EEPfi.uses_flat_scratch, 0
	.set _ZL26flash_attn_combine_resultsILi64EEvPKfPK15HIP_vector_typeIfLj2EEPfi.has_dyn_sized_stack, 0
	.set _ZL26flash_attn_combine_resultsILi64EEvPKfPK15HIP_vector_typeIfLj2EEPfi.has_recursion, 0
	.set _ZL26flash_attn_combine_resultsILi64EEvPKfPK15HIP_vector_typeIfLj2EEPfi.has_indirect_call, 0
	.section	.AMDGPU.csdata,"",@progbits
; Kernel info:
; codeLenInByte = 2900
; TotalNumSgprs: 32
; NumVgprs: 59
; NumAgprs: 0
; TotalNumVgprs: 59
; ScratchSize: 0
; MemoryBound: 0
; FloatMode: 240
; IeeeMode: 1
; LDSByteSize: 0 bytes/workgroup (compile time only)
; SGPRBlocks: 3
; VGPRBlocks: 7
; NumSGPRsForWavesPerEU: 32
; NumVGPRsForWavesPerEU: 59
; AccumOffset: 60
; Occupancy: 8
; WaveLimiterHint : 0
; COMPUTE_PGM_RSRC2:SCRATCH_EN: 0
; COMPUTE_PGM_RSRC2:USER_SGPR: 2
; COMPUTE_PGM_RSRC2:TRAP_HANDLER: 0
; COMPUTE_PGM_RSRC2:TGID_X_EN: 1
; COMPUTE_PGM_RSRC2:TGID_Y_EN: 1
; COMPUTE_PGM_RSRC2:TGID_Z_EN: 1
; COMPUTE_PGM_RSRC2:TIDIG_COMP_CNT: 0
; COMPUTE_PGM_RSRC3_GFX90A:ACCUM_OFFSET: 14
; COMPUTE_PGM_RSRC3_GFX90A:TG_SPLIT: 0
	.section	.text._ZL18flash_attn_ext_f16ILi80ELi80ELi16ELi1ELb0ELb0EEvPKcS1_S1_S1_S1_PKiPfP15HIP_vector_typeIfLj2EEffffjfiS5_IjLj3EEiiiiiiiiiiiliiliiiiil,"axG",@progbits,_ZL18flash_attn_ext_f16ILi80ELi80ELi16ELi1ELb0ELb0EEvPKcS1_S1_S1_S1_PKiPfP15HIP_vector_typeIfLj2EEffffjfiS5_IjLj3EEiiiiiiiiiiiliiliiiiil,comdat
	.globl	_ZL18flash_attn_ext_f16ILi80ELi80ELi16ELi1ELb0ELb0EEvPKcS1_S1_S1_S1_PKiPfP15HIP_vector_typeIfLj2EEffffjfiS5_IjLj3EEiiiiiiiiiiiliiliiiiil ; -- Begin function _ZL18flash_attn_ext_f16ILi80ELi80ELi16ELi1ELb0ELb0EEvPKcS1_S1_S1_S1_PKiPfP15HIP_vector_typeIfLj2EEffffjfiS5_IjLj3EEiiiiiiiiiiiliiliiiiil
	.p2align	8
	.type	_ZL18flash_attn_ext_f16ILi80ELi80ELi16ELi1ELb0ELb0EEvPKcS1_S1_S1_S1_PKiPfP15HIP_vector_typeIfLj2EEffffjfiS5_IjLj3EEiiiiiiiiiiiliiliiiiil,@function
_ZL18flash_attn_ext_f16ILi80ELi80ELi16ELi1ELb0ELb0EEvPKcS1_S1_S1_S1_PKiPfP15HIP_vector_typeIfLj2EEffffjfiS5_IjLj3EEiiiiiiiiiiiliiliiiiil: ; @_ZL18flash_attn_ext_f16ILi80ELi80ELi16ELi1ELb0ELb0EEvPKcS1_S1_S1_S1_PKiPfP15HIP_vector_typeIfLj2EEffffjfiS5_IjLj3EEiiiiiiiiiiiliiliiiiil
; %bb.0:
	s_load_dwordx2 s[10:11], s[0:1], 0x80
	s_load_dwordx4 s[56:59], s[0:1], 0x64
	s_mov_b32 s64, s2
                                        ; implicit-def: $vgpr172 : SGPR spill to VGPR lane
	s_load_dword s65, s[0:1], 0xd0
	s_mov_b32 s4, 0
	s_waitcnt lgkmcnt(0)
	s_abs_i32 s2, s11
	v_cvt_f32_u32_e32 v1, s2
	s_sub_i32 s6, 0, s2
	s_abs_i32 s5, s57
	s_xor_b32 s3, s57, s11
	v_rcp_iflag_f32_e32 v1, v1
	s_ashr_i32 s3, s3, 31
	v_mul_f32_e32 v1, 0x4f7ffffe, v1
	v_cvt_u32_f32_e32 v1, v1
	s_nop 0
	v_readfirstlane_b32 s7, v1
	s_mul_i32 s6, s6, s7
	s_mul_hi_u32 s6, s7, s6
	s_add_i32 s7, s7, s6
	s_mul_hi_u32 s6, s5, s7
	s_mul_i32 s7, s6, s2
	s_sub_i32 s5, s5, s7
	s_add_i32 s8, s6, 1
	s_sub_i32 s7, s5, s2
	s_cmp_ge_u32 s5, s2
	s_cselect_b32 s6, s8, s6
	s_cselect_b32 s5, s7, s5
	s_add_i32 s7, s6, 1
	s_cmp_ge_u32 s5, s2
	s_cselect_b32 s2, s7, s6
	s_add_i32 s5, s10, 63
	s_xor_b32 s2, s2, s3
	s_ashr_i32 s6, s5, 31
	s_sub_i32 s3, s2, s3
	s_lshr_b32 s2, s6, 26
	s_add_i32 s5, s5, s2
	s_add_i32 s2, s56, 15
	s_lshr_b32 s2, s2, 4
	s_ashr_i32 s5, s5, 6
	v_writelane_b32 v172, s2, 0
	v_writelane_b32 v172, s5, 1
	s_mul_i32 s2, s2, s5
	v_writelane_b32 v172, s3, 2
	v_writelane_b32 v172, s2, 3
	s_mul_i32 s3, s2, s3
	s_mov_b32 s2, s10
	v_writelane_b32 v172, s2, 4
	s_nop 1
	v_writelane_b32 v172, s3, 5
	s_mul_i32 s2, s3, s11
	s_mul_i32 s8, s2, s58
	v_writelane_b32 v172, s3, 6
	s_ashr_i32 s9, s8, 31
	v_writelane_b32 v172, s2, 7
	s_mul_i32 s2, s9, s64
	s_mul_hi_u32 s3, s8, s64
	s_add_i32 s5, s3, s2
	s_cmp_lg_u64 s[4:5], 0
	s_mul_i32 s4, s8, s64
	s_cbranch_scc0 .LBB9_2
; %bb.1:
	s_add_u32 s2, s65, 0
	s_addc_u32 s3, 0, 0
	s_xor_b64 s[6:7], s[2:3], 0
	v_cvt_f32_u32_e32 v1, s6
	v_cvt_f32_u32_e32 v2, s7
	s_sub_u32 s12, 0, s6
	s_subb_u32 s13, 0, s7
	s_mov_b64 s[2:3], 0
	v_fmamk_f32 v1, v2, 0x4f800000, v1
	v_rcp_f32_e32 v1, v1
	s_nop 0
	v_mul_f32_e32 v1, 0x5f7ffffc, v1
	v_mul_f32_e32 v2, 0x2f800000, v1
	v_trunc_f32_e32 v2, v2
	v_fmamk_f32 v1, v2, 0xcf800000, v1
	v_cvt_u32_f32_e32 v2, v2
	v_cvt_u32_f32_e32 v1, v1
	v_readfirstlane_b32 s14, v2
	v_readfirstlane_b32 s10, v1
	s_mul_i32 s11, s12, s14
	s_mul_hi_u32 s16, s12, s10
	s_mul_i32 s15, s13, s10
	s_add_i32 s11, s16, s11
	s_add_i32 s11, s11, s15
	s_mul_i32 s17, s12, s10
	s_mul_i32 s16, s10, s11
	s_mul_hi_u32 s18, s10, s17
	s_mul_hi_u32 s15, s10, s11
	s_add_u32 s16, s18, s16
	s_addc_u32 s15, 0, s15
	s_mul_hi_u32 s19, s14, s17
	s_mul_i32 s17, s14, s17
	s_add_u32 s16, s16, s17
	s_mul_hi_u32 s18, s14, s11
	s_addc_u32 s15, s15, s19
	s_addc_u32 s16, s18, 0
	s_mul_i32 s11, s14, s11
	s_add_u32 s11, s15, s11
	s_addc_u32 s15, 0, s16
	s_add_u32 s16, s10, s11
	s_cselect_b64 s[10:11], -1, 0
	s_cmp_lg_u64 s[10:11], 0
	s_addc_u32 s14, s14, s15
	s_mul_i32 s10, s12, s14
	s_mul_hi_u32 s11, s12, s16
	s_add_i32 s10, s11, s10
	s_mul_i32 s13, s13, s16
	s_add_i32 s10, s10, s13
	s_mul_i32 s12, s12, s16
	s_mul_hi_u32 s13, s14, s12
	s_mul_i32 s15, s14, s12
	s_mul_i32 s18, s16, s10
	s_mul_hi_u32 s12, s16, s12
	s_mul_hi_u32 s17, s16, s10
	s_add_u32 s12, s12, s18
	s_addc_u32 s17, 0, s17
	s_add_u32 s12, s12, s15
	s_mul_hi_u32 s11, s14, s10
	s_addc_u32 s12, s17, s13
	s_addc_u32 s11, s11, 0
	s_mul_i32 s10, s14, s10
	s_add_u32 s10, s12, s10
	s_addc_u32 s12, 0, s11
	s_add_u32 s15, s16, s10
	s_cselect_b64 s[10:11], -1, 0
	s_cmp_lg_u64 s[10:11], 0
	s_addc_u32 s14, s14, s12
	s_ashr_i32 s10, s5, 31
	s_add_u32 s12, s4, s10
	s_mov_b32 s11, s10
	s_addc_u32 s13, s5, s10
	s_xor_b64 s[12:13], s[12:13], s[10:11]
	s_mul_i32 s16, s12, s14
	s_mul_hi_u32 s17, s12, s15
	s_mul_hi_u32 s5, s12, s14
	s_add_u32 s16, s17, s16
	s_addc_u32 s5, 0, s5
	s_mul_hi_u32 s18, s13, s15
	s_mul_i32 s15, s13, s15
	s_add_u32 s15, s16, s15
	s_mul_hi_u32 s17, s13, s14
	s_addc_u32 s5, s5, s18
	s_addc_u32 s15, s17, 0
	s_mul_i32 s14, s13, s14
	s_add_u32 s5, s5, s14
	s_addc_u32 s18, 0, s15
	s_mul_i32 s14, s6, s18
	s_mul_hi_u32 s15, s6, s5
	s_add_i32 s14, s15, s14
	s_mul_i32 s15, s7, s5
	s_add_i32 s19, s14, s15
	s_sub_i32 s16, s13, s19
	s_mul_i32 s14, s6, s5
	s_sub_u32 s12, s12, s14
	s_cselect_b64 s[14:15], -1, 0
	s_cmp_lg_u64 s[14:15], 0
	s_subb_u32 s20, s16, s7
	s_sub_u32 s21, s12, s6
	s_cselect_b64 s[16:17], -1, 0
	s_cmp_lg_u64 s[16:17], 0
	s_subb_u32 s16, s20, 0
	s_cmp_ge_u32 s16, s7
	s_cselect_b32 s17, -1, 0
	s_cmp_ge_u32 s21, s6
	s_cselect_b32 s20, -1, 0
	s_cmp_eq_u32 s16, s7
	s_cselect_b32 s16, s20, s17
	s_add_u32 s17, s5, 1
	s_addc_u32 s20, s18, 0
	s_add_u32 s21, s5, 2
	s_addc_u32 s22, s18, 0
	s_cmp_lg_u32 s16, 0
	s_cselect_b32 s16, s21, s17
	s_cselect_b32 s17, s22, s20
	s_cmp_lg_u64 s[14:15], 0
	s_subb_u32 s13, s13, s19
	s_cmp_ge_u32 s13, s7
	s_cselect_b32 s14, -1, 0
	s_cmp_ge_u32 s12, s6
	s_cselect_b32 s6, -1, 0
	s_cmp_eq_u32 s13, s7
	s_cselect_b32 s6, s6, s14
	s_cmp_lg_u32 s6, 0
	s_cselect_b32 s7, s17, s18
	s_cselect_b32 s6, s16, s5
	s_xor_b64 s[10:11], s[10:11], 0
	s_xor_b64 s[6:7], s[6:7], s[10:11]
	s_sub_u32 s82, s6, s10
	s_branch .LBB9_3
.LBB9_2:
	s_mov_b64 s[2:3], -1
                                        ; implicit-def: $sgpr82_sgpr83
.LBB9_3:
	s_load_dwordx2 s[6:7], s[0:1], 0x74
	v_cvt_f32_u32_e32 v1, s65
	s_andn2_b64 vcc, exec, s[2:3]
	s_waitcnt lgkmcnt(0)
	v_writelane_b32 v172, s6, 8
	s_nop 1
	v_writelane_b32 v172, s7, 9
	s_cbranch_vccnz .LBB9_5
; %bb.4:
	v_rcp_iflag_f32_e32 v2, v1
	s_sub_i32 s2, 0, s65
	v_mul_f32_e32 v2, 0x4f7ffffe, v2
	v_cvt_u32_f32_e32 v2, v2
	s_nop 0
	v_readfirstlane_b32 s3, v2
	s_mul_i32 s2, s2, s3
	s_mul_hi_u32 s2, s3, s2
	s_add_i32 s3, s3, s2
	s_mul_hi_u32 s2, s4, s3
	s_mul_i32 s5, s2, s65
	s_sub_i32 s4, s4, s5
	s_add_i32 s3, s2, 1
	s_sub_i32 s5, s4, s65
	s_cmp_ge_u32 s4, s65
	s_cselect_b32 s2, s3, s2
	s_cselect_b32 s4, s5, s4
	s_add_i32 s3, s2, 1
	s_cmp_ge_u32 s4, s65
	s_cselect_b32 s82, s3, s2
.LBB9_5:
	s_add_i32 s2, s64, 1
	s_mul_i32 s3, s9, s2
	s_mul_hi_u32 s4, s8, s2
	s_add_i32 s7, s4, s3
	s_mov_b32 s6, 0
	s_cmp_lg_u64 s[6:7], 0
	s_mul_i32 s6, s8, s2
	s_cbranch_scc0 .LBB9_245
; %bb.6:
	s_add_u32 s2, s65, 0
	s_addc_u32 s3, 0, 0
	s_xor_b64 s[4:5], s[2:3], 0
	v_cvt_f32_u32_e32 v2, s4
	v_cvt_f32_u32_e32 v3, s5
	s_sub_u32 s10, 0, s4
	s_subb_u32 s11, 0, s5
	v_fmamk_f32 v2, v3, 0x4f800000, v2
	v_rcp_f32_e32 v2, v2
	s_nop 0
	v_mul_f32_e32 v2, 0x5f7ffffc, v2
	v_mul_f32_e32 v3, 0x2f800000, v2
	v_trunc_f32_e32 v3, v3
	v_fmamk_f32 v2, v3, 0xcf800000, v2
	v_cvt_u32_f32_e32 v3, v3
	v_cvt_u32_f32_e32 v2, v2
	v_readfirstlane_b32 s12, v3
	v_readfirstlane_b32 s8, v2
	s_mul_i32 s9, s10, s12
	s_mul_hi_u32 s14, s10, s8
	s_mul_i32 s13, s11, s8
	s_add_i32 s9, s14, s9
	s_add_i32 s9, s9, s13
	s_mul_i32 s15, s10, s8
	s_mul_i32 s14, s8, s9
	s_mul_hi_u32 s16, s8, s15
	s_mul_hi_u32 s13, s8, s9
	s_add_u32 s14, s16, s14
	s_addc_u32 s13, 0, s13
	s_mul_hi_u32 s17, s12, s15
	s_mul_i32 s15, s12, s15
	s_add_u32 s14, s14, s15
	s_mul_hi_u32 s16, s12, s9
	s_addc_u32 s13, s13, s17
	s_addc_u32 s14, s16, 0
	s_mul_i32 s9, s12, s9
	s_add_u32 s9, s13, s9
	s_addc_u32 s13, 0, s14
	s_add_u32 s14, s8, s9
	s_cselect_b64 s[8:9], -1, 0
	s_cmp_lg_u64 s[8:9], 0
	s_addc_u32 s12, s12, s13
	s_mul_i32 s8, s10, s12
	s_mul_hi_u32 s9, s10, s14
	s_add_i32 s8, s9, s8
	s_mul_i32 s11, s11, s14
	s_add_i32 s8, s8, s11
	s_mul_i32 s10, s10, s14
	s_mul_hi_u32 s11, s12, s10
	s_mul_i32 s13, s12, s10
	s_mul_i32 s16, s14, s8
	s_mul_hi_u32 s10, s14, s10
	s_mul_hi_u32 s15, s14, s8
	s_add_u32 s10, s10, s16
	s_addc_u32 s15, 0, s15
	s_add_u32 s10, s10, s13
	s_mul_hi_u32 s9, s12, s8
	s_addc_u32 s10, s15, s11
	s_addc_u32 s9, s9, 0
	s_mul_i32 s8, s12, s8
	s_add_u32 s8, s10, s8
	s_addc_u32 s10, 0, s9
	s_add_u32 s13, s14, s8
	s_cselect_b64 s[8:9], -1, 0
	s_cmp_lg_u64 s[8:9], 0
	s_addc_u32 s12, s12, s10
	s_ashr_i32 s8, s7, 31
	s_add_u32 s10, s6, s8
	s_mov_b32 s9, s8
	s_addc_u32 s11, s7, s8
	s_xor_b64 s[10:11], s[10:11], s[8:9]
	s_mul_i32 s14, s10, s12
	s_mul_hi_u32 s15, s10, s13
	s_mul_hi_u32 s7, s10, s12
	s_add_u32 s14, s15, s14
	s_addc_u32 s7, 0, s7
	s_mul_hi_u32 s16, s11, s13
	s_mul_i32 s13, s11, s13
	s_add_u32 s13, s14, s13
	s_mul_hi_u32 s15, s11, s12
	s_addc_u32 s7, s7, s16
	s_addc_u32 s13, s15, 0
	s_mul_i32 s12, s11, s12
	s_add_u32 s7, s7, s12
	s_addc_u32 s16, 0, s13
	s_mul_i32 s12, s4, s16
	s_mul_hi_u32 s13, s4, s7
	s_add_i32 s12, s13, s12
	s_mul_i32 s13, s5, s7
	s_add_i32 s17, s12, s13
	s_sub_i32 s14, s11, s17
	s_mul_i32 s12, s4, s7
	s_sub_u32 s10, s10, s12
	s_cselect_b64 s[12:13], -1, 0
	s_cmp_lg_u64 s[12:13], 0
	s_subb_u32 s18, s14, s5
	s_sub_u32 s19, s10, s4
	s_cselect_b64 s[14:15], -1, 0
	s_cmp_lg_u64 s[14:15], 0
	s_subb_u32 s14, s18, 0
	s_cmp_ge_u32 s14, s5
	s_cselect_b32 s15, -1, 0
	s_cmp_ge_u32 s19, s4
	s_cselect_b32 s18, -1, 0
	s_cmp_eq_u32 s14, s5
	s_cselect_b32 s14, s18, s15
	s_add_u32 s15, s7, 1
	s_addc_u32 s18, s16, 0
	s_add_u32 s19, s7, 2
	s_addc_u32 s20, s16, 0
	s_cmp_lg_u32 s14, 0
	s_cselect_b32 s14, s19, s15
	s_cselect_b32 s15, s20, s18
	s_cmp_lg_u64 s[12:13], 0
	s_subb_u32 s11, s11, s17
	s_cmp_ge_u32 s11, s5
	s_cselect_b32 s12, -1, 0
	s_cmp_ge_u32 s10, s4
	s_cselect_b32 s4, -1, 0
	s_cmp_eq_u32 s11, s5
	s_cselect_b32 s4, s4, s12
	s_cmp_lg_u32 s4, 0
	s_cselect_b32 s5, s15, s16
	s_cselect_b32 s4, s14, s7
	s_xor_b64 s[8:9], s[8:9], 0
	s_xor_b64 s[4:5], s[4:5], s[8:9]
	s_sub_u32 s4, s4, s8
	v_writelane_b32 v172, s4, 10
	s_nop 1
	v_writelane_b32 v172, s5, 11
	s_load_dwordx2 s[70:71], s[0:1], 0x5c
	s_cbranch_execnz .LBB9_8
.LBB9_7:
	v_rcp_iflag_f32_e32 v1, v1
	s_sub_i32 s2, 0, s65
	v_mul_f32_e32 v1, 0x4f7ffffe, v1
	v_cvt_u32_f32_e32 v1, v1
	s_nop 0
	v_readfirstlane_b32 s3, v1
	s_mul_i32 s2, s2, s3
	s_mul_hi_u32 s2, s3, s2
	s_add_i32 s3, s3, s2
	s_mul_hi_u32 s2, s6, s3
	s_mul_i32 s4, s2, s65
	s_sub_i32 s4, s6, s4
	s_add_i32 s3, s2, 1
	s_sub_i32 s5, s4, s65
	s_cmp_ge_u32 s4, s65
	s_cselect_b32 s2, s3, s2
	s_cselect_b32 s4, s5, s4
	s_add_i32 s3, s2, 1
	s_cmp_ge_u32 s4, s65
	s_cselect_b32 s2, s3, s2
	v_writelane_b32 v172, s2, 10
	s_nop 1
	v_writelane_b32 v172, s3, 11
.LBB9_8:
	s_load_dwordx16 s[40:55], s[0:1], 0x0
	s_load_dwordx4 s[12:15], s[0:1], 0x40
	s_load_dword s2, s[0:1], 0x50
	v_bfe_u32 v45, v0, 10, 10
	s_mov_b32 s91, 0
	v_bfe_u32 v96, v0, 5, 5
	s_waitcnt lgkmcnt(0)
	v_cvt_f16_f32_e32 v39, s12
	v_writelane_b32 v172, s2, 12
	s_load_dwordx2 s[2:3], s[0:1], 0x8c
	s_load_dwordx4 s[60:63], s[0:1], 0x98
	s_load_dwordx2 s[4:5], s[0:1], 0xa8
	s_load_dwordx2 s[16:17], s[0:1], 0xb8
	s_nop 0
	s_load_dwordx2 s[0:1], s[0:1], 0xc8
	v_lshlrev_b32_e32 v35, 1, v45
	s_waitcnt lgkmcnt(0)
	s_ashr_i32 s72, s2, 2
	s_ashr_i32 s58, s62, 2
	v_writelane_b32 v172, s4, 13
	s_ashr_i32 s74, s17, 1
	v_and_b32_e32 v34, 31, v0
	v_writelane_b32 v172, s5, 14
	v_writelane_b32 v172, s0, 15
	v_lshlrev_b32_e32 v98, 2, v45
	v_lshlrev_b32_e32 v97, 4, v45
	v_writelane_b32 v172, s1, 16
	s_ashr_i32 s0, s59, 3
	v_readlane_b32 s5, v172, 1
	s_abs_i32 s83, s5
	v_cvt_f32_u32_e32 v1, s83
	v_writelane_b32 v172, s0, 17
	s_mov_b32 s1, s3
	s_sub_i32 s2, 0, s83
	v_rcp_iflag_f32_e32 v1, v1
	v_writelane_b32 v172, s0, 18
	v_mbcnt_lo_u32_b32 v99, -1, 0
	v_mul_f32_e32 v1, 0x4f7ffffe, v1
	v_cvt_u32_f32_e32 v1, v1
	v_writelane_b32 v172, s1, 19
	s_ashr_i32 s1, s5, 31
	v_writelane_b32 v172, s1, 20
	v_readfirstlane_b32 s3, v1
	s_mul_i32 s2, s2, s3
	s_mul_hi_u32 s2, s3, s2
	s_abs_i32 s1, s82
	s_add_i32 s29, s3, s2
	s_mul_hi_u32 s2, s1, s29
	s_mul_i32 s2, s2, s83
	s_sub_i32 s1, s1, s2
	s_ashr_i32 s0, s82, 31
	s_sub_i32 s2, s1, s83
	s_cmp_ge_u32 s1, s83
	s_cselect_b32 s1, s2, s1
	s_sub_i32 s2, s1, s83
	s_cmp_ge_u32 s1, s83
	s_cselect_b32 s1, s2, s1
	s_xor_b32 s1, s1, s0
	s_sub_i32 s34, s1, s0
	v_readlane_b32 s0, v172, 10
	s_mov_b32 s2, s0
	s_sub_i32 s0, s0, s82
	s_add_i32 s4, s0, s34
	s_min_i32 s88, s5, s4
	v_readlane_b32 s1, v172, 11
	s_cmp_gt_i32 s2, s82
	s_cselect_b64 s[0:1], -1, 0
	s_cmp_le_i32 s2, s82
	s_cselect_b64 s[2:3], -1, 0
	s_cmp_gt_i32 s5, s4
	s_cselect_b64 s[4:5], -1, 0
	s_or_b64 s[2:3], s[4:5], s[2:3]
	s_and_b64 vcc, exec, s[2:3]
	s_cbranch_vccz .LBB9_11
; %bb.9:
	s_andn2_b64 vcc, exec, s[0:1]
	s_cbranch_vccz .LBB9_212
.LBB9_10:
	s_endpgm
.LBB9_11:
	s_cmp_lg_u64 s[46:47], 0
	v_writelane_b32 v172, s65, 21
	s_cselect_b64 s[0:1], -1, 0
	v_writelane_b32 v172, s0, 22
	s_cmp_eq_u64 s[48:49], 0
	s_mov_b64 s[2:3], s[14:15]
	v_writelane_b32 v172, s1, 23
	s_mul_i32 s0, s56, s57
	v_writelane_b32 v172, s0, 24
	s_cselect_b64 s[0:1], -1, 0
	v_writelane_b32 v172, s0, 25
	s_cmp_lg_u64 s[50:51], 0
	v_bfe_u32 v1, v0, 3, 7
	v_writelane_b32 v172, s1, 26
	s_mov_b32 s1, s13
	v_writelane_b32 v172, s0, 27
	v_lshl_add_u32 v43, v45, 3, v1
	v_bfe_u32 v8, v0, 1, 9
	v_writelane_b32 v172, s1, 28
	v_writelane_b32 v172, s2, 29
	;; [unrolled: 1-line block ×3, first 2 shown]
	v_cmp_nle_f32_e64 s[0:1], s13, 0
	v_and_b32_e32 v38, 0x3ff, v0
	v_and_b32_e32 v4, 0x3f0, v98
	v_writelane_b32 v172, s0, 31
	v_and_b32_e32 v6, 15, v0
	v_and_b32_e32 v9, 0x78, v8
	v_writelane_b32 v172, s1, 32
	s_cselect_b64 s[0:1], -1, 0
	v_writelane_b32 v172, s0, 33
	v_lshl_add_u32 v102, v45, 5, v8
	v_lshlrev_b32_e32 v8, 2, v38
	v_writelane_b32 v172, s1, 34
	v_cmp_gt_u32_e64 s[0:1], 16, v43
	v_and_b32_e32 v36, 7, v0
	v_mul_u32_u24_e32 v7, 0xb0, v6
	v_writelane_b32 v172, s0, 35
	v_and_b32_e32 v42, 28, v8
	v_lshlrev_b32_e32 v3, 2, v36
	v_writelane_b32 v172, s1, 36
	s_movk_i32 s0, 0xb0
	v_mad_u32_u24 v5, v4, s0, 0
	v_mad_u32_u24 v2, v43, s0, 0
	v_add3_u32 v101, v5, v7, v9
	v_and_b32_e32 v5, 48, v97
	v_lshlrev_b32_e32 v11, 2, v42
	v_add_u32_e32 v104, 32, v43
	v_add_u32_e32 v100, v2, v3
	v_mad_u32_u24 v10, v5, s0, 0
	v_add_u32_e32 v103, v2, v11
	v_mul_u32_u24_e32 v2, 0xb0, v104
	v_and_b32_e32 v44, 4, v8
	v_add3_u32 v105, 0, v2, v11
	v_add3_u32 v106, v10, v7, v9
	v_mad_u32_u24 v2, v102, s0, 0
	v_lshlrev_b32_e32 v7, 2, v44
	s_movk_i32 s0, 0x80
	v_add3_u32 v107, v2, v7, s0
	v_lshrrev_b32_e32 v2, 2, v0
	v_and_b32_e32 v2, 60, v2
	v_add_u32_e32 v108, v2, v5
	v_add_u16_e32 v2, v2, v5
	v_or_b32_e32 v4, v4, v6
	v_lshrrev_b16_e32 v2, 1, v2
	v_mul_u32_u24_e32 v4, 0x90, v4
	v_lshlrev_b32_e32 v2, 2, v2
	v_add3_u32 v109, 0, v4, v2
	v_lshlrev_b32_e32 v2, 1, v1
	v_or_b32_e32 v4, 3, v2
	v_or_b32_e32 v5, 2, v2
	v_and_b32_e32 v2, 60, v2
	v_mul_u32_u24_e32 v2, 0xb0, v2
	v_lshlrev_b32_e32 v7, 1, v6
	v_add3_u32 v110, v10, v2, v7
	v_bfe_u32 v2, v0, 10, 2
	v_cmp_eq_u32_e64 s[0:1], 0, v2
	s_lshl_b32 s90, s64, 4
	s_ashr_i32 s75, s74, 31
	v_writelane_b32 v172, s0, 37
	s_ashr_i32 s73, s72, 31
	s_ashr_i32 s59, s58, 31
	v_writelane_b32 v172, s1, 38
	v_cmp_ne_u32_e64 s[0:1], 0, v2
	v_or_b32_e32 v2, v98, v38
	v_lshlrev_b32_e32 v40, 3, v2
	v_writelane_b32 v172, s0, 39
	v_or_b32_e32 v2, v97, v6
	v_mul_u32_u24_e32 v2, 0xb0, v2
	v_writelane_b32 v172, s1, 40
	v_writelane_b32 v172, s64, 41
	s_lshl_b64 s[0:1], s[90:91], 3
	s_add_u32 s0, s54, s0
	v_readlane_b32 s14, v172, 7
	s_addc_u32 s1, s55, s1
	s_abs_i32 s15, s14
	v_add3_u32 v113, 0, v2, v9
	v_lshrrev_b32_e32 v2, 10, v0
	v_cvt_f32_u32_e32 v11, s15
	v_bfe_u32 v2, v2, 1, 9
	v_add_u32_e32 v114, v2, v96
	v_mul_u32_u24_e32 v4, 0xb0, v4
	v_add_u32_e32 v115, v35, v1
	v_lshlrev_b32_e32 v1, 2, v114
	v_and_b32_e32 v2, 15, v114
	s_movk_i32 s3, 0x3c0
	v_add_u32_e32 v116, 2, v114
	v_mul_u32_u24_e32 v5, 0xb0, v5
	v_add3_u32 v112, v10, v4, v7
	v_and_or_b32 v1, v1, s3, v2
	v_lshlrev_b32_e32 v2, 2, v116
	v_and_b32_e32 v4, 15, v116
	s_movk_i32 s3, 0x7c0
	v_add_u32_e32 v117, 4, v114
	v_rcp_iflag_f32_e32 v11, v11
	v_add3_u32 v111, v10, v5, v7
	v_and_or_b32 v2, v2, s3, v4
	v_lshlrev_b32_e32 v4, 2, v117
	v_and_b32_e32 v5, 15, v117
	v_add_u32_e32 v118, 6, v114
	v_and_or_b32 v4, v4, s3, v5
	v_lshlrev_b32_e32 v5, 2, v118
	v_and_b32_e32 v6, 15, v118
	v_add_u32_e32 v119, 8, v114
	;; [unrolled: 4-line block ×3, first 2 shown]
	v_readlane_b32 s7, v172, 6
	v_and_or_b32 v6, v6, s3, v7
	v_lshlrev_b32_e32 v7, 2, v120
	v_and_b32_e32 v8, 15, v120
	v_add_u32_e32 v121, 12, v114
	v_mul_f32_e32 v11, 0x4f7ffffe, v11
	s_abs_i32 s62, s7
	v_and_or_b32 v7, v7, s3, v8
	v_lshlrev_b32_e32 v8, 2, v121
	v_and_b32_e32 v9, 15, v121
	v_add_u32_e32 v122, 14, v114
	v_cvt_u32_f32_e32 v11, v11
	v_cvt_f32_u32_e32 v14, s62
	v_and_or_b32 v8, v8, s3, v9
	v_lshlrev_b32_e32 v9, 2, v122
	v_and_b32_e32 v10, 15, v122
	v_and_or_b32 v9, v9, s3, v10
	v_lshlrev_b32_e32 v10, 2, v115
	v_and_b32_e32 v12, 15, v115
	s_movk_i32 s3, 0xfc0
	v_add_u32_e32 v123, 8, v115
	v_and_or_b32 v10, v10, s3, v12
	v_lshlrev_b32_e32 v12, 2, v123
	v_and_b32_e32 v13, 15, v123
	s_movk_i32 s3, 0x1fc0
	v_readlane_b32 s6, v172, 3
	v_and_or_b32 v12, v12, s3, v13
	v_readfirstlane_b32 s3, v11
	v_rcp_iflag_f32_e32 v11, v14
	s_abs_i32 s66, s6
	s_mov_b32 s4, s16
	v_mov_b32_e32 v41, 0
	v_cvt_f32_u32_e32 v13, s66
	v_writelane_b32 v172, s4, 42
	v_lshl_add_u64 v[46:47], s[0:1], 0, v[40:41]
	s_mul_i32 s1, s57, 40
	v_writelane_b32 v172, s5, 43
	v_writelane_b32 v172, s1, 44
	s_ashr_i32 s1, s14, 31
	s_abs_i32 s16, s16
	v_mul_f32_e32 v11, 0x4f7ffffe, v11
	v_writelane_b32 v172, s1, 45
	s_sub_i32 s1, 0, s15
	v_cvt_f32_u32_e32 v14, s16
	v_rcp_iflag_f32_e32 v13, v13
	v_cvt_u32_f32_e32 v11, v11
	s_mul_i32 s1, s1, s3
	s_mul_hi_u32 s1, s3, s1
	v_writelane_b32 v172, s15, 46
	s_add_i32 s1, s3, s1
	v_writelane_b32 v172, s1, 47
	s_ashr_i32 s1, s7, 31
	v_rcp_iflag_f32_e32 v14, v14
	v_mul_f32_e32 v13, 0x4f7ffffe, v13
	v_readfirstlane_b32 s4, v11
	v_writelane_b32 v172, s1, 48
	s_sub_i32 s1, 0, s62
	v_cvt_u32_f32_e32 v13, v13
	s_mul_i32 s1, s1, s4
	s_mul_hi_u32 s1, s4, s1
	s_add_i32 s1, s4, s1
	v_mul_f32_e32 v14, 0x4f7ffffe, v14
	v_writelane_b32 v172, s1, 49
	s_ashr_i32 s1, s6, 31
	v_cvt_u32_f32_e32 v14, v14
	v_readfirstlane_b32 s5, v13
	v_writelane_b32 v172, s1, 50
	s_sub_i32 s1, 0, s66
	s_mul_i32 s1, s1, s5
	s_mul_hi_u32 s1, s5, s1
	s_add_i32 s1, s5, s1
	v_readfirstlane_b32 s0, v14
	v_writelane_b32 v172, s1, 51
	s_sub_i32 s1, 0, s16
	s_mul_i32 s1, s1, s0
	s_mul_hi_u32 s1, s0, s1
	v_writelane_b32 v172, s16, 52
	s_add_i32 s0, s0, s1
	v_and_b32_e32 v11, 1, v0
	v_mul_lo_u32 v56, s58, v102
	v_writelane_b32 v172, s0, 53
	v_cmp_gt_u32_e64 s[0:1], 16, v38
	v_lshlrev_b32_e32 v40, 4, v11
	v_ashrrev_i32_e32 v57, 31, v56
	v_writelane_b32 v172, s0, 54
	v_mul_lo_u32 v54, s72, v102
	v_add_u32_e32 v126, 0, v3
	v_mul_u32_u24_e32 v128, 0xb0, v2
	v_lshl_add_u64 v[2:3], v[56:57], 2, v[40:41]
	v_writelane_b32 v172, s1, 55
	s_mov_b32 s0, s74
	v_mul_lo_u32 v50, s72, v43
	v_ashrrev_i32_e32 v55, 31, v54
	v_lshl_add_u64 v[2:3], s[44:45], 0, v[2:3]
	s_mov_b64 s[94:95], 0x80
	v_writelane_b32 v172, s0, 56
	v_mul_u32_u24_e32 v15, 0x90, v45
	v_lshlrev_b32_e32 v48, 1, v38
	v_lshl_add_u32 v52, s72, 5, v50
	v_mul_lo_u32 v58, s58, v104
	v_mul_lo_u32 v60, s58, v43
	v_lshl_add_u64 v[62:63], v[2:3], 0, s[94:95]
	v_lshl_add_u64 v[2:3], v[54:55], 2, v[40:41]
	v_writelane_b32 v172, s1, 57
	s_lshl_b64 s[0:1], s[74:75], 1
	s_mov_b32 s2, 0x10001
	v_add3_u32 v124, 0, v15, v48
	v_ashrrev_i32_e32 v51, 31, v50
	v_ashrrev_i32_e32 v53, 31, v52
	;; [unrolled: 1-line block ×4, first 2 shown]
	v_add_u32_e32 v11, v97, v38
	v_lshl_add_u64 v[2:3], s[42:43], 0, v[2:3]
	v_add_u32_e32 v138, v35, v96
	v_writelane_b32 v172, s0, 58
	s_mov_b64 s[92:93], src_private_base
	v_cmp_gt_u32_e64 s[36:37], 64, v38
	v_cmp_gt_u32_e64 s[8:9], 64, v102
	v_cmp_gt_u32_e64 s[10:11], 64, v43
	v_cmp_gt_u32_e64 s[12:13], 32, v43
	v_mul_u32_u24_e32 v125, 0xb0, v11
	v_mul_u32_u24_e32 v127, 0xb0, v1
	;; [unrolled: 1-line block ×10, first 2 shown]
	v_mov_b32_e32 v37, v41
	v_mov_b32_e32 v49, v41
	v_lshlrev_b32_e32 v64, 4, v36
	v_mov_b32_e32 v65, v41
	v_lshl_add_u64 v[66:67], v[2:3], 0, s[94:95]
	s_mov_b32 s57, 0x42b17218
	s_mov_b32 s68, 0x3fb8aa3b
	;; [unrolled: 1-line block ×4, first 2 shown]
	v_mov_b32_e32 v2, v41
	v_mov_b32_e32 v3, v41
	;; [unrolled: 1-line block ×4, first 2 shown]
	s_mov_b32 s23, 0x5040100
	v_mul_lo_u32 v137, v39, s2
	v_lshl_add_u32 v139, v34, 2, 0
	v_add_u32_e32 v140, 4, v45
	v_add_u32_e32 v141, 0x240, v124
	;; [unrolled: 1-line block ×6, first 2 shown]
	v_or_b32_e32 v146, 1, v108
	v_or_b32_e32 v147, 2, v108
	v_or_b32_e32 v148, 3, v108
	v_mul_u32_u24_e32 v149, 0xb0, v138
	v_add_u32_e32 v150, 8, v138
	v_mov_b32_e32 v151, 0x3e91f4c4
	v_mov_b32_e32 v152, 0x37000000
	;; [unrolled: 1-line block ×4, first 2 shown]
	v_mbcnt_hi_u32_b32 v155, -1, v99
	v_mov_b32_e32 v156, 0
	v_lshl_add_u64 v[68:69], v[60:61], 2, s[44:45]
	v_lshl_add_u64 v[70:71], v[58:59], 2, s[44:45]
	;; [unrolled: 1-line block ×4, first 2 shown]
	s_movk_i32 s65, 0x47
	v_cmp_gt_u32_e64 s[14:15], 64, v108
	v_cmp_gt_u32_e64 s[16:17], 63, v108
	;; [unrolled: 1-line block ×4, first 2 shown]
	v_writelane_b32 v172, s1, 59
	s_lshl_b64 s[96:97], s[58:59], 8
	s_lshl_b64 s[98:99], s[72:73], 8
                                        ; implicit-def: $vgpr1
	v_writelane_b32 v172, s29, 60
	s_branch .LBB9_14
.LBB9_12:                               ;   in Loop: Header=BB9_14 Depth=1
	s_or_b64 exec, exec, s[0:1]
	s_barrier
.LBB9_13:                               ;   in Loop: Header=BB9_14 Depth=1
	v_readlane_b32 s4, v172, 1
	s_add_i32 s0, s82, s4
	s_abs_i32 s2, s0
	v_readlane_b32 s29, v172, 60
	s_mul_hi_u32 s3, s2, s29
	s_mul_i32 s3, s3, s83
	s_sub_i32 s2, s2, s3
	s_ashr_i32 s1, s0, 31
	s_sub_i32 s3, s2, s83
	s_cmp_ge_u32 s2, s83
	s_cselect_b32 s2, s3, s2
	s_sub_i32 s3, s2, s83
	s_cmp_ge_u32 s2, s83
	s_cselect_b32 s2, s3, s2
	s_xor_b32 s2, s2, s1
	s_sub_i32 s1, s1, s2
	s_add_i32 s82, s0, s1
	v_readlane_b32 s0, v172, 10
	s_sub_i32 s2, s0, s82
	s_min_i32 s88, s4, s2
	v_readlane_b32 s1, v172, 11
	s_cmp_gt_i32 s0, s82
	s_cselect_b64 s[0:1], -1, 0
	s_cmp_le_i32 s4, s2
	s_cselect_b64 s[2:3], -1, 0
	s_and_b64 s[2:3], s[2:3], s[0:1]
	s_mov_b32 s34, 0
	s_and_b64 vcc, exec, s[2:3]
	s_cbranch_vccz .LBB9_211
.LBB9_14:                               ; =>This Loop Header: Depth=1
                                        ;     Child Loop BB9_136 Depth 2
                                        ;     Child Loop BB9_36 Depth 2
	s_ashr_i32 s0, s82, 31
	v_readlane_b32 s1, v172, 45
	s_xor_b32 s0, s0, s1
	s_abs_i32 s1, s82
	v_readlane_b32 s2, v172, 47
	s_mul_hi_u32 s2, s1, s2
	v_readlane_b32 s5, v172, 46
	s_mul_i32 s3, s2, s5
	s_sub_i32 s1, s1, s3
	s_add_i32 s3, s2, 1
	s_sub_i32 s4, s1, s5
	s_cmp_ge_u32 s1, s5
	s_cselect_b32 s2, s3, s2
	s_cselect_b32 s1, s4, s1
	s_add_i32 s3, s2, 1
	s_cmp_ge_u32 s1, s5
	s_cselect_b32 s1, s3, s2
	s_xor_b32 s1, s1, s0
	s_sub_i32 s6, s1, s0
	v_readlane_b32 s0, v172, 22
	v_readlane_b32 s1, v172, 23
	s_ashr_i32 s7, s6, 31
	s_andn2_b64 vcc, exec, s[0:1]
	s_mov_b64 s[78:79], 0
	s_cbranch_vccnz .LBB9_16
; %bb.15:                               ;   in Loop: Header=BB9_14 Depth=1
	s_abs_i32 s0, s6
	v_readlane_b32 s1, v172, 53
	s_mul_hi_u32 s1, s0, s1
	v_readlane_b32 s2, v172, 52
	s_mul_i32 s1, s1, s2
	s_sub_i32 s0, s0, s1
	s_sub_i32 s1, s0, s2
	s_cmp_ge_u32 s0, s2
	s_cselect_b32 s0, s1, s0
	s_sub_i32 s1, s0, s2
	s_cmp_ge_u32 s0, s2
	s_cselect_b32 s0, s1, s0
	s_xor_b32 s0, s0, s7
	s_sub_i32 s0, s0, s7
	s_ashr_i32 s1, s0, 31
	v_readlane_b32 s4, v172, 15
	v_readlane_b32 s5, v172, 16
	s_mul_i32 s1, s4, s1
	s_mul_hi_u32 s2, s4, s0
	s_add_i32 s1, s2, s1
	s_mul_i32 s2, s5, s0
	s_add_i32 s1, s1, s2
	s_mul_i32 s0, s4, s0
	s_add_u32 s78, s46, s0
	s_addc_u32 s79, s47, s1
.LBB9_16:                               ;   in Loop: Header=BB9_14 Depth=1
	v_readlane_b32 s0, v172, 7
	s_mul_i32 s0, s6, s0
	s_sub_i32 s0, s82, s0
	s_ashr_i32 s1, s0, 31
	v_readlane_b32 s2, v172, 48
	s_xor_b32 s1, s1, s2
	s_abs_i32 s2, s0
	v_readlane_b32 s3, v172, 49
	s_mul_hi_u32 s3, s2, s3
	s_mul_i32 s4, s3, s62
	s_sub_i32 s2, s2, s4
	s_add_i32 s4, s3, 1
	s_sub_i32 s5, s2, s62
	s_cmp_ge_u32 s2, s62
	s_cselect_b32 s3, s4, s3
	s_cselect_b32 s2, s5, s2
	s_add_i32 s4, s3, 1
	s_cmp_ge_u32 s2, s62
	s_cselect_b32 s2, s4, s3
	s_xor_b32 s2, s2, s1
	s_sub_i32 s28, s2, s1
	v_readlane_b32 s1, v172, 6
	s_mul_i32 s1, s28, s1
	s_sub_i32 s1, s0, s1
	s_ashr_i32 s0, s1, 31
	v_readlane_b32 s2, v172, 50
	s_xor_b32 s0, s0, s2
	s_abs_i32 s2, s1
	v_readlane_b32 s3, v172, 51
	s_mul_hi_u32 s3, s2, s3
	s_mul_i32 s4, s3, s66
	s_sub_i32 s2, s2, s4
	s_add_i32 s4, s3, 1
	s_sub_i32 s5, s2, s66
	s_cmp_ge_u32 s2, s66
	s_cselect_b32 s3, s4, s3
	s_cselect_b32 s2, s5, s2
	s_add_i32 s4, s3, 1
	s_cmp_ge_u32 s2, s66
	s_cselect_b32 s2, s4, s3
	s_xor_b32 s2, s2, s0
	s_sub_i32 s2, s2, s0
	v_readlane_b32 s0, v172, 2
	v_readlane_b32 s4, v172, 31
	s_mul_i32 s0, s28, s0
	v_readlane_b32 s5, v172, 32
	s_add_i32 s0, s0, s2
	s_andn2_b64 vcc, exec, s[4:5]
	v_mov_b32_e32 v76, 1.0
	s_cbranch_vccnz .LBB9_18
; %bb.17:                               ;   in Loop: Header=BB9_14 Depth=1
	v_readlane_b32 s3, v172, 12
	v_readlane_b32 s24, v172, 27
	;; [unrolled: 1-line block ×3, first 2 shown]
	v_mov_b32_e32 v1, s3
	v_sub_co_u32_e32 v1, vcc, s0, v1
	s_add_i32 s3, s0, 1
	v_lshlrev_b32_e32 v1, 1, v1
	v_mov_b32_e32 v7, s3
	v_or_b32_e32 v1, 1, v1
	v_cndmask_b32_e32 v1, v1, v7, vcc
	v_readlane_b32 s27, v172, 30
	v_cvt_f32_i32_e32 v1, v1
	v_mov_b32_e32 v7, s26
	v_mov_b32_e32 v6, s27
	v_cndmask_b32_e32 v6, v6, v7, vcc
	v_cmp_neq_f32_e32 vcc, 1.0, v6
	s_mov_b32 s3, 0x3f2aaaab
	s_movk_i32 s4, 0x204
	v_cndmask_b32_e32 v1, 1.0, v1, vcc
	v_cmp_neq_f32_e32 vcc, 0, v1
	v_readlane_b32 s25, v172, 28
	v_cmp_gt_f32_e64 s[26:27], 0, v1
	v_cndmask_b32_e32 v22, 1.0, v6, vcc
	v_frexp_mant_f32_e64 v6, |v22|
	v_cmp_gt_f32_e32 vcc, s3, v6
	s_mov_b32 s3, 0x3f317218
	s_nop 0
	v_cndmask_b32_e64 v7, 1.0, 2.0, vcc
	v_mul_f32_e32 v6, v6, v7
	v_add_f32_e32 v9, 1.0, v6
	v_rcp_f32_e32 v14, v9
	v_add_f32_e32 v7, -1.0, v9
	v_sub_f32_e32 v11, v6, v7
	v_add_f32_e32 v7, -1.0, v6
	v_mul_f32_e32 v15, v7, v14
	v_mul_f32_e32 v8, v9, v15
	v_fma_f32 v10, v15, v9, -v8
	v_fmac_f32_e32 v10, v15, v11
	v_add_f32_e32 v6, v8, v10
	v_sub_f32_e32 v9, v7, v6
	v_pk_add_f32 v[12:13], v[6:7], v[8:9] neg_lo:[0,1] neg_hi:[0,1]
	v_mov_b32_e32 v11, v6
	v_pk_add_f32 v[6:7], v[12:13], v[10:11] neg_lo:[0,1] neg_hi:[0,1]
	s_nop 0
	v_add_f32_e32 v6, v6, v7
	v_add_f32_e32 v6, v9, v6
	v_mul_f32_e32 v7, v14, v6
	v_add_f32_e32 v6, v15, v7
	v_sub_f32_e32 v8, v6, v15
	v_sub_f32_e32 v16, v7, v8
	v_mul_f32_e32 v7, v6, v6
	v_fma_f32 v9, v6, v6, -v7
	v_add_f32_e32 v8, v16, v16
	v_fmac_f32_e32 v9, v6, v8
	v_add_f32_e32 v8, v7, v9
	v_fmamk_f32 v10, v8, 0x3e76c4e1, v151
	v_fmaak_f32 v10, v8, v10, 0x3ecccdef
	v_sub_f32_e32 v7, v8, v7
	v_sub_f32_e32 v17, v9, v7
	v_mul_f32_e32 v7, v8, v10
	v_fma_f32 v9, v8, v10, -v7
	v_fmac_f32_e32 v9, v17, v10
	v_add_f32_e32 v10, v7, v9
	v_add_f32_e32 v11, 0x3f2aaaaa, v10
	v_sub_f32_e32 v7, v10, v7
	v_sub_f32_e32 v7, v9, v7
	v_add_f32_e32 v9, 0xbf2aaaaa, v11
	v_add_f32_e32 v7, 0x31739010, v7
	v_sub_f32_e32 v9, v10, v9
	v_pk_mul_f32 v[12:13], v[6:7], v[8:9]
	v_pk_add_f32 v[14:15], v[6:7], v[8:9]
	v_fma_f32 v10, v8, v6, -v12
	v_fmac_f32_e32 v10, v8, v16
	v_mov_b32_e32 v13, v15
	v_fmac_f32_e32 v10, v17, v6
	v_pk_add_f32 v[8:9], v[12:13], v[10:11]
	v_ldexp_f32 v18, v16, 1
	v_sub_f32_e32 v7, v8, v12
	v_sub_f32_e32 v7, v10, v7
	;; [unrolled: 1-line block ×3, first 2 shown]
	v_add_f32_e32 v14, v15, v10
	v_pk_mul_f32 v[10:11], v[8:9], v[8:9] op_sel:[0,1] op_sel_hi:[1,0]
	v_cvt_f64_f32_e64 v[12:13], |v22|
	v_frexp_exp_i32_f64_e32 v11, v[12:13]
	v_subbrev_co_u32_e32 v11, vcc, 0, v11, vcc
	v_cvt_f32_i32_e32 v11, v11
	v_fma_f32 v12, v8, v9, -v10
	v_fmac_f32_e32 v12, v8, v14
	v_fmac_f32_e32 v12, v7, v9
	v_mul_f32_e32 v8, 0x3f317218, v11
	v_fma_f32 v14, v11, s3, -v8
	v_fmac_f32_e32 v14, 0xb102e308, v11
	v_ldexp_f32 v15, v6, 1
	v_add_f32_e32 v9, v10, v12
	v_pk_add_f32 v[6:7], v[8:9], v[14:15]
	v_mov_b32_e32 v16, v9
	v_mov_b32_e32 v17, v7
	;; [unrolled: 1-line block ×3, first 2 shown]
	v_pk_add_f32 v[10:11], v[16:17], v[10:11] neg_lo:[0,1] neg_hi:[0,1]
	v_mov_b32_e32 v13, v9
	v_pk_add_f32 v[10:11], v[12:13], v[10:11] neg_lo:[0,1] neg_hi:[0,1]
	v_mov_b32_e32 v15, v6
	v_add_f32_e32 v9, v18, v10
	v_add_f32_e32 v9, v9, v11
	v_pk_add_f32 v[10:11], v[6:7], v[8:9] neg_lo:[0,1] neg_hi:[0,1]
	v_pk_add_f32 v[12:13], v[6:7], v[8:9]
	v_mov_b32_e32 v20, v7
	v_mov_b32_e32 v11, v13
	v_pk_add_f32 v[16:17], v[14:15], v[10:11] neg_lo:[0,1] neg_hi:[0,1]
	v_pk_add_f32 v[10:11], v[14:15], v[10:11]
	v_mov_b32_e32 v8, v9
	v_pk_add_f32 v[14:15], v[10:11], v[6:7] op_sel:[1,0] op_sel_hi:[0,1] neg_lo:[0,1] neg_hi:[0,1]
	v_pk_add_f32 v[18:19], v[12:13], v[14:15] op_sel_hi:[1,0] neg_lo:[0,1] neg_hi:[0,1]
	v_mov_b32_e32 v12, v13
	v_mov_b32_e32 v13, v11
	;; [unrolled: 1-line block ×3, first 2 shown]
	v_pk_add_f32 v[12:13], v[12:13], v[20:21] neg_lo:[0,1] neg_hi:[0,1]
	v_mov_b32_e32 v9, v6
	v_pk_add_f32 v[6:7], v[8:9], v[12:13] neg_lo:[0,1] neg_hi:[0,1]
	v_mov_b32_e32 v18, v16
	v_pk_add_f32 v[8:9], v[18:19], v[6:7]
	v_mov_b32_e32 v17, v11
	v_pk_add_f32 v[12:13], v[8:9], v[8:9] op_sel:[0,1] op_sel_hi:[1,0]
	s_mov_b32 s3, 0x7f800000
	v_pk_add_f32 v[10:11], v[10:11], v[12:13] op_sel:[1,0] op_sel_hi:[0,1]
	v_mov_b32_e32 v9, v10
	v_pk_add_f32 v[14:15], v[8:9], v[16:17] neg_lo:[0,1] neg_hi:[0,1]
	v_mov_b32_e32 v7, v12
	v_sub_f32_e32 v8, v8, v14
	v_pk_add_f32 v[6:7], v[6:7], v[14:15] neg_lo:[0,1] neg_hi:[0,1]
	v_sub_f32_e32 v8, v16, v8
	v_add_f32_e32 v6, v6, v8
	v_add_f32_e32 v6, v6, v7
	;; [unrolled: 1-line block ×3, first 2 shown]
	v_sub_f32_e32 v8, v7, v10
	v_sub_f32_e32 v6, v6, v8
	v_mul_f32_e32 v8, v1, v7
	v_fma_f32 v7, v1, v7, -v8
	v_fmac_f32_e32 v7, v1, v6
	v_add_f32_e32 v6, v8, v7
	v_cmp_class_f32_e64 vcc, v8, s4
	v_sub_f32_e32 v9, v6, v8
	v_sub_f32_e32 v7, v7, v9
	v_cndmask_b32_e32 v6, v6, v8, vcc
	v_cmp_eq_f32_e32 vcc, s57, v6
	s_nop 1
	v_cndmask_b32_e32 v8, 0, v152, vcc
	v_sub_f32_e32 v9, v6, v8
	v_mul_f32_e32 v10, 0x3fb8aa3b, v9
	v_fma_f32 v11, v9, s68, -v10
	v_rndne_f32_e32 v12, v10
	v_fmac_f32_e32 v11, 0x32a5705f, v9
	v_sub_f32_e32 v10, v10, v12
	v_add_f32_e32 v10, v10, v11
	v_exp_f32_e32 v10, v10
	v_cvt_i32_f32_e32 v11, v12
	v_cmp_neq_f32_e64 vcc, |v6|, s3
	s_brev_b32 s3, -2
	s_nop 0
	v_cndmask_b32_e32 v6, 0, v7, vcc
	v_ldexp_f32 v7, v10, v11
	v_cmp_ngt_f32_e32 vcc, s69, v9
	v_add_f32_e32 v6, v8, v6
	s_nop 0
	v_cndmask_b32_e32 v7, 0, v7, vcc
	v_cmp_nlt_f32_e32 vcc, s57, v9
	s_nop 1
	v_cndmask_b32_e32 v7, v153, v7, vcc
	v_fma_f32 v6, v7, v6, v7
	v_cmp_class_f32_e64 vcc, v7, s4
	v_cmp_class_f32_e64 s[4:5], v22, s4
	s_nop 0
	v_cndmask_b32_e32 v6, v6, v7, vcc
	v_trunc_f32_e32 v7, v1
	v_cmp_eq_f32_e32 vcc, v7, v1
	v_mul_f32_e32 v7, 0.5, v1
	v_trunc_f32_e32 v8, v7
	v_cmp_neq_f32_e64 s[24:25], v8, v7
	s_and_b64 s[24:25], vcc, s[24:25]
	s_nop 0
	v_cndmask_b32_e64 v7, 1.0, v22, s[24:25]
	v_bfi_b32 v6, s3, v6, v7
	v_cndmask_b32_e32 v7, v154, v6, vcc
	v_cmp_gt_f32_e32 vcc, 0, v22
	s_nop 1
	v_cndmask_b32_e32 v6, v6, v7, vcc
	v_cmp_eq_f32_e32 vcc, 0, v22
	s_xor_b64 s[26:27], s[26:27], vcc
	v_cndmask_b32_e64 v1, v153, 0, s[26:27]
	v_cndmask_b32_e64 v7, 0, v22, s[24:25]
	v_bfi_b32 v1, s3, v1, v7
	s_or_b64 vcc, vcc, s[4:5]
	v_cndmask_b32_e32 v1, v6, v1, vcc
	v_cmp_o_f32_e32 vcc, v22, v22
	s_nop 1
	v_cndmask_b32_e32 v76, v154, v1, vcc
.LBB9_18:                               ;   in Loop: Header=BB9_14 Depth=1
	v_readlane_b32 s3, v172, 3
	s_mul_i32 s2, s2, s3
	s_sub_i32 s1, s1, s2
	s_ashr_i32 s2, s1, 31
	v_readlane_b32 s3, v172, 20
	s_abs_i32 s1, s1
	s_xor_b32 s2, s2, s3
	s_mul_hi_u32 s3, s1, s29
	s_mul_i32 s4, s3, s83
	s_sub_i32 s1, s1, s4
	s_add_i32 s4, s3, 1
	s_sub_i32 s5, s1, s83
	s_cmp_ge_u32 s1, s83
	s_cselect_b32 s3, s4, s3
	s_cselect_b32 s1, s5, s1
	s_add_i32 s4, s3, 1
	s_cmp_ge_u32 s1, s83
	s_cselect_b32 s1, s4, s3
	v_readlane_b32 s4, v172, 33
	s_xor_b32 s1, s1, s2
	v_readlane_b32 s5, v172, 34
	s_andn2_b64 vcc, exec, s[4:5]
	s_sub_i32 s80, s1, s2
	s_cbranch_vccnz .LBB9_20
; %bb.19:                               ;   in Loop: Header=BB9_14 Depth=1
	v_readlane_b32 s1, v172, 0
	s_mul_i32 s1, s6, s1
	s_add_i32 s2, s80, s1
	s_ashr_i32 s3, s2, 31
	s_lshl_b64 s[2:3], s[2:3], 2
	s_add_u32 s2, s50, s2
	s_addc_u32 s3, s51, s3
	global_load_dword v1, v41, s[2:3]
	s_waitcnt vmcnt(0)
	v_readfirstlane_b32 s1, v1
	s_ashr_i32 s2, s1, 31
	s_lshr_b32 s2, s2, 26
	s_add_i32 s1, s1, s2
	s_ashr_i32 s1, s1, 6
	s_min_i32 s88, s88, s1
.LBB9_20:                               ;   in Loop: Header=BB9_14 Depth=1
	v_readlane_b32 s1, v172, 24
	s_mul_i32 s1, s1, s6
	s_add_i32 s1, s0, s1
	s_mul_i32 s90, s1, 40
	s_lshl_b64 s[2:3], s[90:91], 3
	v_readlane_b32 s4, v172, 13
	s_add_u32 s86, s52, s2
	v_readlane_b32 s5, v172, 14
	s_mul_i32 s1, s4, s7
	s_mul_hi_u32 s2, s4, s6
	s_addc_u32 s87, s53, s3
	s_add_i32 s1, s2, s1
	s_mul_i32 s2, s5, s6
	s_add_i32 s90, s1, s2
	s_mul_i32 s4, s4, s6
	s_add_u32 s1, s44, s4
	s_mul_i32 s5, s28, s63
	s_addc_u32 s2, s45, s90
	s_ashr_i32 s74, s5, 31
	s_add_u32 s75, s1, s5
	s_addc_u32 s76, s2, s74
	s_ashr_i32 s1, s0, 31
	s_lshl_b64 s[2:3], s[0:1], 2
	s_add_u32 s1, s48, s2
	s_addc_u32 s24, s49, s3
	v_readlane_b32 s2, v172, 25
	v_readlane_b32 s3, v172, 26
	v_readlane_b32 s26, v172, 8
	s_and_b64 s[2:3], s[2:3], exec
	v_readlane_b32 s27, v172, 9
	s_cselect_b32 s2, 0, s1
	s_mul_i32 s1, s6, s27
	s_cselect_b32 s3, 0, s24
	s_ashr_i32 s24, s1, 31
	s_add_u32 s1, s40, s1
	s_mul_i32 s0, s0, s26
	s_addc_u32 s24, s41, s24
	s_ashr_i32 s25, s0, 31
	s_add_u32 s0, s1, s0
	s_addc_u32 s1, s24, s25
	s_mul_i32 s7, s60, s7
	s_mul_hi_u32 s24, s60, s6
	s_add_i32 s7, s24, s7
	s_mul_i32 s24, s61, s6
	s_add_i32 s84, s7, s24
	v_readlane_b32 s24, v172, 18
	s_mul_i32 s85, s60, s6
	v_readlane_b32 s25, v172, 19
	s_add_u32 s6, s42, s85
	s_mul_i32 s33, s28, s25
	s_addc_u32 s7, s43, s84
	s_ashr_i32 s67, s33, 31
	s_add_u32 s77, s6, s33
	s_addc_u32 s89, s7, s67
	s_cmp_lg_u32 s34, 0
	s_cbranch_scc0 .LBB9_48
; %bb.21:                               ;   in Loop: Header=BB9_14 Depth=1
	s_lshl_b32 s81, s80, 4
	v_add_u32_e32 v1, s81, v138
	v_cmp_le_i32_e32 vcc, s56, v1
	s_and_saveexec_b64 s[6:7], vcc
	s_xor_b64 s[6:7], exec, s[6:7]
; %bb.22:                               ;   in Loop: Header=BB9_14 Depth=1
	v_add_u32_e32 v1, v139, v149
	ds_write_b32 v1, v41
                                        ; implicit-def: $vgpr1
; %bb.23:                               ;   in Loop: Header=BB9_14 Depth=1
	s_andn2_saveexec_b64 s[6:7], s[6:7]
	s_cbranch_execz .LBB9_25
; %bb.24:                               ;   in Loop: Header=BB9_14 Depth=1
	v_readlane_b32 s24, v172, 17
	s_nop 1
	v_mad_u64_u32 v[6:7], s[24:25], v1, s24, v[34:35]
	v_ashrrev_i32_e32 v7, 31, v6
	v_lshl_add_u64 v[6:7], v[6:7], 3, s[0:1]
	global_load_dwordx2 v[6:7], v[6:7], off
	s_waitcnt vmcnt(0)
	v_cvt_pk_f16_f32 v1, v6, v7
	v_pk_mul_f16 v1, v1, v137
	v_add_u32_e32 v6, v139, v149
	ds_write_b32 v6, v1
.LBB9_25:                               ;   in Loop: Header=BB9_14 Depth=1
	s_or_b64 exec, exec, s[6:7]
	v_add_u32_e32 v1, s81, v150
	v_cmp_le_i32_e32 vcc, s56, v1
	s_and_saveexec_b64 s[6:7], vcc
	s_xor_b64 s[6:7], exec, s[6:7]
; %bb.26:                               ;   in Loop: Header=BB9_14 Depth=1
	v_add_u32_e32 v1, v139, v149
	ds_write_b32 v1, v41 offset:1408
                                        ; implicit-def: $vgpr1
; %bb.27:                               ;   in Loop: Header=BB9_14 Depth=1
	s_andn2_saveexec_b64 s[6:7], s[6:7]
	s_cbranch_execz .LBB9_29
; %bb.28:                               ;   in Loop: Header=BB9_14 Depth=1
	v_readlane_b32 s24, v172, 17
	s_nop 1
	v_mad_u64_u32 v[6:7], s[24:25], v1, s24, v[34:35]
	v_ashrrev_i32_e32 v7, 31, v6
	v_lshl_add_u64 v[6:7], v[6:7], 3, s[0:1]
	global_load_dwordx2 v[6:7], v[6:7], off
	s_waitcnt vmcnt(0)
	v_cvt_pk_f16_f32 v1, v6, v7
	v_pk_mul_f16 v1, v1, v137
	v_add_u32_e32 v6, v139, v149
	ds_write_b32 v6, v1 offset:1408
.LBB9_29:                               ;   in Loop: Header=BB9_14 Depth=1
	s_or_b64 exec, exec, s[6:7]
	s_mov_b64 s[6:7], exec
	v_readlane_b32 s24, v172, 35
	v_readlane_b32 s25, v172, 36
	s_and_b64 s[24:25], s[6:7], s[24:25]
	s_mov_b64 exec, s[24:25]
	s_cbranch_execz .LBB9_34
; %bb.30:                               ;   in Loop: Header=BB9_14 Depth=1
	v_or_b32_e32 v1, s81, v43
	v_cmp_le_i32_e32 vcc, s56, v1
	s_and_saveexec_b64 s[24:25], vcc
	s_xor_b64 s[24:25], exec, s[24:25]
; %bb.31:                               ;   in Loop: Header=BB9_14 Depth=1
	ds_write_b32 v100, v41 offset:128
                                        ; implicit-def: $vgpr1
; %bb.32:                               ;   in Loop: Header=BB9_14 Depth=1
	s_andn2_saveexec_b64 s[24:25], s[24:25]
	s_cbranch_execz .LBB9_34
; %bb.33:                               ;   in Loop: Header=BB9_14 Depth=1
	v_readlane_b32 s24, v172, 17
	s_nop 1
	v_mul_lo_u32 v6, v1, s24
	v_ashrrev_i32_e32 v7, 31, v6
	v_lshl_add_u64 v[6:7], v[6:7], 0, v[36:37]
	v_lshl_add_u64 v[6:7], v[6:7], 3, s[0:1]
	global_load_dwordx2 v[6:7], v[6:7], off offset:256
	s_waitcnt vmcnt(0)
	v_cvt_pk_f16_f32 v1, v6, v7
	v_pk_mul_f16 v1, v1, v137
	ds_write_b32 v100, v1 offset:128
.LBB9_34:                               ;   in Loop: Header=BB9_14 Depth=1
	s_or_b64 exec, exec, s[6:7]
	s_waitcnt lgkmcnt(0)
	s_barrier
	ds_read2_b64 v[10:13], v101 offset1:4
	ds_read2_b64 v[6:9], v101 offset0:8 offset1:12
	ds_read_b64 v[78:79], v101 offset:128
	s_add_i32 s35, s88, -1
	s_cmp_ge_i32 s34, s35
	s_waitcnt lgkmcnt(0)
	s_barrier
	s_cbranch_scc1 .LBB9_49
; %bb.35:                               ;   in Loop: Header=BB9_14 Depth=1
	v_add_u32_e32 v1, s81, v45
	v_mul_hi_u32 v14, s70, v1
	v_add_u32_e32 v14, v1, v14
	v_lshrrev_b32_e32 v14, s71, v14
	v_mul_lo_u32 v14, v14, s56
	v_readlane_b32 s6, v172, 56
	v_sub_u32_e32 v1, v1, v14
	v_readlane_b32 s7, v172, 57
	s_mov_b32 s24, s6
	v_mad_i64_i32 v[82:83], s[6:7], v1, s24, 0
	v_add_u32_e32 v1, s81, v140
	v_mul_hi_u32 v14, s70, v1
	v_add_u32_e32 v14, v1, v14
	v_lshrrev_b32_e32 v14, s71, v14
	v_mul_lo_u32 v14, v14, s56
	v_sub_u32_e32 v1, v1, v14
	v_mad_i64_i32 v[84:85], s[6:7], v1, s24, 0
	v_add_u32_e32 v1, s81, v142
	v_mul_hi_u32 v14, s70, v1
	v_add_u32_e32 v14, v1, v14
	v_lshrrev_b32_e32 v14, s71, v14
	v_mul_lo_u32 v14, v14, s56
	v_sub_u32_e32 v1, v1, v14
	;; [unrolled: 7-line block ×3, first 2 shown]
	v_mad_i64_i32 v[88:89], s[6:7], v1, s24, 0
	v_and_b32_e32 v1, 64, v155
	v_add_u32_e32 v1, 64, v1
	v_xor_b32_e32 v14, 32, v155
	v_cmp_lt_i32_e32 vcc, v14, v1
	s_cmp_lg_u64 s[78:79], 0
	v_lshlrev_b32_e32 v40, 1, v38
	v_cndmask_b32_e32 v14, v155, v14, vcc
	v_lshlrev_b32_e32 v93, 2, v14
	v_xor_b32_e32 v14, 16, v155
	v_cmp_lt_i32_e32 vcc, v14, v1
	s_cselect_b64 s[26:27], -1, 0
	v_lshl_add_u64 v[80:81], s[78:79], 0, v[40:41]
	v_cndmask_b32_e32 v1, v155, v14, vcc
	v_lshlrev_b32_e32 v94, 2, v1
	v_mov_b32_e32 v90, v76
	v_mov_b32_e32 v91, v76
	s_lshl_b32 s28, s34, 6
	v_mov_b32_e32 v95, 0
	v_mov_b32_e32 v23, 0xfeffffff
	;; [unrolled: 1-line block ×12, first 2 shown]
.LBB9_36:                               ;   Parent Loop BB9_14 Depth=1
                                        ; =>  This Inner Loop Header: Depth=2
	v_cndmask_b32_e64 v1, 0, 1, s[26:27]
	v_cmp_ne_u32_e64 s[24:25], 1, v1
	s_andn2_b64 vcc, exec, s[26:27]
	s_ashr_i32 s29, s28, 31
	s_cbranch_vccnz .LBB9_40
; %bb.37:                               ;   in Loop: Header=BB9_36 Depth=2
	v_mov_b32_e32 v1, 0
	v_mov_b32_e32 v14, 0
	;; [unrolled: 1-line block ×4, first 2 shown]
	s_and_saveexec_b64 s[6:7], s[36:37]
	s_cbranch_execz .LBB9_39
; %bb.38:                               ;   in Loop: Header=BB9_36 Depth=2
	v_lshl_add_u64 v[16:17], s[28:29], 1, v[80:81]
	v_lshl_add_u64 v[14:15], v[82:83], 1, v[16:17]
	global_load_ushort v1, v[14:15], off
	v_lshl_add_u64 v[14:15], v[84:85], 1, v[16:17]
	v_lshl_add_u64 v[26:27], v[86:87], 1, v[16:17]
	;; [unrolled: 1-line block ×3, first 2 shown]
	global_load_ushort v14, v[14:15], off
	s_nop 0
	global_load_ushort v16, v[16:17], off
	s_nop 0
	global_load_ushort v15, v[26:27], off
.LBB9_39:                               ;   in Loop: Header=BB9_36 Depth=2
	s_or_b64 exec, exec, s[6:7]
	s_waitcnt vmcnt(3)
	ds_write_b16 v124, v1 offset:11264
	s_waitcnt vmcnt(2)
	ds_write_b16 v141, v14 offset:11264
	;; [unrolled: 2-line block ×3, first 2 shown]
	ds_write_b16 v145, v16 offset:11264
.LBB9_40:                               ;   in Loop: Header=BB9_36 Depth=2
	s_mul_hi_i32 s7, s28, s72
	s_mul_i32 s6, s28, s72
	s_lshl_b64 s[6:7], s[6:7], 2
	s_add_u32 s6, s77, s6
	s_addc_u32 s7, s89, s7
	scratch_store_dwordx4 off, v[2:5], off
	s_and_saveexec_b64 s[30:31], s[8:9]
	s_cbranch_execz .LBB9_42
; %bb.41:                               ;   in Loop: Header=BB9_36 Depth=2
	v_lshl_add_u64 v[14:15], v[54:55], 2, s[6:7]
	v_lshlrev_b32_e32 v40, 2, v44
	v_lshl_add_u64 v[14:15], v[14:15], 0, v[40:41]
	global_load_dwordx4 v[14:17], v[14:15], off offset:128
	s_waitcnt vmcnt(0)
	ds_write_b128 v107, v[14:17]
.LBB9_42:                               ;   in Loop: Header=BB9_36 Depth=2
	s_or_b64 exec, exec, s[30:31]
	v_lshl_add_u64 v[14:15], v[50:51], 2, s[6:7]
	v_lshlrev_b32_e32 v40, 2, v42
	v_lshl_add_u64 v[14:15], v[14:15], 0, v[40:41]
	v_mov_b32_e32 v1, s93
	v_cndmask_b32_e64 v15, v1, v15, s[10:11]
	v_cndmask_b32_e64 v14, v156, v14, s[10:11]
	flat_load_dwordx4 v[14:17], v[14:15]
	v_lshl_add_u64 v[26:27], v[52:53], 2, s[6:7]
	v_lshl_add_u64 v[26:27], v[26:27], 0, v[40:41]
	v_cndmask_b32_e64 v27, v1, v27, s[12:13]
	v_cndmask_b32_e64 v26, v156, v26, s[12:13]
	s_and_b64 vcc, exec, s[24:25]
	s_waitcnt vmcnt(0) lgkmcnt(0)
	ds_write_b128 v103, v[14:17]
	flat_load_dwordx4 v[14:17], v[26:27]
	s_waitcnt vmcnt(0) lgkmcnt(0)
	ds_write_b128 v105, v[14:17]
	s_waitcnt lgkmcnt(0)
	s_barrier
	ds_read2_b64 v[14:17], v106 offset1:4
	s_waitcnt lgkmcnt(0)
	v_mfma_f32_16x16x16_f16 v[26:29], v[14:15], v[10:11], 0
	v_mfma_f32_16x16x16_f16 v[14:17], v[16:17], v[12:13], v[26:29]
	s_nop 6
	ds_read2_b64 v[26:29], v106 offset0:8 offset1:12
	s_waitcnt lgkmcnt(0)
	v_mfma_f32_16x16x16_f16 v[14:17], v[26:27], v[6:7], v[14:17]
	ds_read_b64 v[26:27], v106 offset:128
	s_waitcnt lgkmcnt(0)
	s_barrier
	v_mfma_f32_16x16x16_f16 v[14:17], v[28:29], v[8:9], v[14:17]
	v_mfma_f32_16x16x16_f16 v[14:17], v[26:27], v[78:79], v[14:17]
	s_cbranch_vccnz .LBB9_44
; %bb.43:                               ;   in Loop: Header=BB9_36 Depth=2
	v_add_u32_e32 v1, 0x2c00, v109
	ds_read2_b32 v[26:27], v1 offset1:1
	v_mov_b32_e32 v77, v76
	s_waitcnt lgkmcnt(0)
	v_cvt_f32_f16_e32 v28, v26
	v_cvt_f32_f16_e32 v30, v27
	v_cvt_f32_f16_sdwa v31, v27 dst_sel:DWORD dst_unused:UNUSED_PAD src0_sel:WORD_1
	v_cvt_f32_f16_sdwa v29, v26 dst_sel:DWORD dst_unused:UNUSED_PAD src0_sel:WORD_1
	v_pk_fma_f32 v[16:17], v[76:77], v[30:31], v[16:17]
	v_pk_fma_f32 v[14:15], v[90:91], v[28:29], v[14:15]
.LBB9_44:                               ;   in Loop: Header=BB9_36 Depth=2
	s_nop 0
	v_add_f32_e32 v1, 0x40051340, v14
	v_max_f32_e32 v24, v23, v23
	v_max_f32_e32 v1, v24, v1
	v_cndmask_b32_e64 v1, v23, v1, s[14:15]
	v_add_f32_e32 v24, 0x40051340, v15
	v_max_f32_e32 v26, v1, v1
	v_max_f32_e32 v24, v26, v24
	v_cndmask_b32_e64 v1, v1, v24, s[16:17]
	;; [unrolled: 4-line block ×4, first 2 shown]
	ds_bpermute_b32 v24, v93, v1
	v_max_f32_e32 v1, v1, v1
	s_mul_hi_i32 s7, s28, s58
	s_mul_i32 s6, s28, s58
	s_lshl_b64 s[6:7], s[6:7], 2
	s_waitcnt lgkmcnt(0)
	v_max_f32_e32 v24, v24, v24
	v_max_f32_e32 v1, v1, v24
	ds_bpermute_b32 v24, v94, v1
	s_add_u32 s24, s75, s6
	s_addc_u32 s25, s76, s7
	scratch_store_dwordx4 off, v[2:5], off
	s_and_saveexec_b64 s[6:7], s[8:9]
	s_cbranch_execz .LBB9_46
; %bb.45:                               ;   in Loop: Header=BB9_36 Depth=2
	v_lshl_add_u64 v[26:27], v[56:57], 2, s[24:25]
	v_lshlrev_b32_e32 v28, 2, v44
	v_mov_b32_e32 v29, v41
	v_lshl_add_u64 v[26:27], v[26:27], 0, v[28:29]
	global_load_dwordx4 v[26:29], v[26:27], off offset:128
	s_waitcnt vmcnt(0)
	ds_write_b128 v107, v[26:29]
.LBB9_46:                               ;   in Loop: Header=BB9_36 Depth=2
	s_or_b64 exec, exec, s[6:7]
	s_waitcnt lgkmcnt(0)
	v_max_f32_e32 v24, v24, v24
	v_max_f32_e32 v1, v1, v1
	;; [unrolled: 1-line block ×3, first 2 shown]
	v_sub_f32_e32 v1, v14, v92
	v_mul_f32_e32 v14, 0x3fb8aa3b, v1
	v_fma_f32 v24, v1, s68, -v14
	v_rndne_f32_e32 v26, v14
	v_fmac_f32_e32 v24, 0x32a5705f, v1
	v_sub_f32_e32 v14, v14, v26
	v_add_f32_e32 v14, v14, v24
	v_exp_f32_e32 v14, v14
	v_cvt_i32_f32_e32 v24, v26
	v_cmp_ngt_f32_e32 vcc, s69, v1
	v_sub_f32_e32 v16, v16, v92
	v_sub_f32_e32 v17, v17, v92
	v_ldexp_f32 v14, v14, v24
	v_cndmask_b32_e32 v14, 0, v14, vcc
	v_cmp_nlt_f32_e32 vcc, s57, v1
	s_add_i32 s34, s34, 1
	s_add_i32 s28, s28, 64
	v_cndmask_b32_e32 v1, v153, v14, vcc
	v_cndmask_b32_e64 v14, 0, v1, s[14:15]
	v_sub_f32_e32 v1, v15, v92
	v_mul_f32_e32 v15, 0x3fb8aa3b, v1
	v_fma_f32 v24, v1, s68, -v15
	v_rndne_f32_e32 v26, v15
	v_fmac_f32_e32 v24, 0x32a5705f, v1
	v_sub_f32_e32 v15, v15, v26
	v_add_f32_e32 v15, v15, v24
	v_exp_f32_e32 v15, v15
	v_cvt_i32_f32_e32 v24, v26
	v_cmp_ngt_f32_e32 vcc, s69, v1
	s_cmp_lt_i32 s34, s35
	v_ldexp_f32 v15, v15, v24
	v_cndmask_b32_e32 v15, 0, v15, vcc
	v_cmp_nlt_f32_e32 vcc, s57, v1
	v_mov_b32_e32 v1, s91
	s_nop 0
	v_cndmask_b32_e32 v15, v153, v15, vcc
	v_add_f32_e32 v24, v15, v14
	v_cndmask_b32_e64 v1, v1, v15, s[16:17]
	v_cndmask_b32_e64 v15, v14, v24, s[16:17]
	v_mul_f32_e32 v24, 0x3fb8aa3b, v16
	v_fma_f32 v26, v16, s68, -v24
	v_rndne_f32_e32 v27, v24
	v_fmac_f32_e32 v26, 0x32a5705f, v16
	v_sub_f32_e32 v24, v24, v27
	v_add_f32_e32 v24, v24, v26
	v_exp_f32_e32 v24, v24
	v_cvt_i32_f32_e32 v26, v27
	v_cmp_ngt_f32_e32 vcc, s69, v16
	v_cvt_pk_f16_f32 v32, v14, v1
	v_ldexp_f32 v24, v24, v26
	v_cndmask_b32_e32 v24, 0, v24, vcc
	v_cmp_nlt_f32_e32 vcc, s57, v16
	v_mov_b32_e32 v16, s91
	s_nop 0
	v_cndmask_b32_e32 v24, v153, v24, vcc
	v_add_f32_e32 v26, v15, v24
	v_cndmask_b32_e64 v16, v16, v24, s[18:19]
	v_mul_f32_e32 v24, 0x3fb8aa3b, v17
	v_cndmask_b32_e64 v15, v15, v26, s[18:19]
	v_fma_f32 v26, v17, s68, -v24
	v_rndne_f32_e32 v27, v24
	v_fmac_f32_e32 v26, 0x32a5705f, v17
	v_sub_f32_e32 v24, v24, v27
	v_add_f32_e32 v24, v24, v26
	v_exp_f32_e32 v24, v24
	v_cvt_i32_f32_e32 v26, v27
	v_cmp_ngt_f32_e32 vcc, s69, v17
	v_ldexp_f32 v24, v24, v26
	s_nop 0
	v_cndmask_b32_e32 v24, 0, v24, vcc
	v_cmp_nlt_f32_e32 vcc, s57, v17
	s_nop 1
	v_cndmask_b32_e32 v17, v153, v24, vcc
	v_add_f32_e32 v24, v15, v17
	v_cndmask_b32_e64 v77, v15, v24, s[20:21]
	v_sub_f32_e32 v15, v23, v92
	v_mul_f32_e32 v23, 0x3fb8aa3b, v15
	v_fma_f32 v24, v15, s68, -v23
	v_rndne_f32_e32 v26, v23
	v_fmac_f32_e32 v24, 0x32a5705f, v15
	v_sub_f32_e32 v23, v23, v26
	v_add_f32_e32 v23, v23, v24
	v_exp_f32_e32 v23, v23
	v_cvt_i32_f32_e32 v24, v26
	v_cmp_ngt_f32_e32 vcc, s69, v15
	v_ldexp_f32 v23, v23, v24
	s_nop 0
	v_cndmask_b32_e32 v23, 0, v23, vcc
	v_cmp_nlt_f32_e32 vcc, s57, v15
	s_nop 1
	v_cndmask_b32_e32 v23, v153, v23, vcc
	v_cmp_le_f32_e32 vcc, s22, v15
	s_nop 1
	v_cndmask_b32_e32 v15, 0, v23, vcc
	v_fmac_f32_e32 v77, v22, v15
	v_cvt_f16_f32_e32 v15, v15
	v_mul_u32_u24_e32 v15, 0x10001, v15
	v_pk_mul_f16 v22, v160, v15
	v_pk_mul_f16 v23, v159, v15
	;; [unrolled: 1-line block ×10, first 2 shown]
	v_mov_b32_e32 v15, s91
	v_lshl_add_u64 v[18:19], v[60:61], 2, s[24:25]
	v_cndmask_b32_e64 v15, v15, v17, s[20:21]
	v_lshl_add_u64 v[18:19], v[18:19], 0, v[40:41]
	v_mov_b32_e32 v17, s93
	v_cndmask_b32_e64 v19, v17, v19, s[10:11]
	v_cndmask_b32_e64 v18, v156, v18, s[10:11]
	flat_load_dwordx4 v[18:21], v[18:19]
	v_cvt_pk_f16_f32 v33, v16, v15
	v_cvt_f32_f16_e32 v16, v23
	v_cvt_f32_f16_e32 v158, v27
	v_cvt_f32_f16_sdwa v159, v27 dst_sel:DWORD dst_unused:UNUSED_PAD src0_sel:WORD_1
	v_cvt_f32_f16_e32 v160, v26
	v_cvt_f32_f16_sdwa v161, v26 dst_sel:DWORD dst_unused:UNUSED_PAD src0_sel:WORD_1
	s_waitcnt vmcnt(0) lgkmcnt(0)
	ds_write_b128 v103, v[18:21]
	v_lshl_add_u64 v[18:19], v[58:59], 2, s[24:25]
	v_lshl_add_u64 v[18:19], v[18:19], 0, v[40:41]
	v_cndmask_b32_e64 v19, v17, v19, s[12:13]
	v_cndmask_b32_e64 v18, v156, v18, s[12:13]
	flat_load_dwordx4 v[18:21], v[18:19]
	v_cvt_f32_f16_sdwa v17, v23 dst_sel:DWORD dst_unused:UNUSED_PAD src0_sel:WORD_1
	s_waitcnt vmcnt(0) lgkmcnt(0)
	ds_write_b128 v105, v[18:21]
	s_waitcnt lgkmcnt(0)
	s_barrier
	ds_read_u16 v1, v110 offset:176
	ds_read_u16 v14, v111
	ds_read_u16 v20, v111 offset:32
	ds_read_u16 v15, v112
	ds_read_u16 v21, v112 offset:32
	s_waitcnt lgkmcnt(1)
	v_perm_b32 v19, v15, v14, s23
	ds_read_u16 v14, v110
	ds_read_u16 v29, v110 offset:32
	v_cvt_f32_f16_sdwa v15, v22 dst_sel:DWORD dst_unused:UNUSED_PAD src0_sel:WORD_1
	s_waitcnt lgkmcnt(2)
	v_perm_b32 v23, v21, v20, s23
	v_cvt_f32_f16_e32 v20, v28
	s_waitcnt lgkmcnt(1)
	v_perm_b32 v18, v1, v14, s23
	ds_read_u16 v1, v110 offset:208
	v_cvt_f32_f16_e32 v14, v22
	v_cvt_f32_f16_sdwa v21, v28 dst_sel:DWORD dst_unused:UNUSED_PAD src0_sel:WORD_1
	s_waitcnt lgkmcnt(0)
	v_perm_b32 v22, v1, v29, s23
	v_mfma_f32_16x16x16_f16 v[14:17], v[18:19], v[32:33], v[14:17]
	v_cvt_f32_f16_e32 v18, v24
	v_cvt_f32_f16_sdwa v19, v24 dst_sel:DWORD dst_unused:UNUSED_PAD src0_sel:WORD_1
	s_nop 1
	v_mfma_f32_16x16x16_f16 v[18:21], v[22:23], v[32:33], v[18:21]
	ds_read_u16 v1, v110 offset:64
	ds_read_u16 v22, v110 offset:240
	;; [unrolled: 1-line block ×4, first 2 shown]
	s_waitcnt lgkmcnt(2)
	v_perm_b32 v28, v22, v1, s23
	v_cvt_f32_f16_e32 v22, v95
	s_waitcnt lgkmcnt(0)
	v_perm_b32 v29, v24, v23, s23
	v_cvt_f32_f16_sdwa v23, v95 dst_sel:DWORD dst_unused:UNUSED_PAD src0_sel:WORD_1
	v_cvt_f32_f16_e32 v24, v25
	v_cvt_f32_f16_sdwa v25, v25 dst_sel:DWORD dst_unused:UNUSED_PAD src0_sel:WORD_1
	s_nop 1
	v_mfma_f32_16x16x16_f16 v[22:25], v[28:29], v[32:33], v[22:25]
	ds_read_u16 v1, v110 offset:96
	ds_read_u16 v28, v110 offset:272
	;; [unrolled: 1-line block ×4, first 2 shown]
	s_waitcnt lgkmcnt(2)
	v_perm_b32 v28, v28, v1, s23
	s_nop 1
	v_cvt_pk_f16_f32 v25, v24, v25
	s_waitcnt lgkmcnt(0)
	v_perm_b32 v29, v40, v29, s23
	ds_read_u16 v1, v110 offset:128
	ds_read_u16 v40, v110 offset:304
	;; [unrolled: 1-line block ×4, first 2 shown]
	v_mfma_f32_16x16x16_f16 v[26:29], v[28:29], v[32:33], v[158:161]
	s_waitcnt lgkmcnt(0)
	v_perm_b32 v163, v157, v95, s23
	v_perm_b32 v162, v40, v1, s23
	v_cvt_f32_f16_e32 v158, v31
	v_cvt_f32_f16_sdwa v159, v31 dst_sel:DWORD dst_unused:UNUSED_PAD src0_sel:WORD_1
	v_cvt_f32_f16_e32 v160, v30
	v_cvt_f32_f16_sdwa v161, v30 dst_sel:DWORD dst_unused:UNUSED_PAD src0_sel:WORD_1
	v_cvt_pk_f16_f32 v95, v18, v19
	v_cvt_pk_f16_f32 v157, v20, v21
	v_mfma_f32_16x16x16_f16 v[30:33], v[162:163], v[32:33], v[158:161]
	v_cvt_pk_f16_f32 v21, v26, v27
	v_cvt_pk_f16_f32 v20, v28, v29
	s_nop 0
	v_cvt_pk_f16_f32 v160, v14, v15
	v_cvt_pk_f16_f32 v159, v16, v17
	;; [unrolled: 1-line block ×3, first 2 shown]
	s_nop 1
	v_cvt_pk_f16_f32 v19, v30, v31
	v_cvt_pk_f16_f32 v18, v32, v33
	s_barrier
	s_cbranch_scc0 .LBB9_50
; %bb.47:                               ;   in Loop: Header=BB9_36 Depth=2
	v_mov_b32_e32 v22, v77
	v_mov_b32_e32 v23, v92
	s_branch .LBB9_36
.LBB9_48:                               ;   in Loop: Header=BB9_14 Depth=1
	s_cbranch_execz .LBB9_13
	s_branch .LBB9_118
.LBB9_49:                               ;   in Loop: Header=BB9_14 Depth=1
	v_mov_b32_e32 v92, 0xfeffffff
	v_mov_b32_e32 v77, 0
	;; [unrolled: 1-line block ×12, first 2 shown]
.LBB9_50:                               ;   in Loop: Header=BB9_14 Depth=1
	s_lshl_b32 s6, s34, 6
	v_readlane_b32 s24, v172, 4
	s_sub_i32 s92, s24, s6
	v_readlane_b32 s25, v172, 5
	s_cmp_lg_u64 s[78:79], 0
	s_cselect_b64 s[24:25], -1, 0
	s_ashr_i32 s7, s6, 31
	s_cmp_eq_u64 s[78:79], 0
	s_cbranch_scc1 .LBB9_56
; %bb.51:                               ;   in Loop: Header=BB9_14 Depth=1
	v_cmp_le_i32_e32 vcc, s92, v38
	s_and_saveexec_b64 s[26:27], vcc
	s_xor_b64 s[26:27], exec, s[26:27]
	s_cbranch_execz .LBB9_53
; %bb.52:                               ;   in Loop: Header=BB9_14 Depth=1
	ds_write_b16 v124, v41 offset:11264
	ds_write_b16 v141, v41 offset:11264
.LBB9_53:                               ;   in Loop: Header=BB9_14 Depth=1
	s_or_saveexec_b64 s[26:27], s[26:27]
	v_mov_b32_e32 v1, 0
	v_mov_b32_e32 v14, 0
	s_xor_b64 exec, exec, s[26:27]
	s_cbranch_execz .LBB9_55
; %bb.54:                               ;   in Loop: Header=BB9_14 Depth=1
	v_add_u32_e32 v1, s81, v45
	s_lshl_b64 s[28:29], s[6:7], 1
	v_mul_hi_u32 v16, s70, v1
	s_add_u32 s28, s78, s28
	v_add_u32_e32 v16, v1, v16
	s_addc_u32 s29, s79, s29
	v_lshlrev_b32_e32 v40, 1, v38
	v_lshrrev_b32_e32 v16, s71, v16
	v_lshl_add_u64 v[14:15], s[28:29], 0, v[40:41]
	v_mul_lo_u32 v16, v16, s56
	v_readlane_b32 s28, v172, 56
	v_sub_u32_e32 v1, v1, v16
	v_readlane_b32 s29, v172, 57
	s_mov_b32 s30, s28
	v_mad_i64_i32 v[16:17], s[28:29], v1, s30, 0
	v_lshl_add_u64 v[16:17], v[16:17], 1, v[14:15]
	global_load_ushort v1, v[16:17], off
	v_add_u32_e32 v16, s81, v140
	v_mul_hi_u32 v17, s70, v16
	v_add_u32_e32 v17, v16, v17
	v_lshrrev_b32_e32 v17, s71, v17
	v_mul_lo_u32 v17, v17, s56
	v_sub_u32_e32 v16, v16, v17
	v_mad_i64_i32 v[16:17], s[28:29], v16, s30, 0
	v_lshl_add_u64 v[16:17], v[16:17], 1, v[14:15]
	global_load_ushort v16, v[16:17], off
	s_waitcnt vmcnt(1)
	ds_write_b16 v124, v1 offset:11264
	s_waitcnt vmcnt(0)
	ds_write_b16 v141, v16 offset:11264
	v_add_u32_e32 v1, s81, v142
	v_mul_hi_u32 v16, s70, v1
	v_add_u32_e32 v16, v1, v16
	v_lshrrev_b32_e32 v16, s71, v16
	v_mul_lo_u32 v16, v16, s56
	v_sub_u32_e32 v1, v1, v16
	v_mad_i64_i32 v[16:17], s[28:29], v1, s30, 0
	v_lshl_add_u64 v[16:17], v[16:17], 1, v[14:15]
	global_load_ushort v1, v[16:17], off
	v_add_u32_e32 v16, s81, v144
	v_mul_hi_u32 v17, s70, v16
	v_add_u32_e32 v17, v16, v17
	v_lshrrev_b32_e32 v17, s71, v17
	v_mul_lo_u32 v17, v17, s56
	v_sub_u32_e32 v16, v16, v17
	v_mad_i64_i32 v[16:17], s[28:29], v16, s30, 0
	v_lshl_add_u64 v[14:15], v[16:17], 1, v[14:15]
	global_load_ushort v14, v[14:15], off
.LBB9_55:                               ;   in Loop: Header=BB9_14 Depth=1
	s_or_b64 exec, exec, s[26:27]
	s_waitcnt vmcnt(1)
	ds_write_b16 v143, v1 offset:11264
	s_waitcnt vmcnt(0)
	ds_write_b16 v145, v14 offset:11264
.LBB9_56:                               ;   in Loop: Header=BB9_14 Depth=1
	s_mul_hi_i32 s27, s6, s72
	s_mul_i32 s26, s6, s72
	s_lshl_b64 s[26:27], s[26:27], 2
	s_add_u32 s26, s77, s26
	s_addc_u32 s27, s89, s27
	scratch_store_dwordx4 off, v[2:5], off
	s_and_saveexec_b64 s[28:29], s[8:9]
	s_cbranch_execz .LBB9_58
; %bb.57:                               ;   in Loop: Header=BB9_14 Depth=1
	v_lshl_add_u64 v[14:15], v[54:55], 2, s[26:27]
	v_lshlrev_b32_e32 v40, 2, v44
	v_lshl_add_u64 v[14:15], v[14:15], 0, v[40:41]
	v_lshl_add_u64 v[14:15], v[14:15], 0, s[94:95]
	v_mov_b32_e32 v1, s93
	v_cmp_gt_i32_e32 vcc, s92, v102
	s_nop 1
	v_cndmask_b32_e32 v15, v1, v15, vcc
	v_cndmask_b32_e32 v14, v156, v14, vcc
	flat_load_dwordx4 v[14:17], v[14:15]
	s_waitcnt vmcnt(0) lgkmcnt(0)
	ds_write_b128 v107, v[14:17]
.LBB9_58:                               ;   in Loop: Header=BB9_14 Depth=1
	s_or_b64 exec, exec, s[28:29]
	v_lshl_add_u64 v[14:15], v[50:51], 2, s[26:27]
	v_lshlrev_b32_e32 v40, 2, v42
	v_lshl_add_u64 v[14:15], v[14:15], 0, v[40:41]
	v_mov_b32_e32 v1, s93
	v_cmp_gt_i32_e64 s[34:35], s92, v43
	v_lshl_add_u64 v[22:23], v[52:53], 2, s[26:27]
	v_lshl_add_u64 v[22:23], v[22:23], 0, v[40:41]
	v_cndmask_b32_e64 v15, v1, v15, s[34:35]
	v_cndmask_b32_e64 v14, v156, v14, s[34:35]
	flat_load_dwordx4 v[14:17], v[14:15]
	v_cmp_gt_i32_e64 s[30:31], s92, v104
	s_andn2_b64 vcc, exec, s[24:25]
	s_waitcnt vmcnt(0) lgkmcnt(0)
	ds_write_b128 v103, v[14:17]
	v_cndmask_b32_e64 v23, v1, v23, s[30:31]
	v_cndmask_b32_e64 v22, v156, v22, s[30:31]
	flat_load_dwordx4 v[14:17], v[22:23]
	s_waitcnt vmcnt(0) lgkmcnt(0)
	ds_write_b128 v105, v[14:17]
	s_waitcnt lgkmcnt(0)
	s_barrier
	ds_read2_b64 v[14:17], v106 offset1:4
	s_waitcnt lgkmcnt(0)
	v_mfma_f32_16x16x16_f16 v[26:29], v[14:15], v[10:11], 0
	v_mfma_f32_16x16x16_f16 v[10:13], v[16:17], v[12:13], v[26:29]
	ds_read2_b64 v[14:17], v106 offset0:8 offset1:12
	s_waitcnt lgkmcnt(0)
	v_mfma_f32_16x16x16_f16 v[10:13], v[14:15], v[6:7], v[10:13]
	v_mfma_f32_16x16x16_f16 v[6:9], v[16:17], v[8:9], v[10:13]
	s_nop 6
	ds_read_b64 v[10:11], v106 offset:128
	s_waitcnt lgkmcnt(0)
	v_mfma_f32_16x16x16_f16 v[6:9], v[10:11], v[78:79], v[6:9]
	s_barrier
	s_cbranch_vccnz .LBB9_60
; %bb.59:                               ;   in Loop: Header=BB9_14 Depth=1
	v_add_u32_e32 v1, 0x2c00, v109
	ds_read2_b32 v[10:11], v1 offset1:1
	s_waitcnt lgkmcnt(0)
	v_cvt_f32_f16_e32 v12, v10
	v_cvt_f32_f16_e32 v14, v11
	v_cvt_f32_f16_sdwa v15, v11 dst_sel:DWORD dst_unused:UNUSED_PAD src0_sel:WORD_1
	v_cvt_f32_f16_sdwa v13, v10 dst_sel:DWORD dst_unused:UNUSED_PAD src0_sel:WORD_1
	v_pk_fma_f32 v[8:9], v[76:77], v[14:15], v[8:9] op_sel_hi:[0,1,1]
	v_pk_fma_f32 v[6:7], v[76:77], v[12:13], v[6:7] op_sel_hi:[0,1,1]
.LBB9_60:                               ;   in Loop: Header=BB9_14 Depth=1
	v_add_f32_e32 v1, 0x40051340, v6
	v_max_f32_e32 v10, v92, v92
	v_max_f32_e32 v1, v10, v1
	v_cmp_gt_u32_e64 s[28:29], s92, v108
	v_add_f32_e32 v10, 0x40051340, v7
	v_cmp_gt_u32_e32 vcc, s92, v146
	v_cndmask_b32_e64 v1, v92, v1, s[28:29]
	v_max_f32_e32 v11, v1, v1
	v_max_f32_e32 v10, v11, v10
	v_cndmask_b32_e32 v1, v1, v10, vcc
	v_add_f32_e32 v10, 0x40051340, v8
	v_max_f32_e32 v11, v1, v1
	v_max_f32_e32 v10, v11, v10
	v_cmp_gt_u32_e64 s[24:25], s92, v147
	v_cmp_gt_u32_e64 s[26:27], s92, v148
	s_mul_hi_i32 s7, s6, s58
	v_cndmask_b32_e64 v1, v1, v10, s[24:25]
	v_add_f32_e32 v10, 0x40051340, v9
	v_max_f32_e32 v11, v1, v1
	v_max_f32_e32 v10, v11, v10
	v_cndmask_b32_e64 v10, v1, v10, s[26:27]
	v_and_b32_e32 v1, 64, v155
	v_add_u32_e32 v11, 64, v1
	v_xor_b32_e32 v1, 32, v155
	v_cmp_lt_i32_e64 s[38:39], v1, v11
	s_mul_i32 s6, s6, s58
	s_lshl_b64 s[6:7], s[6:7], 2
	v_cndmask_b32_e64 v1, v155, v1, s[38:39]
	v_lshlrev_b32_e32 v1, 2, v1
	ds_bpermute_b32 v12, v1, v10
	v_max_f32_e32 v10, v10, v10
	s_add_u32 s6, s75, s6
	s_addc_u32 s7, s76, s7
	scratch_store_dwordx4 off, v[2:5], off
	s_waitcnt lgkmcnt(0)
	v_max_f32_e32 v12, v12, v12
	v_max_f32_e32 v10, v10, v12
	v_xor_b32_e32 v12, 16, v155
	v_cmp_lt_i32_e64 s[38:39], v12, v11
	s_nop 1
	v_cndmask_b32_e64 v11, v155, v12, s[38:39]
	v_lshlrev_b32_e32 v26, 2, v11
	ds_bpermute_b32 v11, v26, v10
	s_and_saveexec_b64 s[64:65], s[8:9]
	s_cbranch_execz .LBB9_62
; %bb.61:                               ;   in Loop: Header=BB9_14 Depth=1
	v_lshl_add_u64 v[12:13], v[56:57], 2, s[6:7]
	v_lshlrev_b32_e32 v14, 2, v44
	v_mov_b32_e32 v15, v41
	v_lshl_add_u64 v[12:13], v[12:13], 0, v[14:15]
	v_lshl_add_u64 v[12:13], v[12:13], 0, s[94:95]
	v_mov_b32_e32 v14, s93
	v_cmp_gt_i32_e64 s[38:39], s92, v102
	s_nop 1
	v_cndmask_b32_e64 v13, v14, v13, s[38:39]
	v_cndmask_b32_e64 v12, v156, v12, s[38:39]
	flat_load_dwordx4 v[12:15], v[12:13]
	s_waitcnt vmcnt(0) lgkmcnt(0)
	ds_write_b128 v107, v[12:15]
.LBB9_62:                               ;   in Loop: Header=BB9_14 Depth=1
	s_or_b64 exec, exec, s[64:65]
	v_lshl_add_u64 v[12:13], v[60:61], 2, s[6:7]
	v_lshl_add_u64 v[12:13], v[12:13], 0, v[40:41]
	v_mov_b32_e32 v16, s93
	v_cndmask_b32_e64 v13, v16, v13, s[34:35]
	v_cndmask_b32_e64 v12, v156, v12, s[34:35]
	flat_load_dwordx4 v[12:15], v[12:13]
	s_waitcnt lgkmcnt(0)
	v_max_f32_e32 v24, v11, v11
	v_max_f32_e32 v27, v10, v10
	;; [unrolled: 1-line block ×3, first 2 shown]
	v_lshl_add_u64 v[22:23], v[58:59], 2, s[6:7]
	v_sub_f32_e32 v27, v6, v24
	v_sub_f32_e32 v28, v7, v24
	v_lshl_add_u64 v[22:23], v[22:23], 0, v[40:41]
	v_sub_f32_e32 v29, v8, v24
	v_sub_f32_e32 v30, v9, v24
	v_mul_f32_e32 v8, 0x3fb8aa3b, v27
	v_mul_f32_e32 v9, 0x3fb8aa3b, v28
	v_cndmask_b32_e64 v7, v16, v23, s[30:31]
	v_cndmask_b32_e64 v6, v156, v22, s[30:31]
	v_rndne_f32_e32 v33, v8
	v_rndne_f32_e32 v78, v9
	v_fma_f32 v32, v27, s68, -v8
	v_fma_f32 v40, v28, s68, -v9
	v_sub_f32_e32 v85, v8, v33
	v_sub_f32_e32 v86, v9, v78
	;; [unrolled: 1-line block ×3, first 2 shown]
	v_mul_f32_e32 v22, 0x3fb8aa3b, v30
	v_mul_f32_e32 v23, 0x3fb8aa3b, v31
	;; [unrolled: 1-line block ×3, first 2 shown]
	v_fma_f32 v81, v30, s68, -v22
	v_rndne_f32_e32 v82, v22
	v_fma_f32 v83, v31, s68, -v23
	v_rndne_f32_e32 v84, v23
	v_fmac_f32_e32 v32, 0x32a5705f, v27
	v_fma_f32 v79, v29, s68, -v16
	v_rndne_f32_e32 v80, v16
	v_fmac_f32_e32 v40, 0x32a5705f, v28
	v_fmac_f32_e32 v81, 0x32a5705f, v30
	;; [unrolled: 1-line block ×3, first 2 shown]
	v_cvt_i32_f32_e32 v33, v33
	v_fmac_f32_e32 v79, 0x32a5705f, v29
	v_sub_f32_e32 v16, v16, v80
	v_cvt_i32_f32_e32 v78, v78
	v_add_f32_e32 v16, v16, v79
	v_cvt_i32_f32_e32 v80, v80
	v_exp_f32_e32 v16, v16
	v_cmp_ngt_f32_e64 s[30:31], s69, v27
	v_mov_b32_e32 v11, s91
	v_mov_b32_e32 v10, s91
	v_ldexp_f32 v16, v16, v80
	v_mov_b32_e32 v17, s91
	s_cmp_lg_u64 s[2:3], 0
	s_cselect_b64 s[6:7], -1, 0
	s_waitcnt vmcnt(0)
	ds_write_b128 v103, v[12:15]
	flat_load_dwordx4 v[6:9], v[6:7]
	v_sub_f32_e32 v12, v22, v82
	v_sub_f32_e32 v14, v23, v84
	v_add_f32_e32 v22, v85, v32
	v_add_f32_e32 v23, v86, v40
	;; [unrolled: 1-line block ×4, first 2 shown]
	v_exp_f32_e32 v22, v22
	v_cvt_i32_f32_e32 v13, v82
	v_cvt_i32_f32_e32 v15, v84
	v_exp_f32_e32 v23, v23
	v_exp_f32_e32 v12, v12
	;; [unrolled: 1-line block ×3, first 2 shown]
	v_ldexp_f32 v22, v22, v33
	v_ldexp_f32 v23, v23, v78
	;; [unrolled: 1-line block ×4, first 2 shown]
	v_cndmask_b32_e64 v14, 0, v22, s[30:31]
	v_cmp_ngt_f32_e64 s[30:31], s69, v28
	s_waitcnt vmcnt(0) lgkmcnt(0)
	ds_write_b128 v105, v[6:9]
	v_cndmask_b32_e64 v15, 0, v23, s[30:31]
	v_cmp_ngt_f32_e64 s[30:31], s69, v29
	s_waitcnt lgkmcnt(0)
	s_barrier
	v_cndmask_b32_e64 v16, 0, v16, s[30:31]
	v_cmp_ngt_f32_e64 s[30:31], s69, v30
	s_nop 1
	v_cndmask_b32_e64 v12, 0, v12, s[30:31]
	v_cmp_ngt_f32_e64 s[30:31], s69, v31
	s_nop 1
	v_cndmask_b32_e64 v13, 0, v13, s[30:31]
	v_cmp_nlt_f32_e64 s[30:31], s57, v27
	s_nop 1
	v_cndmask_b32_e64 v14, v153, v14, s[30:31]
	v_cmp_nlt_f32_e64 s[30:31], s57, v28
	;; [unrolled: 3-line block ×3, first 2 shown]
	v_cndmask_b32_e32 v11, v11, v15, vcc
	s_nop 0
	v_cndmask_b32_e64 v16, v153, v16, s[30:31]
	v_cmp_nlt_f32_e64 s[30:31], s57, v30
	v_cndmask_b32_e64 v10, v10, v16, s[24:25]
	s_nop 0
	v_cndmask_b32_e64 v27, v153, v12, s[30:31]
	v_cmp_nlt_f32_e64 s[30:31], s57, v31
	v_cndmask_b32_e64 v12, 0, v14, s[28:29]
	v_cmp_le_f32_e64 s[28:29], s22, v31
	v_cndmask_b32_e64 v13, v153, v13, s[30:31]
	v_add_f32_e32 v14, v15, v12
	v_cndmask_b32_e64 v40, 0, v13, s[28:29]
	v_cndmask_b32_e64 v13, v17, v27, s[26:27]
	v_cvt_f16_f32_e32 v15, v40
	v_cvt_pk_f16_f32 v23, v10, v13
	v_cndmask_b32_e32 v10, v12, v14, vcc
	v_cvt_pk_f16_f32 v22, v12, v11
	v_add_f32_e32 v11, v10, v16
	v_cndmask_b32_e64 v10, v10, v11, s[24:25]
	v_add_f32_e32 v11, v10, v27
	v_mul_u32_u24_e32 v27, 0x10001, v15
	v_pk_mul_f16 v25, v25, v27
	v_pk_mul_f16 v21, v21, v27
	;; [unrolled: 1-line block ×3, first 2 shown]
	v_cvt_f32_f16_e32 v30, v25
	v_cvt_f32_f16_sdwa v31, v25 dst_sel:DWORD dst_unused:UNUSED_PAD src0_sel:WORD_1
	v_cvt_f32_f16_e32 v78, v21
	v_cvt_f32_f16_sdwa v79, v21 dst_sel:DWORD dst_unused:UNUSED_PAD src0_sel:WORD_1
	ds_read_u16 v8, v112 offset:32
	ds_read_u16 v6, v110 offset:176
	ds_read_u16 v9, v110
	ds_read_u16 v20, v110 offset:32
	ds_read_u16 v25, v110 offset:208
	;; [unrolled: 1-line block ×6, first 2 shown]
	ds_read_u16 v7, v111
	ds_read_u16 v21, v111 offset:32
	ds_read_u16 v33, v112
	ds_read_u16 v86, v111 offset:64
	ds_read_u16 v87, v110 offset:272
	;; [unrolled: 1-line block ×5, first 2 shown]
	s_waitcnt lgkmcnt(5)
	v_perm_b32 v7, v33, v7, s23
	ds_read_u16 v33, v112 offset:64
	ds_read_u16 v91, v112 offset:96
	;; [unrolled: 1-line block ×3, first 2 shown]
	v_cndmask_b32_e64 v82, v10, v11, s[26:27]
	v_pk_mul_f16 v11, v160, v27
	v_pk_mul_f16 v13, v159, v27
	;; [unrolled: 1-line block ×4, first 2 shown]
	v_perm_b32 v6, v6, v9, s23
	v_perm_b32 v21, v8, v21, s23
	;; [unrolled: 1-line block ×3, first 2 shown]
	v_pk_mul_f16 v29, v158, v27
	v_cvt_f32_f16_e32 v10, v11
	v_cvt_f32_f16_sdwa v11, v11 dst_sel:DWORD dst_unused:UNUSED_PAD src0_sel:WORD_1
	v_cvt_f32_f16_e32 v12, v13
	v_cvt_f32_f16_sdwa v13, v13 dst_sel:DWORD dst_unused:UNUSED_PAD src0_sel:WORD_1
	;; [unrolled: 2-line block ×4, first 2 shown]
	s_waitcnt lgkmcnt(2)
	v_perm_b32 v33, v33, v86, s23
	v_perm_b32 v32, v83, v32, s23
	v_cvt_f32_f16_e32 v28, v29
	v_cvt_f32_f16_sdwa v29, v29 dst_sel:DWORD dst_unused:UNUSED_PAD src0_sel:WORD_1
	v_mfma_f32_16x16x16_f16 v[6:9], v[6:7], v[22:23], v[10:13]
	v_cvt_f32_f16_e32 v80, v81
	v_cvt_f32_f16_sdwa v81, v81 dst_sel:DWORD dst_unused:UNUSED_PAD src0_sel:WORD_1
	v_pk_mul_f16 v25, v19, v27
	v_mfma_f32_16x16x16_f16 v[10:13], v[20:21], v[22:23], v[14:17]
	s_waitcnt lgkmcnt(1)
	v_perm_b32 v21, v91, v88, s23
	v_perm_b32 v20, v87, v84, s23
	s_nop 0
	v_cvt_f16_f32_e32 v8, v8
	v_mfma_f32_16x16x16_f16 v[14:17], v[32:33], v[22:23], v[28:31]
	v_cvt_f16_f32_e32 v9, v9
	v_pk_mul_f16 v27, v18, v27
	v_cvt_f16_f32_e32 v12, v12
	v_mfma_f32_16x16x16_f16 v[18:21], v[20:21], v[22:23], v[78:81]
	v_cvt_f16_f32_e32 v28, v13
	s_nop 2
	v_cvt_f16_f32_e32 v16, v16
	v_cvt_f16_f32_e32 v17, v17
	v_perm_b32 v13, v9, v8, s23
	s_waitcnt lgkmcnt(0)
	v_perm_b32 v9, v92, v89, s23
	v_perm_b32 v8, v90, v85, s23
	v_cvt_f16_f32_e32 v20, v20
	v_perm_b32 v12, v28, v12, s23
	v_perm_b32 v16, v17, v16, s23
	v_cvt_f16_f32_e32 v17, v21
	v_cvt_f32_f16_e32 v28, v25
	v_cvt_f32_f16_sdwa v29, v25 dst_sel:DWORD dst_unused:UNUSED_PAD src0_sel:WORD_1
	v_cvt_f32_f16_e32 v30, v27
	v_cvt_f32_f16_sdwa v31, v27 dst_sel:DWORD dst_unused:UNUSED_PAD src0_sel:WORD_1
	v_fmac_f32_e32 v82, v77, v40
	v_perm_b32 v17, v17, v20, s23
	v_mfma_f32_16x16x16_f16 v[20:23], v[8:9], v[22:23], v[28:31]
	ds_bpermute_b32 v8, v1, v82
	v_cvt_f16_f32_e32 v32, v6
	v_cvt_f16_f32_e32 v33, v7
	;; [unrolled: 1-line block ×4, first 2 shown]
	s_waitcnt lgkmcnt(0)
	v_add_f32_e32 v8, v82, v8
	ds_bpermute_b32 v25, v26, v8
	v_cvt_f16_f32_e32 v78, v14
	v_cvt_f16_f32_e32 v79, v15
	;; [unrolled: 1-line block ×8, first 2 shown]
	v_readlane_b32 s24, v172, 37
	v_readlane_b32 s25, v172, 38
	v_perm_b32 v22, v23, v22, s23
	s_waitcnt lgkmcnt(0)
	v_add_f32_e32 v25, v8, v25
	s_and_b64 s[6:7], s[24:25], s[6:7]
	v_perm_b32 v23, v77, v40, s23
	v_perm_b32 v27, v33, v32, s23
	;; [unrolled: 1-line block ×5, first 2 shown]
	s_barrier
	s_and_saveexec_b64 s[24:25], s[6:7]
	s_cbranch_execz .LBB9_64
; %bb.63:                               ;   in Loop: Header=BB9_14 Depth=1
	v_cvt_pk_f16_f32 v9, v14, v15
	global_load_dword v14, v41, s[2:3]
	v_cvt_pk_f16_f32 v7, v6, v7
	v_max_f32_e32 v15, v24, v24
	v_cvt_pk_f16_f32 v8, v10, v11
	v_cvt_pk_f16_f32 v10, v18, v19
	;; [unrolled: 1-line block ×3, first 2 shown]
	s_waitcnt vmcnt(0)
	v_max_f32_e32 v6, v14, v14
	v_max_f32_e32 v6, v15, v6
	v_sub_f32_e32 v15, v24, v6
	v_mul_f32_e32 v18, 0x3fb8aa3b, v15
	v_fma_f32 v19, v15, s68, -v18
	v_rndne_f32_e32 v20, v18
	v_fmac_f32_e32 v19, 0x32a5705f, v15
	v_sub_f32_e32 v18, v18, v20
	v_add_f32_e32 v18, v18, v19
	v_exp_f32_e32 v18, v18
	v_cvt_i32_f32_e32 v19, v20
	v_cmp_ngt_f32_e32 vcc, s69, v15
	v_sub_f32_e32 v14, v14, v6
	v_ldexp_f32 v18, v18, v19
	v_cndmask_b32_e32 v18, 0, v18, vcc
	v_cmp_nlt_f32_e32 vcc, s57, v15
	s_nop 1
	v_cndmask_b32_e32 v18, v153, v18, vcc
	v_cmp_le_f32_e32 vcc, s22, v15
	s_nop 1
	v_cndmask_b32_e32 v15, 0, v18, vcc
	v_cvt_f16_f32_e32 v18, v15
	v_cmp_ngt_f32_e32 vcc, s69, v14
	v_mul_u32_u24_e32 v18, 0x10001, v18
	v_pk_mul_f16 v27, v7, v18
	v_mul_f32_e32 v7, 0x3fb8aa3b, v14
	v_pk_mul_f16 v23, v8, v18
	v_pk_mul_f16 v28, v9, v18
	v_fma_f32 v8, v14, s68, -v7
	v_rndne_f32_e32 v9, v7
	v_fmac_f32_e32 v8, 0x32a5705f, v14
	v_sub_f32_e32 v7, v7, v9
	v_add_f32_e32 v7, v7, v8
	v_exp_f32_e32 v7, v7
	v_cvt_i32_f32_e32 v8, v9
	v_pk_mul_f16 v13, v13, v18
	v_pk_mul_f16 v12, v12, v18
	;; [unrolled: 1-line block ×3, first 2 shown]
	v_ldexp_f32 v7, v7, v8
	v_cndmask_b32_e32 v7, 0, v7, vcc
	v_cmp_nlt_f32_e32 vcc, s57, v14
	v_pk_mul_f16 v29, v10, v18
	v_pk_mul_f16 v17, v17, v18
	v_cndmask_b32_e32 v7, v153, v7, vcc
	v_fmac_f32_e32 v7, v25, v15
	v_pk_mul_f16 v30, v11, v18
	v_pk_mul_f16 v22, v22, v18
	v_mov_b64_e32 v[24:25], v[6:7]
.LBB9_64:                               ;   in Loop: Header=BB9_14 Depth=1
	s_or_b64 exec, exec, s[24:25]
	s_mov_b64 s[6:7], exec
	v_readlane_b32 s24, v172, 54
	v_readlane_b32 s25, v172, 55
	s_and_b64 s[24:25], s[6:7], s[24:25]
	s_movk_i32 s65, 0x47
	s_mov_b64 exec, s[24:25]
; %bb.65:                               ;   in Loop: Header=BB9_14 Depth=1
	v_add_u32_e32 v6, 0, v125
	ds_write2_b32 v6, v24, v25 offset0:40 offset1:41
; %bb.66:                               ;   in Loop: Header=BB9_14 Depth=1
	s_or_b64 exec, exec, s[6:7]
	s_waitcnt lgkmcnt(0)
	s_barrier
	s_mov_b64 s[6:7], exec
	v_readlane_b32 s24, v172, 39
	v_readlane_b32 s25, v172, 40
	s_and_b64 s[24:25], s[6:7], s[24:25]
	s_xor_b64 s[6:7], s[24:25], s[6:7]
	s_mov_b64 exec, s[24:25]
	s_cbranch_execz .LBB9_68
; %bb.67:                               ;   in Loop: Header=BB9_14 Depth=1
	s_barrier
                                        ; implicit-def: $vgpr1
                                        ; implicit-def: $vgpr26
.LBB9_68:                               ;   in Loop: Header=BB9_14 Depth=1
	s_andn2_saveexec_b64 s[6:7], s[6:7]
	s_cbranch_execz .LBB9_72
; %bb.69:                               ;   in Loop: Header=BB9_14 Depth=1
	v_add_u32_e32 v7, 0, v125
	ds_read_b64 v[8:9], v7 offset:160
	s_waitcnt lgkmcnt(0)
	s_barrier
	ds_bpermute_b32 v6, v1, v8
	v_max_f32_e32 v10, v8, v8
	s_waitcnt lgkmcnt(0)
	v_max_f32_e32 v6, v6, v6
	v_max_f32_e32 v6, v10, v6
	ds_bpermute_b32 v10, v26, v6
	s_waitcnt lgkmcnt(0)
	v_max_f32_e32 v10, v10, v10
	v_max_f32_e32 v6, v6, v10
	v_sub_f32_e32 v8, v8, v6
	v_mul_f32_e32 v10, 0x3fb8aa3b, v8
	v_fma_f32 v11, v8, s68, -v10
	v_rndne_f32_e32 v14, v10
	v_fmac_f32_e32 v11, 0x32a5705f, v8
	v_sub_f32_e32 v10, v10, v14
	v_add_f32_e32 v10, v10, v11
	v_cvt_i32_f32_e32 v14, v14
	v_exp_f32_e32 v10, v10
	v_cmp_ngt_f32_e32 vcc, s69, v8
	v_ldexp_f32 v10, v10, v14
	s_nop 0
	v_cndmask_b32_e32 v10, 0, v10, vcc
	v_cmp_nlt_f32_e32 vcc, s57, v8
	s_nop 1
	v_cndmask_b32_e32 v8, v153, v10, vcc
	v_mul_f32_e32 v10, v9, v8
	ds_bpermute_b32 v1, v1, v10
	s_waitcnt lgkmcnt(0)
	v_fmac_f32_e32 v1, v9, v8
	ds_bpermute_b32 v9, v26, v1
	s_waitcnt lgkmcnt(0)
	v_add_f32_e32 v9, v1, v9
	ds_write_b64 v7, v[8:9] offset:160
	s_mov_b64 s[24:25], exec
	v_readlane_b32 s26, v172, 54
	v_readlane_b32 s27, v172, 55
	s_and_b64 s[26:27], s[24:25], s[26:27]
	s_mov_b64 exec, s[26:27]
	s_cbranch_execz .LBB9_71
; %bb.70:                               ;   in Loop: Header=BB9_14 Depth=1
	v_mov_b32_e32 v7, v9
	global_store_dwordx2 v[46:47], v[6:7], off
.LBB9_71:                               ;   in Loop: Header=BB9_14 Depth=1
	s_or_b64 exec, exec, s[24:25]
.LBB9_72:                               ;   in Loop: Header=BB9_14 Depth=1
	s_or_b64 exec, exec, s[6:7]
	ds_write2_b32 v113, v27, v13 offset1:1
	ds_write2_b32 v113, v23, v12 offset0:8 offset1:9
	ds_write2_b32 v113, v28, v16 offset0:16 offset1:17
	;; [unrolled: 1-line block ×4, first 2 shown]
	s_waitcnt lgkmcnt(0)
	s_barrier
	s_mov_b64 s[24:25], exec
	v_readlane_b32 s6, v172, 37
	v_readlane_b32 s7, v172, 38
	s_and_b64 s[6:7], s[24:25], s[6:7]
	s_mov_b64 exec, s[6:7]
	s_cbranch_execz .LBB9_117
; %bb.73:                               ;   in Loop: Header=BB9_14 Depth=1
	v_add_u32_e32 v1, s81, v114
	v_cmp_gt_i32_e32 vcc, s56, v1
	v_mov_b32_e32 v6, 0x47
	s_and_saveexec_b64 s[6:7], vcc
	s_cbranch_execz .LBB9_75
; %bb.74:                               ;   in Loop: Header=BB9_14 Depth=1
	v_add_u32_e32 v6, 0, v127
	v_add_u32_e32 v10, 0xa0, v6
	v_add_u32_e32 v12, v139, v127
	ds_read2st64_b32 v[6:7], v10 offset1:11
	ds_read2st64_b32 v[8:9], v12 offset1:11
	ds_read2st64_b32 v[10:11], v10 offset0:22 offset1:33
	ds_read2st64_b32 v[12:13], v12 offset0:22 offset1:33
	v_readlane_b32 s26, v172, 44
	s_waitcnt lgkmcnt(2)
	v_cvt_f32_f16_e32 v16, v8
	v_cvt_f32_f16_sdwa v17, v8 dst_sel:DWORD dst_unused:UNUSED_PAD src0_sel:WORD_1
	v_cvt_f32_f16_e32 v8, v9
	v_cvt_f32_f16_sdwa v9, v9 dst_sel:DWORD dst_unused:UNUSED_PAD src0_sel:WORD_1
	v_mad_u64_u32 v[14:15], s[26:27], v1, s26, v[34:35]
	v_pk_fma_f32 v[16:17], v[6:7], v[16:17], 0 op_sel_hi:[0,1,0]
	v_mov_b32_e32 v6, v7
	v_pk_fma_f32 v[6:7], v[6:7], v[8:9], v[16:17] op_sel_hi:[0,1,1]
	s_waitcnt lgkmcnt(0)
	v_cvt_f32_f16_e32 v8, v12
	v_cvt_f32_f16_sdwa v9, v12 dst_sel:DWORD dst_unused:UNUSED_PAD src0_sel:WORD_1
	v_ashrrev_i32_e32 v15, 31, v14
	v_lshl_add_u64 v[14:15], v[14:15], 3, s[86:87]
	v_pk_fma_f32 v[6:7], v[10:11], v[8:9], v[6:7] op_sel_hi:[0,1,1]
	v_cvt_f32_f16_e32 v8, v13
	v_cvt_f32_f16_sdwa v9, v13 dst_sel:DWORD dst_unused:UNUSED_PAD src0_sel:WORD_1
	v_mov_b32_e32 v10, v11
	v_pk_fma_f32 v[6:7], v[10:11], v[8:9], v[6:7] op_sel_hi:[0,1,1]
	global_store_dwordx2 v[14:15], v[6:7], off
	v_mov_b32_e32 v6, 0
.LBB9_75:                               ;   in Loop: Header=BB9_14 Depth=1
	s_or_b64 exec, exec, s[6:7]
	v_cmp_gt_i32_e32 vcc, s65, v6
	s_mov_b64 s[6:7], -1
	s_and_saveexec_b64 s[26:27], vcc
; %bb.76:                               ;   in Loop: Header=BB9_14 Depth=1
	v_cmp_eq_u32_e32 vcc, 0, v6
	s_orn2_b64 s[6:7], vcc, exec
; %bb.77:                               ;   in Loop: Header=BB9_14 Depth=1
	s_or_b64 exec, exec, s[26:27]
	s_and_saveexec_b64 s[26:27], s[6:7]
	s_cbranch_execz .LBB9_110
; %bb.78:                               ;   in Loop: Header=BB9_14 Depth=1
	v_add_u32_e32 v1, s81, v116
	v_cmp_gt_i32_e32 vcc, s56, v1
	v_mov_b32_e32 v6, 0x47
	s_and_saveexec_b64 s[6:7], vcc
	s_cbranch_execz .LBB9_80
; %bb.79:                               ;   in Loop: Header=BB9_14 Depth=1
	v_add_u32_e32 v6, 0, v128
	v_add_u32_e32 v10, 0xa0, v6
	v_add_u32_e32 v12, v139, v128
	ds_read2st64_b32 v[6:7], v10 offset1:11
	ds_read2st64_b32 v[8:9], v12 offset1:11
	ds_read2st64_b32 v[10:11], v10 offset0:22 offset1:33
	ds_read2st64_b32 v[12:13], v12 offset0:22 offset1:33
	v_readlane_b32 s28, v172, 44
	s_waitcnt lgkmcnt(2)
	v_cvt_f32_f16_e32 v16, v8
	v_cvt_f32_f16_sdwa v17, v8 dst_sel:DWORD dst_unused:UNUSED_PAD src0_sel:WORD_1
	v_cvt_f32_f16_e32 v8, v9
	v_cvt_f32_f16_sdwa v9, v9 dst_sel:DWORD dst_unused:UNUSED_PAD src0_sel:WORD_1
	v_mad_u64_u32 v[14:15], s[28:29], v1, s28, v[34:35]
	v_pk_fma_f32 v[16:17], v[6:7], v[16:17], 0 op_sel_hi:[0,1,0]
	v_mov_b32_e32 v6, v7
	v_pk_fma_f32 v[6:7], v[6:7], v[8:9], v[16:17] op_sel_hi:[0,1,1]
	s_waitcnt lgkmcnt(0)
	v_cvt_f32_f16_e32 v8, v12
	v_cvt_f32_f16_sdwa v9, v12 dst_sel:DWORD dst_unused:UNUSED_PAD src0_sel:WORD_1
	v_ashrrev_i32_e32 v15, 31, v14
	v_lshl_add_u64 v[14:15], v[14:15], 3, s[86:87]
	v_pk_fma_f32 v[6:7], v[10:11], v[8:9], v[6:7] op_sel_hi:[0,1,1]
	v_cvt_f32_f16_e32 v8, v13
	v_cvt_f32_f16_sdwa v9, v13 dst_sel:DWORD dst_unused:UNUSED_PAD src0_sel:WORD_1
	v_mov_b32_e32 v10, v11
	v_pk_fma_f32 v[6:7], v[10:11], v[8:9], v[6:7] op_sel_hi:[0,1,1]
	global_store_dwordx2 v[14:15], v[6:7], off
	v_mov_b32_e32 v6, 0
.LBB9_80:                               ;   in Loop: Header=BB9_14 Depth=1
	s_or_b64 exec, exec, s[6:7]
	v_cmp_gt_i32_e32 vcc, s65, v6
	s_mov_b64 s[6:7], -1
	s_and_saveexec_b64 s[28:29], vcc
; %bb.81:                               ;   in Loop: Header=BB9_14 Depth=1
	v_cmp_eq_u32_e32 vcc, 0, v6
	s_orn2_b64 s[6:7], vcc, exec
; %bb.82:                               ;   in Loop: Header=BB9_14 Depth=1
	s_or_b64 exec, exec, s[28:29]
	s_and_b64 exec, exec, s[6:7]
	s_cbranch_execz .LBB9_110
; %bb.83:                               ;   in Loop: Header=BB9_14 Depth=1
	v_add_u32_e32 v1, s81, v117
	v_cmp_gt_i32_e32 vcc, s56, v1
	v_mov_b32_e32 v6, 0x47
	s_and_saveexec_b64 s[6:7], vcc
	s_cbranch_execz .LBB9_85
; %bb.84:                               ;   in Loop: Header=BB9_14 Depth=1
	v_add_u32_e32 v6, 0, v129
	v_add_u32_e32 v10, 0xa0, v6
	v_add_u32_e32 v12, v139, v129
	ds_read2st64_b32 v[6:7], v10 offset1:11
	ds_read2st64_b32 v[8:9], v12 offset1:11
	ds_read2st64_b32 v[10:11], v10 offset0:22 offset1:33
	ds_read2st64_b32 v[12:13], v12 offset0:22 offset1:33
	v_readlane_b32 s28, v172, 44
	s_waitcnt lgkmcnt(2)
	v_cvt_f32_f16_e32 v16, v8
	v_cvt_f32_f16_sdwa v17, v8 dst_sel:DWORD dst_unused:UNUSED_PAD src0_sel:WORD_1
	v_cvt_f32_f16_e32 v8, v9
	v_cvt_f32_f16_sdwa v9, v9 dst_sel:DWORD dst_unused:UNUSED_PAD src0_sel:WORD_1
	v_mad_u64_u32 v[14:15], s[28:29], v1, s28, v[34:35]
	v_pk_fma_f32 v[16:17], v[6:7], v[16:17], 0 op_sel_hi:[0,1,0]
	v_mov_b32_e32 v6, v7
	v_pk_fma_f32 v[6:7], v[6:7], v[8:9], v[16:17] op_sel_hi:[0,1,1]
	s_waitcnt lgkmcnt(0)
	v_cvt_f32_f16_e32 v8, v12
	v_cvt_f32_f16_sdwa v9, v12 dst_sel:DWORD dst_unused:UNUSED_PAD src0_sel:WORD_1
	v_ashrrev_i32_e32 v15, 31, v14
	v_lshl_add_u64 v[14:15], v[14:15], 3, s[86:87]
	v_pk_fma_f32 v[6:7], v[10:11], v[8:9], v[6:7] op_sel_hi:[0,1,1]
	v_cvt_f32_f16_e32 v8, v13
	v_cvt_f32_f16_sdwa v9, v13 dst_sel:DWORD dst_unused:UNUSED_PAD src0_sel:WORD_1
	v_mov_b32_e32 v10, v11
	v_pk_fma_f32 v[6:7], v[10:11], v[8:9], v[6:7] op_sel_hi:[0,1,1]
	global_store_dwordx2 v[14:15], v[6:7], off
	v_mov_b32_e32 v6, 0
.LBB9_85:                               ;   in Loop: Header=BB9_14 Depth=1
	s_or_b64 exec, exec, s[6:7]
	v_cmp_gt_i32_e32 vcc, s65, v6
	s_mov_b64 s[6:7], -1
	s_and_saveexec_b64 s[28:29], vcc
; %bb.86:                               ;   in Loop: Header=BB9_14 Depth=1
	v_cmp_eq_u32_e32 vcc, 0, v6
	s_orn2_b64 s[6:7], vcc, exec
; %bb.87:                               ;   in Loop: Header=BB9_14 Depth=1
	s_or_b64 exec, exec, s[28:29]
	s_and_b64 exec, exec, s[6:7]
	;; [unrolled: 48-line block ×4, first 2 shown]
	s_cbranch_execz .LBB9_110
; %bb.98:                               ;   in Loop: Header=BB9_14 Depth=1
	v_add_u32_e32 v1, s81, v120
	v_cmp_gt_i32_e32 vcc, s56, v1
	v_mov_b32_e32 v6, 0x47
	s_and_saveexec_b64 s[6:7], vcc
	s_cbranch_execz .LBB9_100
; %bb.99:                               ;   in Loop: Header=BB9_14 Depth=1
	v_add_u32_e32 v6, 0, v132
	v_add_u32_e32 v10, 0xa0, v6
	;; [unrolled: 1-line block ×3, first 2 shown]
	ds_read2st64_b32 v[6:7], v10 offset1:11
	ds_read2st64_b32 v[8:9], v12 offset1:11
	ds_read2st64_b32 v[10:11], v10 offset0:22 offset1:33
	ds_read2st64_b32 v[12:13], v12 offset0:22 offset1:33
	v_readlane_b32 s28, v172, 44
	s_waitcnt lgkmcnt(2)
	v_cvt_f32_f16_e32 v16, v8
	v_cvt_f32_f16_sdwa v17, v8 dst_sel:DWORD dst_unused:UNUSED_PAD src0_sel:WORD_1
	v_cvt_f32_f16_e32 v8, v9
	v_cvt_f32_f16_sdwa v9, v9 dst_sel:DWORD dst_unused:UNUSED_PAD src0_sel:WORD_1
	v_mad_u64_u32 v[14:15], s[28:29], v1, s28, v[34:35]
	v_pk_fma_f32 v[16:17], v[6:7], v[16:17], 0 op_sel_hi:[0,1,0]
	v_mov_b32_e32 v6, v7
	v_pk_fma_f32 v[6:7], v[6:7], v[8:9], v[16:17] op_sel_hi:[0,1,1]
	s_waitcnt lgkmcnt(0)
	v_cvt_f32_f16_e32 v8, v12
	v_cvt_f32_f16_sdwa v9, v12 dst_sel:DWORD dst_unused:UNUSED_PAD src0_sel:WORD_1
	v_ashrrev_i32_e32 v15, 31, v14
	v_lshl_add_u64 v[14:15], v[14:15], 3, s[86:87]
	v_pk_fma_f32 v[6:7], v[10:11], v[8:9], v[6:7] op_sel_hi:[0,1,1]
	v_cvt_f32_f16_e32 v8, v13
	v_cvt_f32_f16_sdwa v9, v13 dst_sel:DWORD dst_unused:UNUSED_PAD src0_sel:WORD_1
	v_mov_b32_e32 v10, v11
	v_pk_fma_f32 v[6:7], v[10:11], v[8:9], v[6:7] op_sel_hi:[0,1,1]
	global_store_dwordx2 v[14:15], v[6:7], off
	v_mov_b32_e32 v6, 0
.LBB9_100:                              ;   in Loop: Header=BB9_14 Depth=1
	s_or_b64 exec, exec, s[6:7]
	v_cmp_gt_i32_e32 vcc, s65, v6
	s_mov_b64 s[6:7], -1
	s_and_saveexec_b64 s[28:29], vcc
; %bb.101:                              ;   in Loop: Header=BB9_14 Depth=1
	v_cmp_eq_u32_e32 vcc, 0, v6
	s_orn2_b64 s[6:7], vcc, exec
; %bb.102:                              ;   in Loop: Header=BB9_14 Depth=1
	s_or_b64 exec, exec, s[28:29]
	s_and_b64 exec, exec, s[6:7]
	s_cbranch_execz .LBB9_110
; %bb.103:                              ;   in Loop: Header=BB9_14 Depth=1
	v_add_u32_e32 v1, s81, v121
	v_cmp_gt_i32_e32 vcc, s56, v1
	v_mov_b32_e32 v6, 0x47
	s_and_saveexec_b64 s[6:7], vcc
	s_cbranch_execz .LBB9_105
; %bb.104:                              ;   in Loop: Header=BB9_14 Depth=1
	v_add_u32_e32 v6, 0, v133
	v_add_u32_e32 v10, 0xa0, v6
	;; [unrolled: 1-line block ×3, first 2 shown]
	ds_read2st64_b32 v[6:7], v10 offset1:11
	ds_read2st64_b32 v[8:9], v12 offset1:11
	ds_read2st64_b32 v[10:11], v10 offset0:22 offset1:33
	ds_read2st64_b32 v[12:13], v12 offset0:22 offset1:33
	v_readlane_b32 s28, v172, 44
	s_waitcnt lgkmcnt(2)
	v_cvt_f32_f16_e32 v16, v8
	v_cvt_f32_f16_sdwa v17, v8 dst_sel:DWORD dst_unused:UNUSED_PAD src0_sel:WORD_1
	v_cvt_f32_f16_e32 v8, v9
	v_cvt_f32_f16_sdwa v9, v9 dst_sel:DWORD dst_unused:UNUSED_PAD src0_sel:WORD_1
	v_mad_u64_u32 v[14:15], s[28:29], v1, s28, v[34:35]
	v_pk_fma_f32 v[16:17], v[6:7], v[16:17], 0 op_sel_hi:[0,1,0]
	v_mov_b32_e32 v6, v7
	v_pk_fma_f32 v[6:7], v[6:7], v[8:9], v[16:17] op_sel_hi:[0,1,1]
	s_waitcnt lgkmcnt(0)
	v_cvt_f32_f16_e32 v8, v12
	v_cvt_f32_f16_sdwa v9, v12 dst_sel:DWORD dst_unused:UNUSED_PAD src0_sel:WORD_1
	v_ashrrev_i32_e32 v15, 31, v14
	v_lshl_add_u64 v[14:15], v[14:15], 3, s[86:87]
	v_pk_fma_f32 v[6:7], v[10:11], v[8:9], v[6:7] op_sel_hi:[0,1,1]
	v_cvt_f32_f16_e32 v8, v13
	v_cvt_f32_f16_sdwa v9, v13 dst_sel:DWORD dst_unused:UNUSED_PAD src0_sel:WORD_1
	v_mov_b32_e32 v10, v11
	v_pk_fma_f32 v[6:7], v[10:11], v[8:9], v[6:7] op_sel_hi:[0,1,1]
	global_store_dwordx2 v[14:15], v[6:7], off
	v_mov_b32_e32 v6, 0
.LBB9_105:                              ;   in Loop: Header=BB9_14 Depth=1
	s_or_b64 exec, exec, s[6:7]
	v_cmp_gt_i32_e32 vcc, s65, v6
	s_mov_b64 s[6:7], -1
	s_and_saveexec_b64 s[28:29], vcc
; %bb.106:                              ;   in Loop: Header=BB9_14 Depth=1
	v_cmp_eq_u32_e32 vcc, 0, v6
	s_orn2_b64 s[6:7], vcc, exec
; %bb.107:                              ;   in Loop: Header=BB9_14 Depth=1
	s_or_b64 exec, exec, s[28:29]
	s_and_b64 exec, exec, s[6:7]
	s_cbranch_execz .LBB9_110
; %bb.108:                              ;   in Loop: Header=BB9_14 Depth=1
	v_add_u32_e32 v1, s81, v122
	v_cmp_gt_i32_e32 vcc, s56, v1
	s_and_b64 exec, exec, vcc
	s_cbranch_execz .LBB9_110
; %bb.109:                              ;   in Loop: Header=BB9_14 Depth=1
	v_add_u32_e32 v6, 0, v134
	v_add_u32_e32 v10, 0xa0, v6
	;; [unrolled: 1-line block ×3, first 2 shown]
	ds_read2st64_b32 v[6:7], v10 offset1:11
	ds_read2st64_b32 v[8:9], v12 offset1:11
	ds_read2st64_b32 v[10:11], v10 offset0:22 offset1:33
	ds_read2st64_b32 v[12:13], v12 offset0:22 offset1:33
	v_readlane_b32 s6, v172, 44
	s_waitcnt lgkmcnt(2)
	v_cvt_f32_f16_e32 v16, v8
	v_cvt_f32_f16_sdwa v17, v8 dst_sel:DWORD dst_unused:UNUSED_PAD src0_sel:WORD_1
	v_cvt_f32_f16_e32 v8, v9
	v_cvt_f32_f16_sdwa v9, v9 dst_sel:DWORD dst_unused:UNUSED_PAD src0_sel:WORD_1
	v_mad_u64_u32 v[14:15], s[6:7], v1, s6, v[34:35]
	v_pk_fma_f32 v[16:17], v[6:7], v[16:17], 0 op_sel_hi:[0,1,0]
	v_mov_b32_e32 v6, v7
	v_pk_fma_f32 v[6:7], v[6:7], v[8:9], v[16:17] op_sel_hi:[0,1,1]
	s_waitcnt lgkmcnt(0)
	v_cvt_f32_f16_e32 v8, v12
	v_cvt_f32_f16_sdwa v9, v12 dst_sel:DWORD dst_unused:UNUSED_PAD src0_sel:WORD_1
	v_ashrrev_i32_e32 v15, 31, v14
	v_lshl_add_u64 v[14:15], v[14:15], 3, s[86:87]
	v_pk_fma_f32 v[6:7], v[10:11], v[8:9], v[6:7] op_sel_hi:[0,1,1]
	v_cvt_f32_f16_e32 v8, v13
	v_cvt_f32_f16_sdwa v9, v13 dst_sel:DWORD dst_unused:UNUSED_PAD src0_sel:WORD_1
	v_mov_b32_e32 v10, v11
	v_pk_fma_f32 v[6:7], v[10:11], v[8:9], v[6:7] op_sel_hi:[0,1,1]
	global_store_dwordx2 v[14:15], v[6:7], off
.LBB9_110:                              ;   in Loop: Header=BB9_14 Depth=1
	s_or_b64 exec, exec, s[26:27]
	v_add_u32_e32 v6, s81, v115
	v_cmp_gt_i32_e32 vcc, s56, v6
	v_mov_b32_e32 v1, 0x47
	s_and_saveexec_b64 s[6:7], vcc
	s_cbranch_execz .LBB9_112
; %bb.111:                              ;   in Loop: Header=BB9_14 Depth=1
	v_add_u32_e32 v1, 0, v135
	v_add_u32_e32 v7, v126, v135
	;; [unrolled: 1-line block ×4, first 2 shown]
	ds_read2st64_b32 v[8:9], v1 offset1:11
	ds_read2st64_b32 v[10:11], v7 offset1:11
	ds_read2st64_b32 v[12:13], v1 offset0:22 offset1:33
	ds_read2st64_b32 v[14:15], v7 offset0:22 offset1:33
	v_readlane_b32 s26, v172, 44
	v_mov_b32_e32 v1, 0
	s_waitcnt lgkmcnt(2)
	v_cvt_f32_f16_e32 v16, v10
	v_cvt_f32_f16_sdwa v17, v10 dst_sel:DWORD dst_unused:UNUSED_PAD src0_sel:WORD_1
	v_cvt_f32_f16_e32 v10, v11
	v_cvt_f32_f16_sdwa v11, v11 dst_sel:DWORD dst_unused:UNUSED_PAD src0_sel:WORD_1
	v_mul_lo_u32 v6, v6, s26
	v_pk_fma_f32 v[16:17], v[8:9], v[16:17], 0 op_sel_hi:[0,1,0]
	v_mov_b32_e32 v8, v9
	v_pk_fma_f32 v[8:9], v[8:9], v[10:11], v[16:17] op_sel_hi:[0,1,1]
	s_waitcnt lgkmcnt(0)
	v_cvt_f32_f16_e32 v10, v14
	v_cvt_f32_f16_sdwa v11, v14 dst_sel:DWORD dst_unused:UNUSED_PAD src0_sel:WORD_1
	v_ashrrev_i32_e32 v7, 31, v6
	v_lshl_add_u64 v[6:7], v[6:7], 0, v[36:37]
	v_lshl_add_u64 v[6:7], v[6:7], 3, s[86:87]
	v_pk_fma_f32 v[8:9], v[12:13], v[10:11], v[8:9] op_sel_hi:[0,1,1]
	v_cvt_f32_f16_e32 v10, v15
	v_cvt_f32_f16_sdwa v11, v15 dst_sel:DWORD dst_unused:UNUSED_PAD src0_sel:WORD_1
	v_mov_b32_e32 v12, v13
	v_pk_fma_f32 v[8:9], v[12:13], v[10:11], v[8:9] op_sel_hi:[0,1,1]
	global_store_dwordx2 v[6:7], v[8:9], off offset:256
.LBB9_112:                              ;   in Loop: Header=BB9_14 Depth=1
	s_or_b64 exec, exec, s[6:7]
	v_cmp_gt_i32_e32 vcc, s65, v1
	s_mov_b64 s[6:7], -1
	s_and_saveexec_b64 s[26:27], vcc
; %bb.113:                              ;   in Loop: Header=BB9_14 Depth=1
	v_cmp_eq_u32_e32 vcc, 0, v1
	s_orn2_b64 s[6:7], vcc, exec
; %bb.114:                              ;   in Loop: Header=BB9_14 Depth=1
	s_or_b64 exec, exec, s[26:27]
	s_and_b64 exec, exec, s[6:7]
	s_cbranch_execz .LBB9_117
; %bb.115:                              ;   in Loop: Header=BB9_14 Depth=1
	v_add_u32_e32 v1, s81, v123
	v_cmp_gt_i32_e32 vcc, s56, v1
	s_and_b64 exec, exec, vcc
	s_cbranch_execz .LBB9_117
; %bb.116:                              ;   in Loop: Header=BB9_14 Depth=1
	v_readlane_b32 s6, v172, 44
	v_add_u32_e32 v7, v126, v136
	v_add_u32_e32 v7, 0x80, v7
	v_mul_lo_u32 v6, v1, s6
	v_add_u32_e32 v1, 0, v136
	v_add_u32_e32 v1, 0xa0, v1
	ds_read2st64_b32 v[8:9], v1 offset1:11
	ds_read2st64_b32 v[10:11], v7 offset1:11
	ds_read2st64_b32 v[12:13], v1 offset0:22 offset1:33
	ds_read2st64_b32 v[14:15], v7 offset0:22 offset1:33
	v_ashrrev_i32_e32 v7, 31, v6
	v_lshl_add_u64 v[6:7], v[6:7], 0, v[36:37]
	s_waitcnt lgkmcnt(2)
	v_cvt_f32_f16_e32 v16, v10
	v_cvt_f32_f16_sdwa v17, v10 dst_sel:DWORD dst_unused:UNUSED_PAD src0_sel:WORD_1
	v_cvt_f32_f16_e32 v10, v11
	v_cvt_f32_f16_sdwa v11, v11 dst_sel:DWORD dst_unused:UNUSED_PAD src0_sel:WORD_1
	v_lshl_add_u64 v[6:7], v[6:7], 3, s[86:87]
	v_pk_fma_f32 v[16:17], v[8:9], v[16:17], 0 op_sel_hi:[0,1,0]
	v_mov_b32_e32 v8, v9
	v_pk_fma_f32 v[8:9], v[8:9], v[10:11], v[16:17] op_sel_hi:[0,1,1]
	s_waitcnt lgkmcnt(0)
	v_cvt_f32_f16_e32 v10, v14
	v_cvt_f32_f16_sdwa v11, v14 dst_sel:DWORD dst_unused:UNUSED_PAD src0_sel:WORD_1
	v_pk_fma_f32 v[8:9], v[12:13], v[10:11], v[8:9] op_sel_hi:[0,1,1]
	v_cvt_f32_f16_e32 v10, v15
	v_cvt_f32_f16_sdwa v11, v15 dst_sel:DWORD dst_unused:UNUSED_PAD src0_sel:WORD_1
	v_mov_b32_e32 v12, v13
	v_pk_fma_f32 v[8:9], v[12:13], v[10:11], v[8:9] op_sel_hi:[0,1,1]
	global_store_dwordx2 v[6:7], v[8:9], off offset:256
.LBB9_117:                              ;   in Loop: Header=BB9_14 Depth=1
	s_or_b64 exec, exec, s[24:25]
	s_barrier
	s_branch .LBB9_13
.LBB9_118:                              ;   in Loop: Header=BB9_14 Depth=1
	s_lshl_b32 s64, s80, 4
	v_add_u32_e32 v1, s64, v138
	v_cmp_le_i32_e32 vcc, s56, v1
	s_and_saveexec_b64 s[6:7], vcc
	s_xor_b64 s[6:7], exec, s[6:7]
; %bb.119:                              ;   in Loop: Header=BB9_14 Depth=1
	v_add_u32_e32 v1, v139, v149
	ds_write_b32 v1, v41
                                        ; implicit-def: $vgpr1
; %bb.120:                              ;   in Loop: Header=BB9_14 Depth=1
	s_andn2_saveexec_b64 s[6:7], s[6:7]
	s_cbranch_execz .LBB9_122
; %bb.121:                              ;   in Loop: Header=BB9_14 Depth=1
	v_readlane_b32 s24, v172, 17
	s_nop 1
	v_mad_u64_u32 v[6:7], s[24:25], v1, s24, v[34:35]
	v_ashrrev_i32_e32 v7, 31, v6
	v_lshl_add_u64 v[6:7], v[6:7], 3, s[0:1]
	global_load_dwordx2 v[6:7], v[6:7], off
	s_waitcnt vmcnt(0)
	v_cvt_pk_f16_f32 v1, v6, v7
	v_pk_mul_f16 v1, v1, v137
	v_add_u32_e32 v6, v139, v149
	ds_write_b32 v6, v1
.LBB9_122:                              ;   in Loop: Header=BB9_14 Depth=1
	s_or_b64 exec, exec, s[6:7]
	v_add_u32_e32 v1, s64, v150
	v_cmp_le_i32_e32 vcc, s56, v1
	s_and_saveexec_b64 s[6:7], vcc
	s_xor_b64 s[6:7], exec, s[6:7]
; %bb.123:                              ;   in Loop: Header=BB9_14 Depth=1
	v_add_u32_e32 v1, v139, v149
	ds_write_b32 v1, v41 offset:1408
                                        ; implicit-def: $vgpr1
; %bb.124:                              ;   in Loop: Header=BB9_14 Depth=1
	s_andn2_saveexec_b64 s[6:7], s[6:7]
	s_cbranch_execz .LBB9_126
; %bb.125:                              ;   in Loop: Header=BB9_14 Depth=1
	v_readlane_b32 s24, v172, 17
	s_nop 1
	v_mad_u64_u32 v[6:7], s[24:25], v1, s24, v[34:35]
	v_ashrrev_i32_e32 v7, 31, v6
	v_lshl_add_u64 v[6:7], v[6:7], 3, s[0:1]
	global_load_dwordx2 v[6:7], v[6:7], off
	s_waitcnt vmcnt(0)
	v_cvt_pk_f16_f32 v1, v6, v7
	v_pk_mul_f16 v1, v1, v137
	v_add_u32_e32 v6, v139, v149
	ds_write_b32 v6, v1 offset:1408
.LBB9_126:                              ;   in Loop: Header=BB9_14 Depth=1
	s_or_b64 exec, exec, s[6:7]
	s_mov_b64 s[6:7], exec
	v_readlane_b32 s24, v172, 35
	v_readlane_b32 s25, v172, 36
	s_and_b64 s[24:25], s[6:7], s[24:25]
	s_mov_b64 exec, s[24:25]
	s_cbranch_execz .LBB9_131
; %bb.127:                              ;   in Loop: Header=BB9_14 Depth=1
	v_or_b32_e32 v1, s64, v43
	v_cmp_le_i32_e32 vcc, s56, v1
	s_and_saveexec_b64 s[24:25], vcc
	s_xor_b64 s[24:25], exec, s[24:25]
; %bb.128:                              ;   in Loop: Header=BB9_14 Depth=1
	ds_write_b32 v100, v41 offset:128
                                        ; implicit-def: $vgpr1
; %bb.129:                              ;   in Loop: Header=BB9_14 Depth=1
	s_andn2_saveexec_b64 s[24:25], s[24:25]
	s_cbranch_execz .LBB9_131
; %bb.130:                              ;   in Loop: Header=BB9_14 Depth=1
	v_readlane_b32 s24, v172, 17
	s_nop 1
	v_mul_lo_u32 v6, v1, s24
	v_ashrrev_i32_e32 v7, 31, v6
	v_lshl_add_u64 v[6:7], v[6:7], 0, v[36:37]
	v_lshl_add_u64 v[6:7], v[6:7], 3, s[0:1]
	global_load_dwordx2 v[6:7], v[6:7], off offset:256
	s_waitcnt vmcnt(0)
	v_cvt_pk_f16_f32 v1, v6, v7
	v_pk_mul_f16 v1, v1, v137
	ds_write_b32 v100, v1 offset:128
.LBB9_131:                              ;   in Loop: Header=BB9_14 Depth=1
	s_or_b64 exec, exec, s[6:7]
	s_waitcnt lgkmcnt(0)
	s_barrier
	ds_read2_b64 v[10:13], v101 offset1:4
	ds_read2_b64 v[6:9], v101 offset0:8 offset1:12
	ds_read_b64 v[26:27], v101 offset:128
	s_cmp_lt_i32 s88, 2
	s_waitcnt lgkmcnt(0)
	s_barrier
	s_cbranch_scc1 .LBB9_144
; %bb.132:                              ;   in Loop: Header=BB9_14 Depth=1
	v_add_u32_e32 v1, s64, v45
	v_mul_hi_u32 v14, s70, v1
	v_add_u32_e32 v14, v1, v14
	v_lshrrev_b32_e32 v14, s71, v14
	v_mul_lo_u32 v14, v14, s56
	v_sub_u32_e32 v1, v1, v14
	v_add_u32_e32 v14, s64, v140
	v_mul_hi_u32 v15, s70, v14
	v_add_u32_e32 v15, v14, v15
	v_lshrrev_b32_e32 v15, s71, v15
	v_mul_lo_u32 v15, v15, s56
	v_sub_u32_e32 v16, v14, v15
	v_add_u32_e32 v14, s64, v142
	v_mul_hi_u32 v15, s70, v14
	v_add_u32_e32 v15, v14, v15
	v_lshrrev_b32_e32 v15, s71, v15
	v_mul_lo_u32 v15, v15, s56
	v_sub_u32_e32 v17, v14, v15
	v_add_u32_e32 v14, s64, v144
	v_mul_hi_u32 v15, s70, v14
	v_add_u32_e32 v15, v14, v15
	v_lshrrev_b32_e32 v15, s71, v15
	v_mul_lo_u32 v15, v15, s56
	v_sub_u32_e32 v18, v14, v15
	v_and_b32_e32 v14, 64, v155
	v_add_u32_e32 v14, 64, v14
	v_xor_b32_e32 v15, 32, v155
	s_add_i32 s26, s88, -1
	v_cmp_lt_i32_e32 vcc, v15, v14
	s_cmp_lg_u64 s[78:79], 0
	s_cselect_b64 s[0:1], -1, 0
	v_cndmask_b32_e32 v15, v155, v15, vcc
	v_lshlrev_b32_e32 v40, 2, v15
	v_xor_b32_e32 v15, 16, v155
	s_add_u32 s4, s4, s5
	v_cmp_lt_i32_e32 vcc, v15, v14
	s_addc_u32 s5, s90, s74
	v_readlane_b32 s6, v172, 58
	v_cndmask_b32_e32 v14, v155, v15, vcc
	v_lshl_add_u64 v[82:83], v[62:63], 0, s[4:5]
	v_lshl_add_u64 v[84:85], v[68:69], 0, s[4:5]
	;; [unrolled: 1-line block ×3, first 2 shown]
	s_add_u32 s4, s85, s33
	v_lshlrev_b32_e32 v158, 2, v14
	v_mov_b64_e32 v[14:15], s[78:79]
	v_readlane_b32 s7, v172, 59
	s_mov_b32 s24, s6
	s_addc_u32 s5, s84, s67
	v_mov_b32_e32 v28, v76
	v_mov_b32_e32 v29, v76
	v_mad_i64_i32 v[30:31], s[6:7], s24, v1, v[14:15]
	v_mad_i64_i32 v[32:33], s[6:7], s24, v16, v[14:15]
	;; [unrolled: 1-line block ×4, first 2 shown]
	v_lshl_add_u64 v[88:89], v[72:73], 0, s[4:5]
	v_lshl_add_u64 v[90:91], v[74:75], 0, s[4:5]
	;; [unrolled: 1-line block ×3, first 2 shown]
	v_mov_b32_e32 v94, 0
	v_mov_b32_e32 v23, 0xfeffffff
	;; [unrolled: 1-line block ×3, first 2 shown]
	s_mov_b32 s4, s26
	v_mov_b32_e32 v95, 0
	v_mov_b32_e32 v161, 0
	;; [unrolled: 1-line block ×9, first 2 shown]
	v_cndmask_b32_e64 v1, 0, 1, s[0:1]
	v_cmp_ne_u32_e64 s[24:25], 1, v1
	s_andn2_b64 vcc, exec, s[0:1]
	s_cbranch_vccnz .LBB9_136
.LBB9_133:                              ;   in Loop: Header=BB9_14 Depth=1
	v_mov_b32_e32 v1, 0
	v_mov_b32_e32 v14, 0
	;; [unrolled: 1-line block ×4, first 2 shown]
	s_and_saveexec_b64 s[6:7], s[36:37]
	s_cbranch_execz .LBB9_135
; %bb.134:                              ;   in Loop: Header=BB9_14 Depth=1
	v_lshl_add_u64 v[14:15], v[30:31], 0, v[48:49]
	global_load_ushort v1, v[14:15], off
	v_lshl_add_u64 v[14:15], v[32:33], 0, v[48:49]
	v_lshl_add_u64 v[16:17], v[78:79], 0, v[48:49]
	global_load_ushort v14, v[14:15], off
	s_nop 0
	global_load_ushort v15, v[16:17], off
	v_lshl_add_u64 v[16:17], v[80:81], 0, v[48:49]
	global_load_ushort v16, v[16:17], off
.LBB9_135:                              ;   in Loop: Header=BB9_14 Depth=1
	s_or_b64 exec, exec, s[6:7]
	s_waitcnt vmcnt(3)
	ds_write_b16 v124, v1 offset:11264
	s_waitcnt vmcnt(2)
	ds_write_b16 v141, v14 offset:11264
	;; [unrolled: 2-line block ×4, first 2 shown]
.LBB9_136:                              ;   Parent Loop BB9_14 Depth=1
                                        ; =>  This Inner Loop Header: Depth=2
	scratch_store_dwordx4 off, v[2:5], off
	s_and_saveexec_b64 s[6:7], s[8:9]
	s_cbranch_execz .LBB9_138
; %bb.137:                              ;   in Loop: Header=BB9_136 Depth=2
	global_load_dwordx4 v[14:17], v[92:93], off
	s_waitcnt vmcnt(0)
	ds_write_b128 v107, v[14:17]
.LBB9_138:                              ;   in Loop: Header=BB9_136 Depth=2
	s_or_b64 exec, exec, s[6:7]
	v_lshl_add_u64 v[14:15], v[88:89], 0, v[64:65]
	v_mov_b32_e32 v1, s93
	v_cndmask_b32_e64 v15, v1, v15, s[10:11]
	v_cndmask_b32_e64 v14, v156, v14, s[10:11]
	flat_load_dwordx4 v[14:17], v[14:15]
	v_lshl_add_u64 v[162:163], v[90:91], 0, v[64:65]
	v_cndmask_b32_e64 v163, v1, v163, s[12:13]
	v_cndmask_b32_e64 v162, v156, v162, s[12:13]
	s_and_b64 vcc, exec, s[24:25]
	s_waitcnt vmcnt(0) lgkmcnt(0)
	ds_write_b128 v103, v[14:17]
	flat_load_dwordx4 v[14:17], v[162:163]
	s_waitcnt vmcnt(0) lgkmcnt(0)
	ds_write_b128 v105, v[14:17]
	s_waitcnt lgkmcnt(0)
	s_barrier
	ds_read2_b64 v[14:17], v106 offset1:4
	s_waitcnt lgkmcnt(0)
	v_mfma_f32_16x16x16_f16 v[162:165], v[14:15], v[10:11], 0
	v_mfma_f32_16x16x16_f16 v[14:17], v[16:17], v[12:13], v[162:165]
	s_nop 6
	ds_read2_b64 v[162:165], v106 offset0:8 offset1:12
	s_waitcnt lgkmcnt(0)
	v_mfma_f32_16x16x16_f16 v[14:17], v[162:163], v[6:7], v[14:17]
	ds_read_b64 v[162:163], v106 offset:128
	s_waitcnt lgkmcnt(0)
	s_barrier
	v_mfma_f32_16x16x16_f16 v[14:17], v[164:165], v[8:9], v[14:17]
	v_mfma_f32_16x16x16_f16 v[14:17], v[162:163], v[26:27], v[14:17]
	s_cbranch_vccnz .LBB9_140
; %bb.139:                              ;   in Loop: Header=BB9_136 Depth=2
	v_add_u32_e32 v1, 0x2c00, v109
	ds_read2_b32 v[162:163], v1 offset1:1
	v_mov_b32_e32 v77, v76
	s_waitcnt lgkmcnt(0)
	v_cvt_f32_f16_e32 v164, v162
	v_cvt_f32_f16_e32 v166, v163
	v_cvt_f32_f16_sdwa v167, v163 dst_sel:DWORD dst_unused:UNUSED_PAD src0_sel:WORD_1
	v_cvt_f32_f16_sdwa v165, v162 dst_sel:DWORD dst_unused:UNUSED_PAD src0_sel:WORD_1
	v_pk_fma_f32 v[16:17], v[76:77], v[166:167], v[16:17]
	v_pk_fma_f32 v[14:15], v[28:29], v[164:165], v[14:15]
.LBB9_140:                              ;   in Loop: Header=BB9_136 Depth=2
	s_nop 0
	v_add_f32_e32 v1, 0x40051340, v14
	v_max_f32_e32 v24, v23, v23
	v_max_f32_e32 v1, v24, v1
	v_cndmask_b32_e64 v1, v23, v1, s[14:15]
	v_add_f32_e32 v24, 0x40051340, v15
	v_max_f32_e32 v77, v1, v1
	v_max_f32_e32 v24, v77, v24
	v_cndmask_b32_e64 v1, v1, v24, s[16:17]
	;; [unrolled: 4-line block ×4, first 2 shown]
	ds_bpermute_b32 v24, v40, v1
	v_max_f32_e32 v1, v1, v1
	scratch_store_dwordx4 off, v[2:5], off
	s_waitcnt lgkmcnt(0)
	v_max_f32_e32 v24, v24, v24
	v_max_f32_e32 v1, v1, v24
	ds_bpermute_b32 v24, v158, v1
	s_and_saveexec_b64 s[6:7], s[8:9]
	s_cbranch_execz .LBB9_142
; %bb.141:                              ;   in Loop: Header=BB9_136 Depth=2
	global_load_dwordx4 v[162:165], v[82:83], off
	s_waitcnt vmcnt(0)
	ds_write_b128 v107, v[162:165]
.LBB9_142:                              ;   in Loop: Header=BB9_136 Depth=2
	s_or_b64 exec, exec, s[6:7]
	s_waitcnt lgkmcnt(0)
	v_max_f32_e32 v24, v24, v24
	v_max_f32_e32 v1, v1, v1
	;; [unrolled: 1-line block ×3, first 2 shown]
	v_sub_f32_e32 v1, v14, v157
	v_mul_f32_e32 v14, 0x3fb8aa3b, v1
	v_fma_f32 v24, v1, s68, -v14
	v_rndne_f32_e32 v77, v14
	v_fmac_f32_e32 v24, 0x32a5705f, v1
	v_sub_f32_e32 v14, v14, v77
	v_add_f32_e32 v14, v14, v24
	v_exp_f32_e32 v14, v14
	v_cvt_i32_f32_e32 v24, v77
	v_cmp_ngt_f32_e32 vcc, s69, v1
	v_sub_f32_e32 v16, v16, v157
	v_sub_f32_e32 v17, v17, v157
	v_ldexp_f32 v14, v14, v24
	v_cndmask_b32_e32 v14, 0, v14, vcc
	v_cmp_nlt_f32_e32 vcc, s57, v1
	s_add_i32 s4, s4, -1
	v_lshl_add_u64 v[30:31], v[30:31], 0, s[94:95]
	v_cndmask_b32_e32 v1, v153, v14, vcc
	v_cndmask_b32_e64 v14, 0, v1, s[14:15]
	v_sub_f32_e32 v1, v15, v157
	v_mul_f32_e32 v15, 0x3fb8aa3b, v1
	v_fma_f32 v24, v1, s68, -v15
	v_rndne_f32_e32 v77, v15
	v_fmac_f32_e32 v24, 0x32a5705f, v1
	v_sub_f32_e32 v15, v15, v77
	v_add_f32_e32 v15, v15, v24
	v_exp_f32_e32 v15, v15
	v_cvt_i32_f32_e32 v24, v77
	v_cmp_ngt_f32_e32 vcc, s69, v1
	v_lshl_add_u64 v[32:33], v[32:33], 0, s[94:95]
	v_lshl_add_u64 v[78:79], v[78:79], 0, s[94:95]
	v_ldexp_f32 v15, v15, v24
	v_cndmask_b32_e32 v15, 0, v15, vcc
	v_cmp_nlt_f32_e32 vcc, s57, v1
	v_mov_b32_e32 v1, s91
	v_lshl_add_u64 v[80:81], v[80:81], 0, s[94:95]
	v_cndmask_b32_e32 v15, v153, v15, vcc
	v_add_f32_e32 v24, v15, v14
	v_cndmask_b32_e64 v1, v1, v15, s[16:17]
	v_cndmask_b32_e64 v15, v14, v24, s[16:17]
	v_mul_f32_e32 v24, 0x3fb8aa3b, v16
	v_fma_f32 v77, v16, s68, -v24
	v_rndne_f32_e32 v162, v24
	v_fmac_f32_e32 v77, 0x32a5705f, v16
	v_sub_f32_e32 v24, v24, v162
	v_add_f32_e32 v24, v24, v77
	v_exp_f32_e32 v24, v24
	v_cvt_i32_f32_e32 v77, v162
	v_cmp_ngt_f32_e32 vcc, s69, v16
	v_lshl_add_u64 v[82:83], v[82:83], 0, s[96:97]
	v_lshl_add_u64 v[88:89], v[88:89], 0, s[98:99]
	v_ldexp_f32 v24, v24, v77
	v_cndmask_b32_e32 v24, 0, v24, vcc
	v_cmp_nlt_f32_e32 vcc, s57, v16
	v_mov_b32_e32 v16, s91
	v_lshl_add_u64 v[90:91], v[90:91], 0, s[98:99]
	v_cndmask_b32_e32 v24, v153, v24, vcc
	v_add_f32_e32 v77, v15, v24
	v_cndmask_b32_e64 v16, v16, v24, s[18:19]
	v_mul_f32_e32 v24, 0x3fb8aa3b, v17
	v_cndmask_b32_e64 v15, v15, v77, s[18:19]
	v_fma_f32 v77, v17, s68, -v24
	v_rndne_f32_e32 v162, v24
	v_fmac_f32_e32 v77, 0x32a5705f, v17
	v_sub_f32_e32 v24, v24, v162
	v_add_f32_e32 v24, v24, v77
	v_exp_f32_e32 v24, v24
	v_cvt_i32_f32_e32 v77, v162
	v_cmp_ngt_f32_e32 vcc, s69, v17
	v_lshl_add_u64 v[92:93], v[92:93], 0, s[98:99]
	s_cmp_lg_u32 s4, 0
	v_ldexp_f32 v24, v24, v77
	v_cndmask_b32_e32 v24, 0, v24, vcc
	v_cmp_nlt_f32_e32 vcc, s57, v17
	s_nop 1
	v_cndmask_b32_e32 v164, v153, v24, vcc
	v_add_f32_e32 v17, v15, v164
	v_cndmask_b32_e64 v77, v15, v17, s[20:21]
	v_sub_f32_e32 v15, v23, v157
	v_mul_f32_e32 v17, 0x3fb8aa3b, v15
	v_fma_f32 v23, v15, s68, -v17
	v_rndne_f32_e32 v24, v17
	v_fmac_f32_e32 v23, 0x32a5705f, v15
	v_sub_f32_e32 v17, v17, v24
	v_add_f32_e32 v17, v17, v23
	v_exp_f32_e32 v17, v17
	v_cvt_i32_f32_e32 v23, v24
	v_cmp_ngt_f32_e32 vcc, s69, v15
	v_ldexp_f32 v17, v17, v23
	s_nop 0
	v_cndmask_b32_e32 v17, 0, v17, vcc
	v_cmp_nlt_f32_e32 vcc, s57, v15
	s_nop 1
	v_cndmask_b32_e32 v17, v153, v17, vcc
	v_cmp_le_f32_e32 vcc, s22, v15
	s_nop 1
	v_cndmask_b32_e32 v15, 0, v17, vcc
	v_fmac_f32_e32 v77, v22, v15
	v_cvt_f16_f32_e32 v15, v15
	v_mul_u32_u24_e32 v165, 0x10001, v15
	v_pk_mul_f16 v15, v160, v165
	v_pk_mul_f16 v160, v19, v165
	v_mov_b32_e32 v19, s91
	v_pk_mul_f16 v17, v161, v165
	v_pk_mul_f16 v23, v159, v165
	;; [unrolled: 1-line block ×5, first 2 shown]
	v_cndmask_b32_e64 v18, v19, v164, s[20:21]
	v_lshl_add_u64 v[20:21], v[84:85], 0, v[64:65]
	v_mov_b32_e32 v19, s93
	v_cndmask_b32_e64 v21, v19, v21, s[10:11]
	v_cndmask_b32_e64 v20, v156, v20, s[10:11]
	v_pk_mul_f16 v163, v94, v165
	v_pk_mul_f16 v24, v95, v165
	;; [unrolled: 1-line block ×3, first 2 shown]
	flat_load_dwordx4 v[164:167], v[20:21]
	v_lshl_add_u64 v[20:21], v[86:87], 0, v[64:65]
	v_cndmask_b32_e64 v21, v19, v21, s[12:13]
	v_cndmask_b32_e64 v20, v156, v20, s[12:13]
	v_cvt_pk_f16_f32 v95, v16, v18
	v_cvt_pk_f16_f32 v94, v14, v1
	v_cvt_f32_f16_e32 v18, v15
	v_cvt_f32_f16_sdwa v19, v15 dst_sel:DWORD dst_unused:UNUSED_PAD src0_sel:WORD_1
	v_lshl_add_u64 v[84:85], v[84:85], 0, s[96:97]
	v_lshl_add_u64 v[86:87], v[86:87], 0, s[96:97]
	s_waitcnt vmcnt(0) lgkmcnt(0)
	ds_write_b128 v103, v[164:167]
	flat_load_dwordx4 v[164:167], v[20:21]
	s_waitcnt vmcnt(0) lgkmcnt(0)
	ds_write_b128 v105, v[164:167]
	s_waitcnt lgkmcnt(0)
	s_barrier
	ds_read_u16 v1, v110 offset:176
	ds_read_u16 v14, v111
	ds_read_u16 v25, v111 offset:32
	ds_read_u16 v16, v112
	ds_read_u16 v164, v112 offset:32
	v_cvt_f32_f16_sdwa v167, v22 dst_sel:DWORD dst_unused:UNUSED_PAD src0_sel:WORD_1
	s_waitcnt lgkmcnt(1)
	v_perm_b32 v21, v16, v14, s23
	ds_read_u16 v14, v110
	ds_read_u16 v166, v110 offset:32
	v_cvt_f32_f16_e32 v16, v17
	v_cvt_f32_f16_sdwa v17, v17 dst_sel:DWORD dst_unused:UNUSED_PAD src0_sel:WORD_1
	s_waitcnt lgkmcnt(2)
	v_perm_b32 v165, v164, v25, s23
	s_waitcnt lgkmcnt(1)
	v_perm_b32 v20, v1, v14, s23
	ds_read_u16 v1, v110 offset:208
	s_waitcnt lgkmcnt(0)
	v_perm_b32 v164, v1, v166, s23
	v_mfma_f32_16x16x16_f16 v[14:17], v[20:21], v[94:95], v[16:19]
	v_cvt_f32_f16_e32 v20, v24
	v_cvt_f32_f16_sdwa v21, v24 dst_sel:DWORD dst_unused:UNUSED_PAD src0_sel:WORD_1
	v_cvt_f32_f16_e32 v166, v22
	v_cvt_f32_f16_e32 v18, v163
	v_cvt_f32_f16_sdwa v19, v163 dst_sel:DWORD dst_unused:UNUSED_PAD src0_sel:WORD_1
	ds_read_u16 v1, v110 offset:64
	ds_read_u16 v24, v110 offset:240
	ds_read_u16 v25, v111 offset:64
	ds_read_u16 v163, v112 offset:64
	v_mfma_f32_16x16x16_f16 v[18:21], v[164:165], v[94:95], v[18:21]
	s_waitcnt lgkmcnt(2)
	v_perm_b32 v24, v24, v1, s23
	s_waitcnt lgkmcnt(0)
	v_perm_b32 v25, v163, v25, s23
	v_cvt_f32_f16_e32 v164, v23
	v_cvt_f32_f16_sdwa v165, v23 dst_sel:DWORD dst_unused:UNUSED_PAD src0_sel:WORD_1
	s_nop 1
	v_mfma_f32_16x16x16_f16 v[22:25], v[24:25], v[94:95], v[164:167]
	ds_read_u16 v1, v110 offset:96
	ds_read_u16 v163, v110 offset:272
	s_nop 0
	ds_read_u16 v164, v111 offset:96
	ds_read_u16 v165, v112 offset:96
	v_cvt_f32_f16_e32 v166, v161
	v_cvt_f32_f16_sdwa v167, v161 dst_sel:DWORD dst_unused:UNUSED_PAD src0_sel:WORD_1
	s_waitcnt lgkmcnt(2)
	v_perm_b32 v168, v163, v1, s23
	v_cvt_pk_f16_f32 v25, v24, v25
	s_waitcnt lgkmcnt(0)
	v_perm_b32 v169, v165, v164, s23
	v_cvt_f32_f16_e32 v164, v162
	v_cvt_f32_f16_sdwa v165, v162 dst_sel:DWORD dst_unused:UNUSED_PAD src0_sel:WORD_1
	s_nop 1
	v_mfma_f32_16x16x16_f16 v[162:165], v[168:169], v[94:95], v[164:167]
	ds_read_u16 v1, v110 offset:128
	ds_read_u16 v161, v110 offset:304
	s_nop 0
	ds_read_u16 v166, v111 offset:128
	ds_read_u16 v167, v112 offset:128
	v_cvt_f32_f16_e32 v168, v159
	v_cvt_f32_f16_sdwa v169, v159 dst_sel:DWORD dst_unused:UNUSED_PAD src0_sel:WORD_1
	s_waitcnt lgkmcnt(2)
	v_perm_b32 v170, v161, v1, s23
	v_cvt_pk_f16_f32 v161, v14, v15
	s_waitcnt lgkmcnt(0)
	v_perm_b32 v171, v167, v166, s23
	v_cvt_f32_f16_e32 v166, v160
	v_cvt_f32_f16_sdwa v167, v160 dst_sel:DWORD dst_unused:UNUSED_PAD src0_sel:WORD_1
	v_cvt_pk_f16_f32 v160, v16, v17
	v_cvt_pk_f16_f32 v159, v22, v23
	v_mfma_f32_16x16x16_f16 v[166:169], v[170:171], v[94:95], v[166:169]
	v_cvt_pk_f16_f32 v94, v18, v19
	v_cvt_pk_f16_f32 v95, v20, v21
	;; [unrolled: 1-line block ×4, first 2 shown]
	s_nop 3
	v_cvt_pk_f16_f32 v19, v166, v167
	v_cvt_pk_f16_f32 v18, v168, v169
	s_barrier
	s_cbranch_scc0 .LBB9_145
; %bb.143:                              ;   in Loop: Header=BB9_136 Depth=2
	v_mov_b32_e32 v22, v77
	v_mov_b32_e32 v23, v157
	v_cndmask_b32_e64 v1, 0, 1, s[0:1]
	v_cmp_ne_u32_e64 s[24:25], 1, v1
	s_andn2_b64 vcc, exec, s[0:1]
	s_cbranch_vccz .LBB9_133
	s_branch .LBB9_136
.LBB9_144:                              ;   in Loop: Header=BB9_14 Depth=1
	v_mov_b32_e32 v157, 0xfeffffff
	s_mov_b32 s90, 0
	v_mov_b32_e32 v77, 0
	v_mov_b32_e32 v18, 0
	;; [unrolled: 1-line block ×11, first 2 shown]
	s_branch .LBB9_146
.LBB9_145:                              ;   in Loop: Header=BB9_14 Depth=1
	s_lshl_b32 s90, s26, 6
.LBB9_146:                              ;   in Loop: Header=BB9_14 Depth=1
	v_readlane_b32 s0, v172, 4
	s_sub_i32 s4, s0, s90
	v_readlane_b32 s1, v172, 5
	s_cmp_lg_u64 s[78:79], 0
	s_cselect_b64 s[0:1], -1, 0
	s_cmp_eq_u64 s[78:79], 0
	s_cbranch_scc1 .LBB9_152
; %bb.147:                              ;   in Loop: Header=BB9_14 Depth=1
	v_cmp_le_i32_e32 vcc, s4, v38
	s_and_saveexec_b64 s[6:7], vcc
	s_xor_b64 s[6:7], exec, s[6:7]
	s_cbranch_execz .LBB9_149
; %bb.148:                              ;   in Loop: Header=BB9_14 Depth=1
	ds_write_b16 v124, v41 offset:11264
	ds_write_b16 v141, v41 offset:11264
.LBB9_149:                              ;   in Loop: Header=BB9_14 Depth=1
	s_or_saveexec_b64 s[6:7], s[6:7]
	v_mov_b32_e32 v1, 0
	v_mov_b32_e32 v14, 0
	s_xor_b64 exec, exec, s[6:7]
	s_cbranch_execz .LBB9_151
; %bb.150:                              ;   in Loop: Header=BB9_14 Depth=1
	v_add_u32_e32 v1, s64, v45
	s_lshl_b64 s[24:25], s[90:91], 1
	v_mul_hi_u32 v16, s70, v1
	s_add_u32 s24, s78, s24
	v_add_u32_e32 v16, v1, v16
	s_addc_u32 s25, s79, s25
	v_lshlrev_b32_e32 v40, 1, v38
	v_lshrrev_b32_e32 v16, s71, v16
	v_lshl_add_u64 v[14:15], s[24:25], 0, v[40:41]
	v_mul_lo_u32 v16, v16, s56
	v_readlane_b32 s24, v172, 56
	v_sub_u32_e32 v1, v1, v16
	v_readlane_b32 s25, v172, 57
	s_mov_b32 s26, s24
	v_mad_i64_i32 v[16:17], s[24:25], v1, s26, 0
	v_lshl_add_u64 v[16:17], v[16:17], 1, v[14:15]
	global_load_ushort v1, v[16:17], off
	v_add_u32_e32 v16, s64, v140
	v_mul_hi_u32 v17, s70, v16
	v_add_u32_e32 v17, v16, v17
	v_lshrrev_b32_e32 v17, s71, v17
	v_mul_lo_u32 v17, v17, s56
	v_sub_u32_e32 v16, v16, v17
	v_mad_i64_i32 v[16:17], s[24:25], v16, s26, 0
	v_lshl_add_u64 v[16:17], v[16:17], 1, v[14:15]
	global_load_ushort v16, v[16:17], off
	s_waitcnt vmcnt(1)
	ds_write_b16 v124, v1 offset:11264
	s_waitcnt vmcnt(0)
	ds_write_b16 v141, v16 offset:11264
	v_add_u32_e32 v1, s64, v142
	v_mul_hi_u32 v16, s70, v1
	v_add_u32_e32 v16, v1, v16
	v_lshrrev_b32_e32 v16, s71, v16
	v_mul_lo_u32 v16, v16, s56
	v_sub_u32_e32 v1, v1, v16
	v_mad_i64_i32 v[16:17], s[24:25], v1, s26, 0
	v_lshl_add_u64 v[16:17], v[16:17], 1, v[14:15]
	global_load_ushort v1, v[16:17], off
	v_add_u32_e32 v16, s64, v144
	v_mul_hi_u32 v17, s70, v16
	v_add_u32_e32 v17, v16, v17
	v_lshrrev_b32_e32 v17, s71, v17
	v_mul_lo_u32 v17, v17, s56
	v_sub_u32_e32 v16, v16, v17
	v_mad_i64_i32 v[16:17], s[24:25], v16, s26, 0
	v_lshl_add_u64 v[14:15], v[16:17], 1, v[14:15]
	global_load_ushort v14, v[14:15], off
.LBB9_151:                              ;   in Loop: Header=BB9_14 Depth=1
	s_or_b64 exec, exec, s[6:7]
	s_waitcnt vmcnt(1)
	ds_write_b16 v143, v1 offset:11264
	s_waitcnt vmcnt(0)
	ds_write_b16 v145, v14 offset:11264
.LBB9_152:                              ;   in Loop: Header=BB9_14 Depth=1
	s_mul_i32 s5, s90, s73
	s_mul_hi_u32 s6, s90, s72
	s_add_i32 s7, s6, s5
	s_mul_i32 s6, s90, s72
	s_lshl_b64 s[6:7], s[6:7], 2
	s_add_u32 s6, s77, s6
	s_addc_u32 s7, s89, s7
	scratch_store_dwordx4 off, v[2:5], off
	s_and_saveexec_b64 s[24:25], s[8:9]
	s_cbranch_execz .LBB9_154
; %bb.153:                              ;   in Loop: Header=BB9_14 Depth=1
	v_lshl_add_u64 v[14:15], v[54:55], 2, s[6:7]
	v_lshlrev_b32_e32 v40, 2, v44
	v_lshl_add_u64 v[14:15], v[14:15], 0, v[40:41]
	v_lshl_add_u64 v[14:15], v[14:15], 0, s[94:95]
	v_mov_b32_e32 v1, s93
	v_cmp_gt_i32_e32 vcc, s4, v102
	s_nop 1
	v_cndmask_b32_e32 v15, v1, v15, vcc
	v_cndmask_b32_e32 v14, v156, v14, vcc
	flat_load_dwordx4 v[14:17], v[14:15]
	s_waitcnt vmcnt(0) lgkmcnt(0)
	ds_write_b128 v107, v[14:17]
.LBB9_154:                              ;   in Loop: Header=BB9_14 Depth=1
	s_or_b64 exec, exec, s[24:25]
	v_lshl_add_u64 v[14:15], v[50:51], 2, s[6:7]
	v_lshlrev_b32_e32 v40, 2, v42
	v_lshl_add_u64 v[14:15], v[14:15], 0, v[40:41]
	v_mov_b32_e32 v1, s93
	v_cmp_gt_i32_e64 s[34:35], s4, v43
	v_lshl_add_u64 v[22:23], v[52:53], 2, s[6:7]
	v_lshl_add_u64 v[22:23], v[22:23], 0, v[40:41]
	v_cndmask_b32_e64 v15, v1, v15, s[34:35]
	v_cndmask_b32_e64 v14, v156, v14, s[34:35]
	flat_load_dwordx4 v[14:17], v[14:15]
	v_cmp_gt_i32_e64 s[30:31], s4, v104
	s_andn2_b64 vcc, exec, s[0:1]
	s_waitcnt vmcnt(0) lgkmcnt(0)
	ds_write_b128 v103, v[14:17]
	v_cndmask_b32_e64 v23, v1, v23, s[30:31]
	v_cndmask_b32_e64 v22, v156, v22, s[30:31]
	flat_load_dwordx4 v[14:17], v[22:23]
	s_waitcnt vmcnt(0) lgkmcnt(0)
	ds_write_b128 v105, v[14:17]
	s_waitcnt lgkmcnt(0)
	s_barrier
	ds_read2_b64 v[14:17], v106 offset1:4
	s_waitcnt lgkmcnt(0)
	v_mfma_f32_16x16x16_f16 v[28:31], v[14:15], v[10:11], 0
	v_mfma_f32_16x16x16_f16 v[10:13], v[16:17], v[12:13], v[28:31]
	ds_read2_b64 v[14:17], v106 offset0:8 offset1:12
	s_waitcnt lgkmcnt(0)
	v_mfma_f32_16x16x16_f16 v[10:13], v[14:15], v[6:7], v[10:13]
	v_mfma_f32_16x16x16_f16 v[6:9], v[16:17], v[8:9], v[10:13]
	s_nop 6
	ds_read_b64 v[10:11], v106 offset:128
	s_waitcnt lgkmcnt(0)
	v_mfma_f32_16x16x16_f16 v[6:9], v[10:11], v[26:27], v[6:9]
	s_barrier
	s_cbranch_vccnz .LBB9_156
; %bb.155:                              ;   in Loop: Header=BB9_14 Depth=1
	v_add_u32_e32 v1, 0x2c00, v109
	ds_read2_b32 v[10:11], v1 offset1:1
	s_waitcnt lgkmcnt(0)
	v_cvt_f32_f16_e32 v12, v10
	v_cvt_f32_f16_e32 v14, v11
	v_cvt_f32_f16_sdwa v15, v11 dst_sel:DWORD dst_unused:UNUSED_PAD src0_sel:WORD_1
	v_cvt_f32_f16_sdwa v13, v10 dst_sel:DWORD dst_unused:UNUSED_PAD src0_sel:WORD_1
	v_pk_fma_f32 v[8:9], v[76:77], v[14:15], v[8:9] op_sel_hi:[0,1,1]
	v_pk_fma_f32 v[6:7], v[76:77], v[12:13], v[6:7] op_sel_hi:[0,1,1]
.LBB9_156:                              ;   in Loop: Header=BB9_14 Depth=1
	v_add_f32_e32 v1, 0x40051340, v6
	v_max_f32_e32 v10, v157, v157
	v_max_f32_e32 v1, v10, v1
	v_cmp_gt_u32_e64 s[28:29], s4, v108
	v_add_f32_e32 v10, 0x40051340, v7
	v_cmp_gt_u32_e32 vcc, s4, v146
	v_cndmask_b32_e64 v1, v157, v1, s[28:29]
	v_max_f32_e32 v11, v1, v1
	v_max_f32_e32 v10, v11, v10
	v_cndmask_b32_e32 v1, v1, v10, vcc
	v_add_f32_e32 v10, 0x40051340, v8
	v_max_f32_e32 v11, v1, v1
	v_max_f32_e32 v10, v11, v10
	v_cmp_gt_u32_e64 s[24:25], s4, v147
	v_cmp_gt_u32_e64 s[26:27], s4, v148
	s_mul_i32 s0, s90, s59
	v_cndmask_b32_e64 v1, v1, v10, s[24:25]
	v_add_f32_e32 v10, 0x40051340, v9
	v_max_f32_e32 v11, v1, v1
	v_max_f32_e32 v10, v11, v10
	v_cndmask_b32_e64 v10, v1, v10, s[26:27]
	v_and_b32_e32 v1, 64, v155
	v_add_u32_e32 v11, 64, v1
	v_xor_b32_e32 v1, 32, v155
	v_cmp_lt_i32_e64 s[38:39], v1, v11
	s_mul_hi_u32 s1, s90, s58
	s_add_i32 s1, s1, s0
	v_cndmask_b32_e64 v1, v155, v1, s[38:39]
	v_lshlrev_b32_e32 v1, 2, v1
	ds_bpermute_b32 v12, v1, v10
	v_max_f32_e32 v10, v10, v10
	s_mul_i32 s0, s90, s58
	s_lshl_b64 s[0:1], s[0:1], 2
	s_add_u32 s0, s75, s0
	s_waitcnt lgkmcnt(0)
	v_max_f32_e32 v12, v12, v12
	v_max_f32_e32 v10, v10, v12
	v_xor_b32_e32 v12, 16, v155
	v_cmp_lt_i32_e64 s[38:39], v12, v11
	s_addc_u32 s1, s76, s1
	scratch_store_dwordx4 off, v[2:5], off
	v_cndmask_b32_e64 v11, v155, v12, s[38:39]
	v_lshlrev_b32_e32 v26, 2, v11
	ds_bpermute_b32 v11, v26, v10
	s_and_saveexec_b64 s[6:7], s[8:9]
	s_cbranch_execz .LBB9_158
; %bb.157:                              ;   in Loop: Header=BB9_14 Depth=1
	v_lshl_add_u64 v[12:13], v[56:57], 2, s[0:1]
	v_lshlrev_b32_e32 v14, 2, v44
	v_mov_b32_e32 v15, v41
	v_lshl_add_u64 v[12:13], v[12:13], 0, v[14:15]
	v_lshl_add_u64 v[12:13], v[12:13], 0, s[94:95]
	v_mov_b32_e32 v14, s93
	v_cmp_gt_i32_e64 s[38:39], s4, v102
	s_nop 1
	v_cndmask_b32_e64 v13, v14, v13, s[38:39]
	v_cndmask_b32_e64 v12, v156, v12, s[38:39]
	flat_load_dwordx4 v[12:15], v[12:13]
	s_waitcnt vmcnt(0) lgkmcnt(0)
	ds_write_b128 v107, v[12:15]
.LBB9_158:                              ;   in Loop: Header=BB9_14 Depth=1
	s_or_b64 exec, exec, s[6:7]
	v_lshl_add_u64 v[12:13], v[60:61], 2, s[0:1]
	v_lshl_add_u64 v[12:13], v[12:13], 0, v[40:41]
	v_mov_b32_e32 v16, s93
	v_cndmask_b32_e64 v13, v16, v13, s[34:35]
	v_cndmask_b32_e64 v12, v156, v12, s[34:35]
	flat_load_dwordx4 v[12:15], v[12:13]
	s_waitcnt lgkmcnt(0)
	v_max_f32_e32 v24, v11, v11
	v_max_f32_e32 v27, v10, v10
	;; [unrolled: 1-line block ×3, first 2 shown]
	v_lshl_add_u64 v[22:23], v[58:59], 2, s[0:1]
	v_sub_f32_e32 v27, v6, v24
	v_sub_f32_e32 v28, v7, v24
	v_lshl_add_u64 v[22:23], v[22:23], 0, v[40:41]
	v_sub_f32_e32 v29, v8, v24
	v_sub_f32_e32 v30, v9, v24
	v_mul_f32_e32 v8, 0x3fb8aa3b, v27
	v_mul_f32_e32 v9, 0x3fb8aa3b, v28
	v_cndmask_b32_e64 v7, v16, v23, s[30:31]
	v_cndmask_b32_e64 v6, v156, v22, s[30:31]
	v_rndne_f32_e32 v33, v8
	v_rndne_f32_e32 v76, v9
	v_fma_f32 v32, v27, s68, -v8
	v_fma_f32 v40, v28, s68, -v9
	v_sub_f32_e32 v84, v8, v33
	v_sub_f32_e32 v85, v9, v76
	;; [unrolled: 1-line block ×3, first 2 shown]
	v_mul_f32_e32 v22, 0x3fb8aa3b, v30
	v_mul_f32_e32 v23, 0x3fb8aa3b, v31
	;; [unrolled: 1-line block ×3, first 2 shown]
	v_fma_f32 v80, v30, s68, -v22
	v_rndne_f32_e32 v81, v22
	v_fma_f32 v82, v31, s68, -v23
	v_rndne_f32_e32 v83, v23
	v_fmac_f32_e32 v32, 0x32a5705f, v27
	v_fma_f32 v78, v29, s68, -v16
	v_rndne_f32_e32 v79, v16
	v_fmac_f32_e32 v40, 0x32a5705f, v28
	v_fmac_f32_e32 v80, 0x32a5705f, v30
	;; [unrolled: 1-line block ×3, first 2 shown]
	v_cvt_i32_f32_e32 v33, v33
	v_fmac_f32_e32 v78, 0x32a5705f, v29
	v_sub_f32_e32 v16, v16, v79
	v_cvt_i32_f32_e32 v76, v76
	v_add_f32_e32 v16, v16, v78
	v_cvt_i32_f32_e32 v79, v79
	v_exp_f32_e32 v16, v16
	v_cmp_ngt_f32_e64 s[30:31], s69, v27
	v_mov_b32_e32 v11, s91
	v_mov_b32_e32 v10, s91
	v_ldexp_f32 v16, v16, v79
	v_mov_b32_e32 v17, s91
	s_cmp_lg_u64 s[2:3], 0
	v_readlane_b32 s4, v172, 37
	s_cselect_b64 s[0:1], -1, 0
	v_readlane_b32 s5, v172, 38
	s_and_b64 s[4:5], s[4:5], s[0:1]
	s_waitcnt vmcnt(0)
	ds_write_b128 v103, v[12:15]
	flat_load_dwordx4 v[6:9], v[6:7]
	v_sub_f32_e32 v12, v22, v81
	v_sub_f32_e32 v14, v23, v83
	v_add_f32_e32 v22, v84, v32
	v_add_f32_e32 v23, v85, v40
	;; [unrolled: 1-line block ×4, first 2 shown]
	v_exp_f32_e32 v22, v22
	v_cvt_i32_f32_e32 v13, v81
	v_cvt_i32_f32_e32 v15, v83
	v_exp_f32_e32 v23, v23
	v_exp_f32_e32 v12, v12
	;; [unrolled: 1-line block ×3, first 2 shown]
	v_ldexp_f32 v22, v22, v33
	v_ldexp_f32 v23, v23, v76
	;; [unrolled: 1-line block ×4, first 2 shown]
	v_cndmask_b32_e64 v14, 0, v22, s[30:31]
	v_cmp_ngt_f32_e64 s[30:31], s69, v28
	s_waitcnt vmcnt(0) lgkmcnt(0)
	ds_write_b128 v105, v[6:9]
	v_cndmask_b32_e64 v15, 0, v23, s[30:31]
	v_cmp_ngt_f32_e64 s[30:31], s69, v29
	s_waitcnt lgkmcnt(0)
	s_barrier
	v_cndmask_b32_e64 v16, 0, v16, s[30:31]
	v_cmp_ngt_f32_e64 s[30:31], s69, v30
	s_nop 1
	v_cndmask_b32_e64 v12, 0, v12, s[30:31]
	v_cmp_ngt_f32_e64 s[30:31], s69, v31
	s_nop 1
	v_cndmask_b32_e64 v13, 0, v13, s[30:31]
	v_cmp_nlt_f32_e64 s[30:31], s57, v27
	s_nop 1
	v_cndmask_b32_e64 v14, v153, v14, s[30:31]
	v_cmp_nlt_f32_e64 s[30:31], s57, v28
	;; [unrolled: 3-line block ×3, first 2 shown]
	v_cndmask_b32_e32 v11, v11, v15, vcc
	s_nop 0
	v_cndmask_b32_e64 v16, v153, v16, s[30:31]
	v_cmp_nlt_f32_e64 s[30:31], s57, v30
	v_cndmask_b32_e64 v10, v10, v16, s[24:25]
	s_nop 0
	v_cndmask_b32_e64 v27, v153, v12, s[30:31]
	v_cmp_nlt_f32_e64 s[30:31], s57, v31
	v_cndmask_b32_e64 v12, 0, v14, s[28:29]
	v_cmp_le_f32_e64 s[28:29], s22, v31
	v_cndmask_b32_e64 v13, v153, v13, s[30:31]
	v_add_f32_e32 v14, v15, v12
	v_cndmask_b32_e64 v40, 0, v13, s[28:29]
	v_cndmask_b32_e64 v13, v17, v27, s[26:27]
	v_cvt_f16_f32_e32 v15, v40
	v_cvt_pk_f16_f32 v23, v10, v13
	v_cndmask_b32_e32 v10, v12, v14, vcc
	v_cvt_pk_f16_f32 v22, v12, v11
	v_add_f32_e32 v11, v10, v16
	v_cndmask_b32_e64 v10, v10, v11, s[24:25]
	v_add_f32_e32 v11, v10, v27
	v_mul_u32_u24_e32 v27, 0x10001, v15
	v_pk_mul_f16 v25, v25, v27
	v_pk_mul_f16 v21, v21, v27
	;; [unrolled: 1-line block ×3, first 2 shown]
	v_cvt_f32_f16_e32 v30, v25
	v_cvt_f32_f16_sdwa v31, v25 dst_sel:DWORD dst_unused:UNUSED_PAD src0_sel:WORD_1
	v_cvt_f32_f16_e32 v78, v21
	v_cvt_f32_f16_sdwa v79, v21 dst_sel:DWORD dst_unused:UNUSED_PAD src0_sel:WORD_1
	ds_read_u16 v8, v112 offset:32
	ds_read_u16 v6, v110 offset:176
	ds_read_u16 v9, v110
	ds_read_u16 v20, v110 offset:32
	ds_read_u16 v25, v110 offset:208
	ds_read_u16 v32, v110 offset:64
	ds_read_u16 v82, v110 offset:240
	ds_read_u16 v83, v110 offset:96
	ds_read_u16 v84, v110 offset:128
	ds_read_u16 v7, v111
	ds_read_u16 v21, v111 offset:32
	ds_read_u16 v33, v112
	ds_read_u16 v85, v111 offset:64
	ds_read_u16 v86, v110 offset:272
	;; [unrolled: 1-line block ×5, first 2 shown]
	s_waitcnt lgkmcnt(5)
	v_perm_b32 v7, v33, v7, s23
	ds_read_u16 v33, v112 offset:64
	ds_read_u16 v90, v112 offset:96
	;; [unrolled: 1-line block ×3, first 2 shown]
	v_cndmask_b32_e64 v76, v10, v11, s[26:27]
	v_pk_mul_f16 v11, v161, v27
	v_pk_mul_f16 v13, v160, v27
	;; [unrolled: 1-line block ×5, first 2 shown]
	v_perm_b32 v6, v6, v9, s23
	v_perm_b32 v21, v8, v21, s23
	;; [unrolled: 1-line block ×3, first 2 shown]
	s_waitcnt lgkmcnt(2)
	v_perm_b32 v33, v33, v85, s23
	v_perm_b32 v32, v82, v32, s23
	v_cvt_f32_f16_e32 v10, v11
	v_cvt_f32_f16_sdwa v11, v11 dst_sel:DWORD dst_unused:UNUSED_PAD src0_sel:WORD_1
	v_cvt_f32_f16_e32 v12, v13
	v_cvt_f32_f16_sdwa v13, v13 dst_sel:DWORD dst_unused:UNUSED_PAD src0_sel:WORD_1
	;; [unrolled: 2-line block ×5, first 2 shown]
	v_mfma_f32_16x16x16_f16 v[6:9], v[6:7], v[22:23], v[10:13]
	v_cvt_f32_f16_e32 v80, v81
	v_cvt_f32_f16_sdwa v81, v81 dst_sel:DWORD dst_unused:UNUSED_PAD src0_sel:WORD_1
	v_pk_mul_f16 v25, v19, v27
	v_mfma_f32_16x16x16_f16 v[10:13], v[20:21], v[22:23], v[14:17]
	s_waitcnt lgkmcnt(1)
	v_perm_b32 v21, v90, v87, s23
	v_perm_b32 v20, v86, v83, s23
	s_nop 0
	v_cvt_f16_f32_e32 v8, v8
	v_mfma_f32_16x16x16_f16 v[14:17], v[32:33], v[22:23], v[28:31]
	v_cvt_f16_f32_e32 v9, v9
	s_nop 0
	v_cvt_f16_f32_e32 v12, v12
	v_cvt_f16_f32_e32 v13, v13
	v_pk_mul_f16 v27, v18, v27
	v_mfma_f32_16x16x16_f16 v[18:21], v[20:21], v[22:23], v[78:81]
	s_nop 1
	v_cvt_f16_f32_e32 v16, v16
	v_cvt_f16_f32_e32 v17, v17
	v_perm_b32 v9, v9, v8, s23
	v_perm_b32 v8, v13, v12, s23
	v_cvt_f32_f16_e32 v28, v25
	v_perm_b32 v12, v17, v16, s23
	s_waitcnt lgkmcnt(0)
	v_perm_b32 v17, v91, v88, s23
	v_perm_b32 v16, v89, v84, s23
	v_cvt_f16_f32_e32 v20, v20
	v_cvt_f16_f32_e32 v13, v21
	v_cvt_f32_f16_sdwa v29, v25 dst_sel:DWORD dst_unused:UNUSED_PAD src0_sel:WORD_1
	v_cvt_f32_f16_e32 v30, v27
	v_cvt_f32_f16_sdwa v31, v27 dst_sel:DWORD dst_unused:UNUSED_PAD src0_sel:WORD_1
	v_fmac_f32_e32 v76, v77, v40
	v_perm_b32 v13, v13, v20, s23
	v_mfma_f32_16x16x16_f16 v[20:23], v[16:17], v[22:23], v[28:31]
	ds_bpermute_b32 v16, v1, v76
	v_cvt_f16_f32_e32 v32, v6
	v_cvt_f16_f32_e32 v33, v7
	;; [unrolled: 1-line block ×3, first 2 shown]
	s_nop 3
	v_cvt_f16_f32_e32 v17, v22
	v_cvt_f16_f32_e32 v22, v23
	s_waitcnt lgkmcnt(0)
	v_add_f32_e32 v23, v76, v16
	ds_bpermute_b32 v25, v26, v23
	v_cvt_f16_f32_e32 v77, v11
	v_cvt_f16_f32_e32 v78, v14
	;; [unrolled: 1-line block ×7, first 2 shown]
	v_perm_b32 v16, v22, v17, s23
	s_waitcnt lgkmcnt(0)
	v_add_f32_e32 v25, v23, v25
	v_perm_b32 v17, v77, v40, s23
	v_perm_b32 v22, v33, v32, s23
	;; [unrolled: 1-line block ×5, first 2 shown]
	s_barrier
	s_and_saveexec_b64 s[0:1], s[4:5]
	s_cbranch_execz .LBB9_160
; %bb.159:                              ;   in Loop: Header=BB9_14 Depth=1
	global_load_dword v17, v41, s[2:3]
	v_cvt_pk_f16_f32 v7, v6, v7
	v_cvt_pk_f16_f32 v10, v10, v11
	;; [unrolled: 1-line block ×4, first 2 shown]
	v_max_f32_e32 v18, v24, v24
	v_cvt_pk_f16_f32 v15, v20, v21
	s_waitcnt vmcnt(0)
	v_max_f32_e32 v6, v17, v17
	v_max_f32_e32 v6, v18, v6
	v_sub_f32_e32 v18, v24, v6
	v_mul_f32_e32 v19, 0x3fb8aa3b, v18
	v_fma_f32 v20, v18, s68, -v19
	v_rndne_f32_e32 v21, v19
	v_fmac_f32_e32 v20, 0x32a5705f, v18
	v_sub_f32_e32 v19, v19, v21
	v_add_f32_e32 v19, v19, v20
	v_exp_f32_e32 v19, v19
	v_cvt_i32_f32_e32 v20, v21
	v_cmp_ngt_f32_e32 vcc, s69, v18
	v_ldexp_f32 v19, v19, v20
	s_nop 0
	v_cndmask_b32_e32 v19, 0, v19, vcc
	v_cmp_nlt_f32_e32 vcc, s57, v18
	s_nop 1
	v_cndmask_b32_e32 v19, v153, v19, vcc
	v_cmp_le_f32_e32 vcc, s22, v18
	s_nop 1
	v_cndmask_b32_e32 v18, 0, v19, vcc
	v_sub_f32_e32 v19, v17, v6
	v_cvt_f16_f32_e32 v17, v18
	v_cmp_ngt_f32_e32 vcc, s69, v19
	v_mul_u32_u24_e32 v20, 0x10001, v17
	v_pk_mul_f16 v22, v7, v20
	v_mul_f32_e32 v7, 0x3fb8aa3b, v19
	v_pk_mul_f16 v17, v10, v20
	v_pk_mul_f16 v23, v11, v20
	v_fma_f32 v10, v19, s68, -v7
	v_rndne_f32_e32 v11, v7
	v_fmac_f32_e32 v10, 0x32a5705f, v19
	v_sub_f32_e32 v7, v7, v11
	v_add_f32_e32 v7, v7, v10
	v_exp_f32_e32 v7, v7
	v_cvt_i32_f32_e32 v10, v11
	v_pk_mul_f16 v9, v9, v20
	v_pk_mul_f16 v8, v8, v20
	;; [unrolled: 1-line block ×3, first 2 shown]
	v_ldexp_f32 v7, v7, v10
	v_cndmask_b32_e32 v7, 0, v7, vcc
	v_cmp_nlt_f32_e32 vcc, s57, v19
	v_pk_mul_f16 v27, v14, v20
	v_pk_mul_f16 v13, v13, v20
	v_cndmask_b32_e32 v7, v153, v7, vcc
	v_fmac_f32_e32 v7, v25, v18
	v_pk_mul_f16 v28, v15, v20
	v_pk_mul_f16 v16, v16, v20
	v_mov_b64_e32 v[24:25], v[6:7]
.LBB9_160:                              ;   in Loop: Header=BB9_14 Depth=1
	s_or_b64 exec, exec, s[0:1]
	s_mov_b64 s[0:1], exec
	v_readlane_b32 s2, v172, 54
	v_readlane_b32 s3, v172, 55
	s_and_b64 s[2:3], s[0:1], s[2:3]
	s_mov_b64 exec, s[2:3]
; %bb.161:                              ;   in Loop: Header=BB9_14 Depth=1
	v_add_u32_e32 v6, 0, v125
	ds_write2_b32 v6, v24, v25 offset0:40 offset1:41
; %bb.162:                              ;   in Loop: Header=BB9_14 Depth=1
	s_or_b64 exec, exec, s[0:1]
	s_waitcnt lgkmcnt(0)
	s_barrier
	s_mov_b64 s[0:1], exec
	v_readlane_b32 s2, v172, 39
	v_readlane_b32 s3, v172, 40
	s_and_b64 s[2:3], s[0:1], s[2:3]
	s_xor_b64 s[0:1], s[2:3], s[0:1]
	s_mov_b64 exec, s[2:3]
	s_cbranch_execz .LBB9_164
; %bb.163:                              ;   in Loop: Header=BB9_14 Depth=1
	s_barrier
                                        ; implicit-def: $vgpr1
                                        ; implicit-def: $vgpr26
.LBB9_164:                              ;   in Loop: Header=BB9_14 Depth=1
	s_andn2_saveexec_b64 s[0:1], s[0:1]
	s_cbranch_execz .LBB9_166
; %bb.165:                              ;   in Loop: Header=BB9_14 Depth=1
	v_add_u32_e32 v10, 0, v125
	ds_read_b64 v[6:7], v10 offset:160
	s_waitcnt lgkmcnt(0)
	s_barrier
	ds_bpermute_b32 v11, v1, v6
	v_max_f32_e32 v14, v6, v6
	s_waitcnt lgkmcnt(0)
	v_max_f32_e32 v11, v11, v11
	v_max_f32_e32 v11, v14, v11
	ds_bpermute_b32 v14, v26, v11
	s_waitcnt lgkmcnt(0)
	v_max_f32_e32 v14, v14, v14
	v_max_f32_e32 v11, v11, v14
	v_sub_f32_e32 v6, v6, v11
	v_mul_f32_e32 v11, 0x3fb8aa3b, v6
	v_fma_f32 v14, v6, s68, -v11
	v_rndne_f32_e32 v15, v11
	v_fmac_f32_e32 v14, 0x32a5705f, v6
	v_sub_f32_e32 v11, v11, v15
	v_add_f32_e32 v11, v11, v14
	v_cvt_i32_f32_e32 v15, v15
	v_exp_f32_e32 v11, v11
	v_cmp_ngt_f32_e32 vcc, s69, v6
	v_ldexp_f32 v11, v11, v15
	s_nop 0
	v_cndmask_b32_e32 v11, 0, v11, vcc
	v_cmp_nlt_f32_e32 vcc, s57, v6
	s_nop 1
	v_cndmask_b32_e32 v6, v153, v11, vcc
	v_mul_f32_e32 v11, v7, v6
	ds_bpermute_b32 v1, v1, v11
	s_waitcnt lgkmcnt(0)
	v_fmac_f32_e32 v1, v7, v6
	ds_bpermute_b32 v7, v26, v1
	s_waitcnt lgkmcnt(0)
	v_add_f32_e32 v7, v1, v7
	ds_write_b64 v10, v[6:7] offset:160
.LBB9_166:                              ;   in Loop: Header=BB9_14 Depth=1
	s_or_b64 exec, exec, s[0:1]
	ds_write2_b32 v113, v22, v9 offset1:1
	ds_write2_b32 v113, v17, v8 offset0:8 offset1:9
	ds_write2_b32 v113, v23, v12 offset0:16 offset1:17
	;; [unrolled: 1-line block ×4, first 2 shown]
	s_waitcnt lgkmcnt(0)
	s_barrier
	s_mov_b64 s[0:1], exec
	v_readlane_b32 s2, v172, 37
	v_readlane_b32 s3, v172, 38
	s_and_b64 s[2:3], s[0:1], s[2:3]
	s_mov_b64 exec, s[2:3]
	s_cbranch_execz .LBB9_12
; %bb.167:                              ;   in Loop: Header=BB9_14 Depth=1
	v_add_u32_e32 v1, s64, v114
	v_cmp_gt_i32_e32 vcc, s56, v1
	v_mov_b32_e32 v6, 0x47
	s_and_saveexec_b64 s[2:3], vcc
	s_cbranch_execz .LBB9_169
; %bb.168:                              ;   in Loop: Header=BB9_14 Depth=1
	v_add_u32_e32 v12, v139, v127
	ds_read2st64_b32 v[8:9], v12 offset1:11
	v_add_u32_e32 v14, 0, v127
	ds_read2_b32 v[6:7], v14 offset0:40 offset1:41
	v_add_u32_e32 v10, 0xa0, v14
	ds_read2st64_b32 v[10:11], v10 offset0:11 offset1:22
	ds_read2st64_b32 v[12:13], v12 offset0:22 offset1:33
	ds_read_b32 v14, v14 offset:8608
	s_waitcnt lgkmcnt(4)
	v_cvt_f32_f16_e32 v18, v8
	v_cvt_f32_f16_sdwa v19, v8 dst_sel:DWORD dst_unused:UNUSED_PAD src0_sel:WORD_1
	v_cvt_f32_f16_e32 v8, v9
	v_cvt_f32_f16_sdwa v9, v9 dst_sel:DWORD dst_unused:UNUSED_PAD src0_sel:WORD_1
	v_readlane_b32 s4, v172, 44
	s_waitcnt lgkmcnt(3)
	v_pk_fma_f32 v[18:19], v[6:7], v[18:19], 0 op_sel_hi:[0,1,0]
	s_waitcnt lgkmcnt(2)
	v_mov_b32_e32 v6, v11
	v_pk_fma_f32 v[8:9], v[10:11], v[8:9], v[18:19] op_sel_hi:[0,1,1]
	s_waitcnt lgkmcnt(1)
	v_cvt_f32_f16_e32 v18, v12
	v_cvt_f32_f16_sdwa v19, v12 dst_sel:DWORD dst_unused:UNUSED_PAD src0_sel:WORD_1
	v_cvt_f32_f16_e32 v10, v13
	v_cvt_f32_f16_sdwa v11, v13 dst_sel:DWORD dst_unused:UNUSED_PAD src0_sel:WORD_1
	v_mad_u64_u32 v[16:17], s[4:5], v1, s4, v[34:35]
	v_pk_fma_f32 v[8:9], v[6:7], v[18:19], v[8:9] op_sel_hi:[0,1,1]
	s_waitcnt lgkmcnt(0)
	v_pk_fma_f32 v[8:9], v[14:15], v[10:11], v[8:9] op_sel_hi:[0,1,1]
	v_div_scale_f32 v1, s[4:5], v7, v7, v9
	v_rcp_f32_e32 v6, v1
	v_ashrrev_i32_e32 v17, 31, v16
	v_lshl_add_u64 v[16:17], v[16:17], 3, s[86:87]
	v_fma_f32 v10, -v1, v6, 1.0
	v_fmac_f32_e32 v6, v10, v6
	v_div_scale_f32 v10, vcc, v9, v7, v9
	v_mul_f32_e32 v11, v10, v6
	v_fma_f32 v12, -v1, v11, v10
	v_fmac_f32_e32 v11, v12, v6
	v_fma_f32 v1, -v1, v11, v10
	v_div_fmas_f32 v1, v1, v6, v11
	v_div_fixup_f32 v9, v1, v7, v9
	v_div_scale_f32 v1, s[4:5], v7, v7, v8
	v_rcp_f32_e32 v6, v1
	s_nop 0
	v_fma_f32 v10, -v1, v6, 1.0
	v_fmac_f32_e32 v6, v10, v6
	v_div_scale_f32 v10, vcc, v8, v7, v8
	v_mul_f32_e32 v11, v10, v6
	v_fma_f32 v12, -v1, v11, v10
	v_fmac_f32_e32 v11, v12, v6
	v_fma_f32 v1, -v1, v11, v10
	v_div_fmas_f32 v1, v1, v6, v11
	v_div_fixup_f32 v8, v1, v7, v8
	v_mov_b32_e32 v6, 0
	global_store_dwordx2 v[16:17], v[8:9], off
.LBB9_169:                              ;   in Loop: Header=BB9_14 Depth=1
	s_or_b64 exec, exec, s[2:3]
	v_cmp_gt_i32_e32 vcc, s65, v6
	s_mov_b64 s[6:7], -1
	s_and_saveexec_b64 s[2:3], vcc
; %bb.170:                              ;   in Loop: Header=BB9_14 Depth=1
	v_cmp_eq_u32_e32 vcc, 0, v6
	s_orn2_b64 s[6:7], vcc, exec
; %bb.171:                              ;   in Loop: Header=BB9_14 Depth=1
	s_or_b64 exec, exec, s[2:3]
	s_and_saveexec_b64 s[2:3], s[6:7]
	s_cbranch_execz .LBB9_204
; %bb.172:                              ;   in Loop: Header=BB9_14 Depth=1
	v_add_u32_e32 v1, s64, v116
	v_cmp_gt_i32_e32 vcc, s56, v1
	v_mov_b32_e32 v6, 0x47
	s_and_saveexec_b64 s[6:7], vcc
	s_cbranch_execz .LBB9_174
; %bb.173:                              ;   in Loop: Header=BB9_14 Depth=1
	v_add_u32_e32 v12, v139, v128
	ds_read2st64_b32 v[8:9], v12 offset1:11
	v_add_u32_e32 v14, 0, v128
	ds_read2_b32 v[6:7], v14 offset0:40 offset1:41
	v_add_u32_e32 v10, 0xa0, v14
	ds_read2st64_b32 v[10:11], v10 offset0:11 offset1:22
	ds_read2st64_b32 v[12:13], v12 offset0:22 offset1:33
	ds_read_b32 v14, v14 offset:8608
	s_waitcnt lgkmcnt(4)
	v_cvt_f32_f16_e32 v18, v8
	v_cvt_f32_f16_sdwa v19, v8 dst_sel:DWORD dst_unused:UNUSED_PAD src0_sel:WORD_1
	v_cvt_f32_f16_e32 v8, v9
	v_cvt_f32_f16_sdwa v9, v9 dst_sel:DWORD dst_unused:UNUSED_PAD src0_sel:WORD_1
	v_readlane_b32 s4, v172, 44
	s_waitcnt lgkmcnt(3)
	v_pk_fma_f32 v[18:19], v[6:7], v[18:19], 0 op_sel_hi:[0,1,0]
	s_waitcnt lgkmcnt(2)
	v_mov_b32_e32 v6, v11
	v_pk_fma_f32 v[8:9], v[10:11], v[8:9], v[18:19] op_sel_hi:[0,1,1]
	s_waitcnt lgkmcnt(1)
	v_cvt_f32_f16_e32 v18, v12
	v_cvt_f32_f16_sdwa v19, v12 dst_sel:DWORD dst_unused:UNUSED_PAD src0_sel:WORD_1
	v_cvt_f32_f16_e32 v10, v13
	v_cvt_f32_f16_sdwa v11, v13 dst_sel:DWORD dst_unused:UNUSED_PAD src0_sel:WORD_1
	v_mad_u64_u32 v[16:17], s[4:5], v1, s4, v[34:35]
	v_pk_fma_f32 v[8:9], v[6:7], v[18:19], v[8:9] op_sel_hi:[0,1,1]
	s_waitcnt lgkmcnt(0)
	v_pk_fma_f32 v[8:9], v[14:15], v[10:11], v[8:9] op_sel_hi:[0,1,1]
	v_div_scale_f32 v1, s[4:5], v7, v7, v9
	v_rcp_f32_e32 v6, v1
	v_ashrrev_i32_e32 v17, 31, v16
	v_lshl_add_u64 v[16:17], v[16:17], 3, s[86:87]
	v_fma_f32 v10, -v1, v6, 1.0
	v_fmac_f32_e32 v6, v10, v6
	v_div_scale_f32 v10, vcc, v9, v7, v9
	v_mul_f32_e32 v11, v10, v6
	v_fma_f32 v12, -v1, v11, v10
	v_fmac_f32_e32 v11, v12, v6
	v_fma_f32 v1, -v1, v11, v10
	v_div_fmas_f32 v1, v1, v6, v11
	v_div_fixup_f32 v9, v1, v7, v9
	v_div_scale_f32 v1, s[4:5], v7, v7, v8
	v_rcp_f32_e32 v6, v1
	s_nop 0
	v_fma_f32 v10, -v1, v6, 1.0
	v_fmac_f32_e32 v6, v10, v6
	v_div_scale_f32 v10, vcc, v8, v7, v8
	v_mul_f32_e32 v11, v10, v6
	v_fma_f32 v12, -v1, v11, v10
	v_fmac_f32_e32 v11, v12, v6
	v_fma_f32 v1, -v1, v11, v10
	v_div_fmas_f32 v1, v1, v6, v11
	v_div_fixup_f32 v8, v1, v7, v8
	v_mov_b32_e32 v6, 0
	global_store_dwordx2 v[16:17], v[8:9], off
.LBB9_174:                              ;   in Loop: Header=BB9_14 Depth=1
	s_or_b64 exec, exec, s[6:7]
	v_cmp_gt_i32_e32 vcc, s65, v6
	s_mov_b64 s[6:7], -1
	s_and_saveexec_b64 s[24:25], vcc
; %bb.175:                              ;   in Loop: Header=BB9_14 Depth=1
	v_cmp_eq_u32_e32 vcc, 0, v6
	s_orn2_b64 s[6:7], vcc, exec
; %bb.176:                              ;   in Loop: Header=BB9_14 Depth=1
	s_or_b64 exec, exec, s[24:25]
	s_and_b64 exec, exec, s[6:7]
	s_cbranch_execz .LBB9_204
; %bb.177:                              ;   in Loop: Header=BB9_14 Depth=1
	v_add_u32_e32 v1, s64, v117
	v_cmp_gt_i32_e32 vcc, s56, v1
	v_mov_b32_e32 v6, 0x47
	s_and_saveexec_b64 s[6:7], vcc
	s_cbranch_execz .LBB9_179
; %bb.178:                              ;   in Loop: Header=BB9_14 Depth=1
	v_add_u32_e32 v12, v139, v129
	ds_read2st64_b32 v[8:9], v12 offset1:11
	v_add_u32_e32 v14, 0, v129
	ds_read2_b32 v[6:7], v14 offset0:40 offset1:41
	v_add_u32_e32 v10, 0xa0, v14
	ds_read2st64_b32 v[10:11], v10 offset0:11 offset1:22
	ds_read2st64_b32 v[12:13], v12 offset0:22 offset1:33
	ds_read_b32 v14, v14 offset:8608
	s_waitcnt lgkmcnt(4)
	v_cvt_f32_f16_e32 v18, v8
	v_cvt_f32_f16_sdwa v19, v8 dst_sel:DWORD dst_unused:UNUSED_PAD src0_sel:WORD_1
	v_cvt_f32_f16_e32 v8, v9
	v_cvt_f32_f16_sdwa v9, v9 dst_sel:DWORD dst_unused:UNUSED_PAD src0_sel:WORD_1
	v_readlane_b32 s4, v172, 44
	s_waitcnt lgkmcnt(3)
	v_pk_fma_f32 v[18:19], v[6:7], v[18:19], 0 op_sel_hi:[0,1,0]
	s_waitcnt lgkmcnt(2)
	v_mov_b32_e32 v6, v11
	v_pk_fma_f32 v[8:9], v[10:11], v[8:9], v[18:19] op_sel_hi:[0,1,1]
	s_waitcnt lgkmcnt(1)
	v_cvt_f32_f16_e32 v18, v12
	v_cvt_f32_f16_sdwa v19, v12 dst_sel:DWORD dst_unused:UNUSED_PAD src0_sel:WORD_1
	v_cvt_f32_f16_e32 v10, v13
	v_cvt_f32_f16_sdwa v11, v13 dst_sel:DWORD dst_unused:UNUSED_PAD src0_sel:WORD_1
	v_mad_u64_u32 v[16:17], s[4:5], v1, s4, v[34:35]
	v_pk_fma_f32 v[8:9], v[6:7], v[18:19], v[8:9] op_sel_hi:[0,1,1]
	s_waitcnt lgkmcnt(0)
	v_pk_fma_f32 v[8:9], v[14:15], v[10:11], v[8:9] op_sel_hi:[0,1,1]
	v_div_scale_f32 v1, s[4:5], v7, v7, v9
	v_rcp_f32_e32 v6, v1
	v_ashrrev_i32_e32 v17, 31, v16
	v_lshl_add_u64 v[16:17], v[16:17], 3, s[86:87]
	v_fma_f32 v10, -v1, v6, 1.0
	v_fmac_f32_e32 v6, v10, v6
	v_div_scale_f32 v10, vcc, v9, v7, v9
	v_mul_f32_e32 v11, v10, v6
	v_fma_f32 v12, -v1, v11, v10
	v_fmac_f32_e32 v11, v12, v6
	v_fma_f32 v1, -v1, v11, v10
	v_div_fmas_f32 v1, v1, v6, v11
	v_div_fixup_f32 v9, v1, v7, v9
	v_div_scale_f32 v1, s[4:5], v7, v7, v8
	v_rcp_f32_e32 v6, v1
	s_nop 0
	v_fma_f32 v10, -v1, v6, 1.0
	v_fmac_f32_e32 v6, v10, v6
	v_div_scale_f32 v10, vcc, v8, v7, v8
	v_mul_f32_e32 v11, v10, v6
	v_fma_f32 v12, -v1, v11, v10
	v_fmac_f32_e32 v11, v12, v6
	v_fma_f32 v1, -v1, v11, v10
	v_div_fmas_f32 v1, v1, v6, v11
	v_div_fixup_f32 v8, v1, v7, v8
	v_mov_b32_e32 v6, 0
	global_store_dwordx2 v[16:17], v[8:9], off
.LBB9_179:                              ;   in Loop: Header=BB9_14 Depth=1
	s_or_b64 exec, exec, s[6:7]
	v_cmp_gt_i32_e32 vcc, s65, v6
	s_mov_b64 s[6:7], -1
	s_and_saveexec_b64 s[24:25], vcc
; %bb.180:                              ;   in Loop: Header=BB9_14 Depth=1
	v_cmp_eq_u32_e32 vcc, 0, v6
	s_orn2_b64 s[6:7], vcc, exec
; %bb.181:                              ;   in Loop: Header=BB9_14 Depth=1
	s_or_b64 exec, exec, s[24:25]
	s_and_b64 exec, exec, s[6:7]
	s_cbranch_execz .LBB9_204
; %bb.182:                              ;   in Loop: Header=BB9_14 Depth=1
	v_add_u32_e32 v1, s64, v118
	v_cmp_gt_i32_e32 vcc, s56, v1
	v_mov_b32_e32 v6, 0x47
	s_and_saveexec_b64 s[6:7], vcc
	s_cbranch_execz .LBB9_184
; %bb.183:                              ;   in Loop: Header=BB9_14 Depth=1
	v_add_u32_e32 v12, v139, v130
	ds_read2st64_b32 v[8:9], v12 offset1:11
	v_add_u32_e32 v14, 0, v130
	ds_read2_b32 v[6:7], v14 offset0:40 offset1:41
	v_add_u32_e32 v10, 0xa0, v14
	ds_read2st64_b32 v[10:11], v10 offset0:11 offset1:22
	ds_read2st64_b32 v[12:13], v12 offset0:22 offset1:33
	ds_read_b32 v14, v14 offset:8608
	s_waitcnt lgkmcnt(4)
	v_cvt_f32_f16_e32 v18, v8
	v_cvt_f32_f16_sdwa v19, v8 dst_sel:DWORD dst_unused:UNUSED_PAD src0_sel:WORD_1
	v_cvt_f32_f16_e32 v8, v9
	v_cvt_f32_f16_sdwa v9, v9 dst_sel:DWORD dst_unused:UNUSED_PAD src0_sel:WORD_1
	v_readlane_b32 s4, v172, 44
	s_waitcnt lgkmcnt(3)
	v_pk_fma_f32 v[18:19], v[6:7], v[18:19], 0 op_sel_hi:[0,1,0]
	s_waitcnt lgkmcnt(2)
	v_mov_b32_e32 v6, v11
	v_pk_fma_f32 v[8:9], v[10:11], v[8:9], v[18:19] op_sel_hi:[0,1,1]
	s_waitcnt lgkmcnt(1)
	v_cvt_f32_f16_e32 v18, v12
	v_cvt_f32_f16_sdwa v19, v12 dst_sel:DWORD dst_unused:UNUSED_PAD src0_sel:WORD_1
	v_cvt_f32_f16_e32 v10, v13
	v_cvt_f32_f16_sdwa v11, v13 dst_sel:DWORD dst_unused:UNUSED_PAD src0_sel:WORD_1
	v_mad_u64_u32 v[16:17], s[4:5], v1, s4, v[34:35]
	v_pk_fma_f32 v[8:9], v[6:7], v[18:19], v[8:9] op_sel_hi:[0,1,1]
	s_waitcnt lgkmcnt(0)
	v_pk_fma_f32 v[8:9], v[14:15], v[10:11], v[8:9] op_sel_hi:[0,1,1]
	v_div_scale_f32 v1, s[4:5], v7, v7, v9
	v_rcp_f32_e32 v6, v1
	v_ashrrev_i32_e32 v17, 31, v16
	v_lshl_add_u64 v[16:17], v[16:17], 3, s[86:87]
	v_fma_f32 v10, -v1, v6, 1.0
	v_fmac_f32_e32 v6, v10, v6
	v_div_scale_f32 v10, vcc, v9, v7, v9
	v_mul_f32_e32 v11, v10, v6
	v_fma_f32 v12, -v1, v11, v10
	v_fmac_f32_e32 v11, v12, v6
	v_fma_f32 v1, -v1, v11, v10
	v_div_fmas_f32 v1, v1, v6, v11
	v_div_fixup_f32 v9, v1, v7, v9
	v_div_scale_f32 v1, s[4:5], v7, v7, v8
	v_rcp_f32_e32 v6, v1
	s_nop 0
	v_fma_f32 v10, -v1, v6, 1.0
	v_fmac_f32_e32 v6, v10, v6
	v_div_scale_f32 v10, vcc, v8, v7, v8
	v_mul_f32_e32 v11, v10, v6
	v_fma_f32 v12, -v1, v11, v10
	v_fmac_f32_e32 v11, v12, v6
	v_fma_f32 v1, -v1, v11, v10
	v_div_fmas_f32 v1, v1, v6, v11
	v_div_fixup_f32 v8, v1, v7, v8
	v_mov_b32_e32 v6, 0
	global_store_dwordx2 v[16:17], v[8:9], off
.LBB9_184:                              ;   in Loop: Header=BB9_14 Depth=1
	s_or_b64 exec, exec, s[6:7]
	v_cmp_gt_i32_e32 vcc, s65, v6
	s_mov_b64 s[6:7], -1
	s_and_saveexec_b64 s[24:25], vcc
; %bb.185:                              ;   in Loop: Header=BB9_14 Depth=1
	v_cmp_eq_u32_e32 vcc, 0, v6
	s_orn2_b64 s[6:7], vcc, exec
; %bb.186:                              ;   in Loop: Header=BB9_14 Depth=1
	s_or_b64 exec, exec, s[24:25]
	s_and_b64 exec, exec, s[6:7]
	s_cbranch_execz .LBB9_204
; %bb.187:                              ;   in Loop: Header=BB9_14 Depth=1
	v_add_u32_e32 v1, s64, v119
	v_cmp_gt_i32_e32 vcc, s56, v1
	v_mov_b32_e32 v6, 0x47
	s_and_saveexec_b64 s[6:7], vcc
	s_cbranch_execz .LBB9_189
; %bb.188:                              ;   in Loop: Header=BB9_14 Depth=1
	v_add_u32_e32 v12, v139, v131
	ds_read2st64_b32 v[8:9], v12 offset1:11
	v_add_u32_e32 v14, 0, v131
	ds_read2_b32 v[6:7], v14 offset0:40 offset1:41
	v_add_u32_e32 v10, 0xa0, v14
	ds_read2st64_b32 v[10:11], v10 offset0:11 offset1:22
	ds_read2st64_b32 v[12:13], v12 offset0:22 offset1:33
	ds_read_b32 v14, v14 offset:8608
	s_waitcnt lgkmcnt(4)
	v_cvt_f32_f16_e32 v18, v8
	v_cvt_f32_f16_sdwa v19, v8 dst_sel:DWORD dst_unused:UNUSED_PAD src0_sel:WORD_1
	v_cvt_f32_f16_e32 v8, v9
	v_cvt_f32_f16_sdwa v9, v9 dst_sel:DWORD dst_unused:UNUSED_PAD src0_sel:WORD_1
	v_readlane_b32 s4, v172, 44
	s_waitcnt lgkmcnt(3)
	v_pk_fma_f32 v[18:19], v[6:7], v[18:19], 0 op_sel_hi:[0,1,0]
	s_waitcnt lgkmcnt(2)
	v_mov_b32_e32 v6, v11
	v_pk_fma_f32 v[8:9], v[10:11], v[8:9], v[18:19] op_sel_hi:[0,1,1]
	s_waitcnt lgkmcnt(1)
	v_cvt_f32_f16_e32 v18, v12
	v_cvt_f32_f16_sdwa v19, v12 dst_sel:DWORD dst_unused:UNUSED_PAD src0_sel:WORD_1
	v_cvt_f32_f16_e32 v10, v13
	v_cvt_f32_f16_sdwa v11, v13 dst_sel:DWORD dst_unused:UNUSED_PAD src0_sel:WORD_1
	v_mad_u64_u32 v[16:17], s[4:5], v1, s4, v[34:35]
	v_pk_fma_f32 v[8:9], v[6:7], v[18:19], v[8:9] op_sel_hi:[0,1,1]
	s_waitcnt lgkmcnt(0)
	v_pk_fma_f32 v[8:9], v[14:15], v[10:11], v[8:9] op_sel_hi:[0,1,1]
	v_div_scale_f32 v1, s[4:5], v7, v7, v9
	v_rcp_f32_e32 v6, v1
	v_ashrrev_i32_e32 v17, 31, v16
	v_lshl_add_u64 v[16:17], v[16:17], 3, s[86:87]
	v_fma_f32 v10, -v1, v6, 1.0
	v_fmac_f32_e32 v6, v10, v6
	v_div_scale_f32 v10, vcc, v9, v7, v9
	v_mul_f32_e32 v11, v10, v6
	v_fma_f32 v12, -v1, v11, v10
	v_fmac_f32_e32 v11, v12, v6
	v_fma_f32 v1, -v1, v11, v10
	v_div_fmas_f32 v1, v1, v6, v11
	v_div_fixup_f32 v9, v1, v7, v9
	v_div_scale_f32 v1, s[4:5], v7, v7, v8
	v_rcp_f32_e32 v6, v1
	s_nop 0
	v_fma_f32 v10, -v1, v6, 1.0
	v_fmac_f32_e32 v6, v10, v6
	v_div_scale_f32 v10, vcc, v8, v7, v8
	v_mul_f32_e32 v11, v10, v6
	v_fma_f32 v12, -v1, v11, v10
	v_fmac_f32_e32 v11, v12, v6
	v_fma_f32 v1, -v1, v11, v10
	v_div_fmas_f32 v1, v1, v6, v11
	v_div_fixup_f32 v8, v1, v7, v8
	v_mov_b32_e32 v6, 0
	global_store_dwordx2 v[16:17], v[8:9], off
.LBB9_189:                              ;   in Loop: Header=BB9_14 Depth=1
	s_or_b64 exec, exec, s[6:7]
	v_cmp_gt_i32_e32 vcc, s65, v6
	s_mov_b64 s[6:7], -1
	s_and_saveexec_b64 s[24:25], vcc
; %bb.190:                              ;   in Loop: Header=BB9_14 Depth=1
	v_cmp_eq_u32_e32 vcc, 0, v6
	s_orn2_b64 s[6:7], vcc, exec
; %bb.191:                              ;   in Loop: Header=BB9_14 Depth=1
	s_or_b64 exec, exec, s[24:25]
	s_and_b64 exec, exec, s[6:7]
	s_cbranch_execz .LBB9_204
; %bb.192:                              ;   in Loop: Header=BB9_14 Depth=1
	v_add_u32_e32 v1, s64, v120
	v_cmp_gt_i32_e32 vcc, s56, v1
	v_mov_b32_e32 v6, 0x47
	s_and_saveexec_b64 s[6:7], vcc
	s_cbranch_execz .LBB9_194
; %bb.193:                              ;   in Loop: Header=BB9_14 Depth=1
	v_add_u32_e32 v12, v139, v132
	ds_read2st64_b32 v[8:9], v12 offset1:11
	v_add_u32_e32 v14, 0, v132
	ds_read2_b32 v[6:7], v14 offset0:40 offset1:41
	v_add_u32_e32 v10, 0xa0, v14
	ds_read2st64_b32 v[10:11], v10 offset0:11 offset1:22
	ds_read2st64_b32 v[12:13], v12 offset0:22 offset1:33
	ds_read_b32 v14, v14 offset:8608
	s_waitcnt lgkmcnt(4)
	v_cvt_f32_f16_e32 v18, v8
	v_cvt_f32_f16_sdwa v19, v8 dst_sel:DWORD dst_unused:UNUSED_PAD src0_sel:WORD_1
	v_cvt_f32_f16_e32 v8, v9
	v_cvt_f32_f16_sdwa v9, v9 dst_sel:DWORD dst_unused:UNUSED_PAD src0_sel:WORD_1
	v_readlane_b32 s4, v172, 44
	s_waitcnt lgkmcnt(3)
	v_pk_fma_f32 v[18:19], v[6:7], v[18:19], 0 op_sel_hi:[0,1,0]
	s_waitcnt lgkmcnt(2)
	v_mov_b32_e32 v6, v11
	v_pk_fma_f32 v[8:9], v[10:11], v[8:9], v[18:19] op_sel_hi:[0,1,1]
	s_waitcnt lgkmcnt(1)
	v_cvt_f32_f16_e32 v18, v12
	v_cvt_f32_f16_sdwa v19, v12 dst_sel:DWORD dst_unused:UNUSED_PAD src0_sel:WORD_1
	v_cvt_f32_f16_e32 v10, v13
	v_cvt_f32_f16_sdwa v11, v13 dst_sel:DWORD dst_unused:UNUSED_PAD src0_sel:WORD_1
	v_mad_u64_u32 v[16:17], s[4:5], v1, s4, v[34:35]
	v_pk_fma_f32 v[8:9], v[6:7], v[18:19], v[8:9] op_sel_hi:[0,1,1]
	s_waitcnt lgkmcnt(0)
	v_pk_fma_f32 v[8:9], v[14:15], v[10:11], v[8:9] op_sel_hi:[0,1,1]
	v_div_scale_f32 v1, s[4:5], v7, v7, v9
	v_rcp_f32_e32 v6, v1
	v_ashrrev_i32_e32 v17, 31, v16
	v_lshl_add_u64 v[16:17], v[16:17], 3, s[86:87]
	v_fma_f32 v10, -v1, v6, 1.0
	v_fmac_f32_e32 v6, v10, v6
	v_div_scale_f32 v10, vcc, v9, v7, v9
	v_mul_f32_e32 v11, v10, v6
	v_fma_f32 v12, -v1, v11, v10
	v_fmac_f32_e32 v11, v12, v6
	v_fma_f32 v1, -v1, v11, v10
	v_div_fmas_f32 v1, v1, v6, v11
	v_div_fixup_f32 v9, v1, v7, v9
	v_div_scale_f32 v1, s[4:5], v7, v7, v8
	v_rcp_f32_e32 v6, v1
	s_nop 0
	v_fma_f32 v10, -v1, v6, 1.0
	v_fmac_f32_e32 v6, v10, v6
	v_div_scale_f32 v10, vcc, v8, v7, v8
	v_mul_f32_e32 v11, v10, v6
	v_fma_f32 v12, -v1, v11, v10
	v_fmac_f32_e32 v11, v12, v6
	v_fma_f32 v1, -v1, v11, v10
	v_div_fmas_f32 v1, v1, v6, v11
	v_div_fixup_f32 v8, v1, v7, v8
	v_mov_b32_e32 v6, 0
	global_store_dwordx2 v[16:17], v[8:9], off
.LBB9_194:                              ;   in Loop: Header=BB9_14 Depth=1
	s_or_b64 exec, exec, s[6:7]
	v_cmp_gt_i32_e32 vcc, s65, v6
	s_mov_b64 s[6:7], -1
	s_and_saveexec_b64 s[24:25], vcc
; %bb.195:                              ;   in Loop: Header=BB9_14 Depth=1
	v_cmp_eq_u32_e32 vcc, 0, v6
	s_orn2_b64 s[6:7], vcc, exec
; %bb.196:                              ;   in Loop: Header=BB9_14 Depth=1
	s_or_b64 exec, exec, s[24:25]
	s_and_b64 exec, exec, s[6:7]
	s_cbranch_execz .LBB9_204
; %bb.197:                              ;   in Loop: Header=BB9_14 Depth=1
	v_add_u32_e32 v1, s64, v121
	v_cmp_gt_i32_e32 vcc, s56, v1
	v_mov_b32_e32 v6, 0x47
	s_and_saveexec_b64 s[6:7], vcc
	s_cbranch_execz .LBB9_199
; %bb.198:                              ;   in Loop: Header=BB9_14 Depth=1
	v_add_u32_e32 v12, v139, v133
	ds_read2st64_b32 v[8:9], v12 offset1:11
	v_add_u32_e32 v14, 0, v133
	ds_read2_b32 v[6:7], v14 offset0:40 offset1:41
	v_add_u32_e32 v10, 0xa0, v14
	ds_read2st64_b32 v[10:11], v10 offset0:11 offset1:22
	ds_read2st64_b32 v[12:13], v12 offset0:22 offset1:33
	ds_read_b32 v14, v14 offset:8608
	s_waitcnt lgkmcnt(4)
	v_cvt_f32_f16_e32 v18, v8
	v_cvt_f32_f16_sdwa v19, v8 dst_sel:DWORD dst_unused:UNUSED_PAD src0_sel:WORD_1
	v_cvt_f32_f16_e32 v8, v9
	v_cvt_f32_f16_sdwa v9, v9 dst_sel:DWORD dst_unused:UNUSED_PAD src0_sel:WORD_1
	v_readlane_b32 s4, v172, 44
	s_waitcnt lgkmcnt(3)
	v_pk_fma_f32 v[18:19], v[6:7], v[18:19], 0 op_sel_hi:[0,1,0]
	s_waitcnt lgkmcnt(2)
	v_mov_b32_e32 v6, v11
	v_pk_fma_f32 v[8:9], v[10:11], v[8:9], v[18:19] op_sel_hi:[0,1,1]
	s_waitcnt lgkmcnt(1)
	v_cvt_f32_f16_e32 v18, v12
	v_cvt_f32_f16_sdwa v19, v12 dst_sel:DWORD dst_unused:UNUSED_PAD src0_sel:WORD_1
	v_cvt_f32_f16_e32 v10, v13
	v_cvt_f32_f16_sdwa v11, v13 dst_sel:DWORD dst_unused:UNUSED_PAD src0_sel:WORD_1
	v_mad_u64_u32 v[16:17], s[4:5], v1, s4, v[34:35]
	v_pk_fma_f32 v[8:9], v[6:7], v[18:19], v[8:9] op_sel_hi:[0,1,1]
	s_waitcnt lgkmcnt(0)
	v_pk_fma_f32 v[8:9], v[14:15], v[10:11], v[8:9] op_sel_hi:[0,1,1]
	v_div_scale_f32 v1, s[4:5], v7, v7, v9
	v_rcp_f32_e32 v6, v1
	v_ashrrev_i32_e32 v17, 31, v16
	v_lshl_add_u64 v[16:17], v[16:17], 3, s[86:87]
	v_fma_f32 v10, -v1, v6, 1.0
	v_fmac_f32_e32 v6, v10, v6
	v_div_scale_f32 v10, vcc, v9, v7, v9
	v_mul_f32_e32 v11, v10, v6
	v_fma_f32 v12, -v1, v11, v10
	v_fmac_f32_e32 v11, v12, v6
	v_fma_f32 v1, -v1, v11, v10
	v_div_fmas_f32 v1, v1, v6, v11
	v_div_fixup_f32 v9, v1, v7, v9
	v_div_scale_f32 v1, s[4:5], v7, v7, v8
	v_rcp_f32_e32 v6, v1
	s_nop 0
	v_fma_f32 v10, -v1, v6, 1.0
	v_fmac_f32_e32 v6, v10, v6
	v_div_scale_f32 v10, vcc, v8, v7, v8
	v_mul_f32_e32 v11, v10, v6
	v_fma_f32 v12, -v1, v11, v10
	v_fmac_f32_e32 v11, v12, v6
	v_fma_f32 v1, -v1, v11, v10
	v_div_fmas_f32 v1, v1, v6, v11
	v_div_fixup_f32 v8, v1, v7, v8
	v_mov_b32_e32 v6, 0
	global_store_dwordx2 v[16:17], v[8:9], off
.LBB9_199:                              ;   in Loop: Header=BB9_14 Depth=1
	s_or_b64 exec, exec, s[6:7]
	v_cmp_gt_i32_e32 vcc, s65, v6
	s_mov_b64 s[6:7], -1
	s_and_saveexec_b64 s[24:25], vcc
; %bb.200:                              ;   in Loop: Header=BB9_14 Depth=1
	v_cmp_eq_u32_e32 vcc, 0, v6
	s_orn2_b64 s[6:7], vcc, exec
; %bb.201:                              ;   in Loop: Header=BB9_14 Depth=1
	s_or_b64 exec, exec, s[24:25]
	s_and_b64 exec, exec, s[6:7]
	s_cbranch_execz .LBB9_204
; %bb.202:                              ;   in Loop: Header=BB9_14 Depth=1
	v_add_u32_e32 v1, s64, v122
	v_cmp_gt_i32_e32 vcc, s56, v1
	s_and_b64 exec, exec, vcc
	s_cbranch_execz .LBB9_204
; %bb.203:                              ;   in Loop: Header=BB9_14 Depth=1
	v_add_u32_e32 v12, v139, v134
	ds_read2st64_b32 v[8:9], v12 offset1:11
	v_add_u32_e32 v14, 0, v134
	ds_read2_b32 v[6:7], v14 offset0:40 offset1:41
	v_add_u32_e32 v10, 0xa0, v14
	ds_read2st64_b32 v[10:11], v10 offset0:11 offset1:22
	ds_read2st64_b32 v[12:13], v12 offset0:22 offset1:33
	ds_read_b32 v14, v14 offset:8608
	s_waitcnt lgkmcnt(4)
	v_cvt_f32_f16_e32 v18, v8
	v_cvt_f32_f16_sdwa v19, v8 dst_sel:DWORD dst_unused:UNUSED_PAD src0_sel:WORD_1
	v_cvt_f32_f16_e32 v8, v9
	v_cvt_f32_f16_sdwa v9, v9 dst_sel:DWORD dst_unused:UNUSED_PAD src0_sel:WORD_1
	v_readlane_b32 s4, v172, 44
	s_waitcnt lgkmcnt(3)
	v_pk_fma_f32 v[18:19], v[6:7], v[18:19], 0 op_sel_hi:[0,1,0]
	s_waitcnt lgkmcnt(2)
	v_mov_b32_e32 v6, v11
	v_pk_fma_f32 v[8:9], v[10:11], v[8:9], v[18:19] op_sel_hi:[0,1,1]
	s_waitcnt lgkmcnt(1)
	v_cvt_f32_f16_e32 v18, v12
	v_cvt_f32_f16_sdwa v19, v12 dst_sel:DWORD dst_unused:UNUSED_PAD src0_sel:WORD_1
	v_cvt_f32_f16_e32 v10, v13
	v_cvt_f32_f16_sdwa v11, v13 dst_sel:DWORD dst_unused:UNUSED_PAD src0_sel:WORD_1
	v_mad_u64_u32 v[16:17], s[4:5], v1, s4, v[34:35]
	v_pk_fma_f32 v[8:9], v[6:7], v[18:19], v[8:9] op_sel_hi:[0,1,1]
	s_waitcnt lgkmcnt(0)
	v_pk_fma_f32 v[8:9], v[14:15], v[10:11], v[8:9] op_sel_hi:[0,1,1]
	v_div_scale_f32 v1, s[4:5], v7, v7, v9
	v_rcp_f32_e32 v6, v1
	v_ashrrev_i32_e32 v17, 31, v16
	v_lshl_add_u64 v[16:17], v[16:17], 3, s[86:87]
	v_fma_f32 v10, -v1, v6, 1.0
	v_fmac_f32_e32 v6, v10, v6
	v_div_scale_f32 v10, vcc, v9, v7, v9
	v_mul_f32_e32 v11, v10, v6
	v_fma_f32 v12, -v1, v11, v10
	v_fmac_f32_e32 v11, v12, v6
	v_fma_f32 v1, -v1, v11, v10
	v_div_fmas_f32 v1, v1, v6, v11
	v_div_fixup_f32 v9, v1, v7, v9
	v_div_scale_f32 v1, s[4:5], v7, v7, v8
	v_rcp_f32_e32 v6, v1
	s_nop 0
	v_fma_f32 v10, -v1, v6, 1.0
	v_fmac_f32_e32 v6, v10, v6
	v_div_scale_f32 v10, vcc, v8, v7, v8
	v_mul_f32_e32 v11, v10, v6
	v_fma_f32 v12, -v1, v11, v10
	v_fmac_f32_e32 v11, v12, v6
	v_fma_f32 v1, -v1, v11, v10
	v_div_fmas_f32 v1, v1, v6, v11
	v_div_fixup_f32 v8, v1, v7, v8
	global_store_dwordx2 v[16:17], v[8:9], off
.LBB9_204:                              ;   in Loop: Header=BB9_14 Depth=1
	s_or_b64 exec, exec, s[2:3]
	v_add_u32_e32 v6, s64, v115
	v_cmp_gt_i32_e32 vcc, s56, v6
	v_mov_b32_e32 v1, 0x47
	s_and_saveexec_b64 s[2:3], vcc
	s_cbranch_execz .LBB9_206
; %bb.205:                              ;   in Loop: Header=BB9_14 Depth=1
	v_add_u32_e32 v7, v126, v135
	v_add_u32_e32 v7, 0x80, v7
	ds_read2st64_b32 v[10:11], v7 offset1:11
	v_add_u32_e32 v1, 0, v135
	ds_read2_b32 v[8:9], v1 offset0:40 offset1:41
	v_add_u32_e32 v12, 0xa0, v1
	ds_read2st64_b32 v[12:13], v12 offset0:11 offset1:22
	ds_read2st64_b32 v[14:15], v7 offset0:22 offset1:33
	ds_read_b32 v16, v1 offset:8608
	s_waitcnt lgkmcnt(4)
	v_cvt_f32_f16_e32 v18, v10
	v_cvt_f32_f16_sdwa v19, v10 dst_sel:DWORD dst_unused:UNUSED_PAD src0_sel:WORD_1
	v_cvt_f32_f16_e32 v10, v11
	v_cvt_f32_f16_sdwa v11, v11 dst_sel:DWORD dst_unused:UNUSED_PAD src0_sel:WORD_1
	v_readlane_b32 s4, v172, 44
	s_waitcnt lgkmcnt(3)
	v_pk_fma_f32 v[18:19], v[8:9], v[18:19], 0 op_sel_hi:[0,1,0]
	s_waitcnt lgkmcnt(2)
	v_mov_b32_e32 v8, v13
	v_pk_fma_f32 v[10:11], v[12:13], v[10:11], v[18:19] op_sel_hi:[0,1,1]
	s_waitcnt lgkmcnt(1)
	v_cvt_f32_f16_e32 v18, v14
	v_cvt_f32_f16_sdwa v19, v14 dst_sel:DWORD dst_unused:UNUSED_PAD src0_sel:WORD_1
	v_cvt_f32_f16_e32 v12, v15
	v_cvt_f32_f16_sdwa v13, v15 dst_sel:DWORD dst_unused:UNUSED_PAD src0_sel:WORD_1
	v_mul_lo_u32 v6, v6, s4
	v_pk_fma_f32 v[10:11], v[8:9], v[18:19], v[10:11] op_sel_hi:[0,1,1]
	v_ashrrev_i32_e32 v7, 31, v6
	s_waitcnt lgkmcnt(0)
	v_pk_fma_f32 v[10:11], v[16:17], v[12:13], v[10:11] op_sel_hi:[0,1,1]
	v_div_scale_f32 v1, s[4:5], v9, v9, v11
	v_rcp_f32_e32 v8, v1
	v_lshl_add_u64 v[6:7], v[6:7], 0, v[36:37]
	v_lshl_add_u64 v[6:7], v[6:7], 3, s[86:87]
	v_fma_f32 v12, -v1, v8, 1.0
	v_fmac_f32_e32 v8, v12, v8
	v_div_scale_f32 v12, vcc, v11, v9, v11
	v_mul_f32_e32 v13, v12, v8
	v_fma_f32 v14, -v1, v13, v12
	v_fmac_f32_e32 v13, v14, v8
	v_fma_f32 v1, -v1, v13, v12
	v_div_fmas_f32 v1, v1, v8, v13
	v_div_fixup_f32 v11, v1, v9, v11
	v_div_scale_f32 v1, s[4:5], v9, v9, v10
	v_rcp_f32_e32 v8, v1
	s_nop 0
	v_fma_f32 v12, -v1, v8, 1.0
	v_fmac_f32_e32 v8, v12, v8
	v_div_scale_f32 v12, vcc, v10, v9, v10
	v_mul_f32_e32 v13, v12, v8
	v_fma_f32 v14, -v1, v13, v12
	v_fmac_f32_e32 v13, v14, v8
	v_fma_f32 v1, -v1, v13, v12
	v_div_fmas_f32 v1, v1, v8, v13
	v_div_fixup_f32 v10, v1, v9, v10
	v_mov_b32_e32 v1, 0
	global_store_dwordx2 v[6:7], v[10:11], off offset:256
.LBB9_206:                              ;   in Loop: Header=BB9_14 Depth=1
	s_or_b64 exec, exec, s[2:3]
	v_cmp_gt_i32_e32 vcc, s65, v1
	s_mov_b64 s[2:3], -1
	s_and_saveexec_b64 s[6:7], vcc
; %bb.207:                              ;   in Loop: Header=BB9_14 Depth=1
	v_cmp_eq_u32_e32 vcc, 0, v1
	s_orn2_b64 s[2:3], vcc, exec
; %bb.208:                              ;   in Loop: Header=BB9_14 Depth=1
	s_or_b64 exec, exec, s[6:7]
	s_and_b64 exec, exec, s[2:3]
	s_cbranch_execz .LBB9_12
; %bb.209:                              ;   in Loop: Header=BB9_14 Depth=1
	v_add_u32_e32 v1, s64, v123
	v_cmp_gt_i32_e32 vcc, s56, v1
	s_and_b64 exec, exec, vcc
	s_cbranch_execz .LBB9_12
; %bb.210:                              ;   in Loop: Header=BB9_14 Depth=1
	v_add_u32_e32 v7, v126, v136
	v_add_u32_e32 v7, 0x80, v7
	ds_read2st64_b32 v[10:11], v7 offset1:11
	v_readlane_b32 s2, v172, 44
	s_waitcnt lgkmcnt(0)
	v_cvt_f32_f16_e32 v18, v10
	v_mul_lo_u32 v6, v1, s2
	v_add_u32_e32 v1, 0, v136
	ds_read2_b32 v[8:9], v1 offset0:40 offset1:41
	v_add_u32_e32 v12, 0xa0, v1
	v_cvt_f32_f16_sdwa v19, v10 dst_sel:DWORD dst_unused:UNUSED_PAD src0_sel:WORD_1
	ds_read2st64_b32 v[12:13], v12 offset0:11 offset1:22
	ds_read2st64_b32 v[14:15], v7 offset0:22 offset1:33
	ds_read_b32 v16, v1 offset:8608
	v_cvt_f32_f16_e32 v10, v11
	v_cvt_f32_f16_sdwa v11, v11 dst_sel:DWORD dst_unused:UNUSED_PAD src0_sel:WORD_1
	s_waitcnt lgkmcnt(3)
	v_pk_fma_f32 v[18:19], v[8:9], v[18:19], 0 op_sel_hi:[0,1,0]
	s_waitcnt lgkmcnt(2)
	v_mov_b32_e32 v8, v13
	v_ashrrev_i32_e32 v7, 31, v6
	v_pk_fma_f32 v[10:11], v[12:13], v[10:11], v[18:19] op_sel_hi:[0,1,1]
	s_waitcnt lgkmcnt(1)
	v_cvt_f32_f16_e32 v18, v14
	v_cvt_f32_f16_sdwa v19, v14 dst_sel:DWORD dst_unused:UNUSED_PAD src0_sel:WORD_1
	v_cvt_f32_f16_e32 v12, v15
	v_cvt_f32_f16_sdwa v13, v15 dst_sel:DWORD dst_unused:UNUSED_PAD src0_sel:WORD_1
	v_lshl_add_u64 v[6:7], v[6:7], 0, v[36:37]
	v_pk_fma_f32 v[10:11], v[8:9], v[18:19], v[10:11] op_sel_hi:[0,1,1]
	v_lshl_add_u64 v[6:7], v[6:7], 3, s[86:87]
	s_waitcnt lgkmcnt(0)
	v_pk_fma_f32 v[10:11], v[16:17], v[12:13], v[10:11] op_sel_hi:[0,1,1]
	v_div_scale_f32 v1, s[2:3], v9, v9, v11
	v_rcp_f32_e32 v8, v1
	s_nop 0
	v_fma_f32 v12, -v1, v8, 1.0
	v_fmac_f32_e32 v8, v12, v8
	v_div_scale_f32 v12, vcc, v11, v9, v11
	v_mul_f32_e32 v13, v12, v8
	v_fma_f32 v14, -v1, v13, v12
	v_fmac_f32_e32 v13, v14, v8
	v_fma_f32 v1, -v1, v13, v12
	v_div_fmas_f32 v1, v1, v8, v13
	v_div_fixup_f32 v11, v1, v9, v11
	v_div_scale_f32 v1, s[2:3], v9, v9, v10
	v_rcp_f32_e32 v8, v1
	s_nop 0
	v_fma_f32 v12, -v1, v8, 1.0
	v_fmac_f32_e32 v8, v12, v8
	v_div_scale_f32 v12, vcc, v10, v9, v10
	v_mul_f32_e32 v13, v12, v8
	v_fma_f32 v14, -v1, v13, v12
	v_fmac_f32_e32 v13, v14, v8
	v_fma_f32 v1, -v1, v13, v12
	v_div_fmas_f32 v1, v1, v8, v13
	v_div_fixup_f32 v10, v1, v9, v10
	global_store_dwordx2 v[6:7], v[10:11], off offset:256
	s_branch .LBB9_12
.LBB9_211:
	v_readlane_b32 s12, v172, 27
	v_readlane_b32 s64, v172, 41
	;; [unrolled: 1-line block ×10, first 2 shown]
	s_andn2_b64 vcc, exec, s[0:1]
	s_cbranch_vccnz .LBB9_10
.LBB9_212:
	v_readlane_b32 s6, v172, 7
	s_abs_i32 s0, s6
	v_cvt_f32_u32_e32 v1, s0
	s_sub_i32 s3, 0, s0
	s_abs_i32 s2, s82
	s_xor_b32 s1, s82, s6
	v_rcp_iflag_f32_e32 v1, v1
	s_ashr_i32 s1, s1, 31
	v_readlane_b32 s10, v172, 6
	v_readlane_b32 s7, v172, 3
	v_mul_f32_e32 v1, 0x4f7ffffe, v1
	v_cvt_u32_f32_e32 v1, v1
	s_nop 0
	v_readfirstlane_b32 s4, v1
	s_mul_i32 s3, s3, s4
	s_mul_hi_u32 s3, s4, s3
	s_add_i32 s4, s4, s3
	s_mul_hi_u32 s3, s2, s4
	s_mul_i32 s4, s3, s0
	s_sub_i32 s2, s2, s4
	s_add_i32 s5, s3, 1
	s_sub_i32 s4, s2, s0
	s_cmp_ge_u32 s2, s0
	s_cselect_b32 s3, s5, s3
	s_cselect_b32 s2, s4, s2
	s_add_i32 s4, s3, 1
	s_cmp_ge_u32 s2, s0
	s_cselect_b32 s0, s4, s3
	s_abs_i32 s2, s10
	v_cvt_f32_u32_e32 v1, s2
	s_xor_b32 s0, s0, s1
	s_sub_i32 s3, 0, s2
	s_sub_i32 s8, s0, s1
	v_rcp_iflag_f32_e32 v1, v1
	s_mul_i32 s0, s8, s6
	s_sub_i32 s0, s82, s0
	s_abs_i32 s4, s0
	v_mul_f32_e32 v1, 0x4f7ffffe, v1
	v_cvt_u32_f32_e32 v1, v1
	s_xor_b32 s1, s0, s10
	s_ashr_i32 s1, s1, 31
	v_readfirstlane_b32 s5, v1
	s_mul_i32 s3, s3, s5
	s_mul_hi_u32 s3, s5, s3
	s_add_i32 s5, s5, s3
	s_mul_hi_u32 s3, s4, s5
	s_mul_i32 s5, s3, s2
	s_sub_i32 s4, s4, s5
	s_add_i32 s6, s3, 1
	s_sub_i32 s5, s4, s2
	s_cmp_ge_u32 s4, s2
	s_cselect_b32 s3, s6, s3
	s_cselect_b32 s4, s5, s4
	s_add_i32 s5, s3, 1
	s_cmp_ge_u32 s4, s2
	s_cselect_b32 s2, s5, s3
	s_abs_i32 s3, s7
	v_cvt_f32_u32_e32 v1, s3
	s_xor_b32 s2, s2, s1
	s_sub_i32 s4, 0, s3
	s_sub_i32 s9, s2, s1
	v_rcp_iflag_f32_e32 v1, v1
	s_mul_i32 s1, s9, s10
	s_sub_i32 s1, s0, s1
	s_abs_i32 s2, s1
	v_mul_f32_e32 v1, 0x4f7ffffe, v1
	v_cvt_u32_f32_e32 v1, v1
	s_xor_b32 s0, s1, s7
	s_ashr_i32 s0, s0, 31
	v_readfirstlane_b32 s5, v1
	s_mul_i32 s4, s4, s5
	s_mul_hi_u32 s4, s5, s4
	s_add_i32 s5, s5, s4
	s_mul_hi_u32 s4, s2, s5
	s_mul_i32 s5, s4, s3
	s_sub_i32 s2, s2, s5
	s_add_i32 s6, s4, 1
	s_sub_i32 s5, s2, s3
	s_cmp_ge_u32 s2, s3
	s_cselect_b32 s4, s6, s4
	s_cselect_b32 s2, s5, s2
	s_add_i32 s5, s4, 1
	s_cmp_ge_u32 s2, s3
	s_cselect_b32 s2, s5, s4
	s_xor_b32 s2, s2, s0
	s_sub_i32 s0, s2, s0
	s_mul_i32 s2, s0, s7
	s_sub_i32 s1, s1, s2
	s_abs_i32 s7, s1
	s_ashr_i32 s10, s8, 31
	s_mul_hi_u32 s6, s7, s29
	s_cmp_eq_u64 s[46:47], 0
	s_mov_b64 s[2:3], 0
	s_cbranch_scc1 .LBB9_214
; %bb.213:
	s_abs_i32 s2, s16
	v_cvt_f32_u32_e32 v1, s2
	s_sub_i32 s4, 0, s2
	s_abs_i32 s3, s8
	v_readlane_b32 s16, v172, 15
	v_rcp_iflag_f32_e32 v1, v1
	v_readlane_b32 s17, v172, 16
	v_mul_f32_e32 v1, 0x4f7ffffe, v1
	v_cvt_u32_f32_e32 v1, v1
	s_nop 0
	v_readfirstlane_b32 s5, v1
	s_mul_i32 s4, s4, s5
	s_mul_hi_u32 s4, s5, s4
	s_add_i32 s5, s5, s4
	s_mul_hi_u32 s4, s3, s5
	s_mul_i32 s4, s4, s2
	s_sub_i32 s3, s3, s4
	s_sub_i32 s4, s3, s2
	s_cmp_ge_u32 s3, s2
	s_cselect_b32 s3, s4, s3
	s_sub_i32 s4, s3, s2
	s_cmp_ge_u32 s3, s2
	s_cselect_b32 s2, s4, s3
	s_xor_b32 s2, s2, s10
	s_sub_i32 s2, s2, s10
	s_ashr_i32 s3, s2, 31
	s_mul_hi_u32 s4, s16, s2
	s_mul_i32 s3, s16, s3
	s_mul_i32 s5, s17, s2
	s_add_i32 s3, s4, s3
	s_add_i32 s3, s3, s5
	s_mul_i32 s2, s16, s2
	s_add_u32 s2, s46, s2
	s_addc_u32 s3, s47, s3
.LBB9_214:
	s_ashr_i32 s12, s1, 31
	v_readlane_b32 s1, v172, 2
	s_mul_i32 s11, s9, s1
	s_add_i32 s11, s11, s0
	v_cmp_le_f32_e64 s[0:1], s13, 0
	s_and_b64 vcc, exec, s[0:1]
	v_mov_b32_e32 v16, 1.0
	s_cbranch_vccnz .LBB9_216
; %bb.215:
	v_readlane_b32 s0, v172, 12
	v_mov_b32_e32 v2, s15
	v_mov_b32_e32 v3, s14
	;; [unrolled: 1-line block ×3, first 2 shown]
	v_sub_co_u32_e32 v1, vcc, s11, v1
	s_add_i32 s0, s11, 1
	v_lshlrev_b32_e32 v1, 1, v1
	v_cndmask_b32_e32 v2, v2, v3, vcc
	v_or_b32_e32 v1, 1, v1
	v_mov_b32_e32 v3, s0
	v_cndmask_b32_e32 v1, v1, v3, vcc
	v_cvt_f32_i32_e32 v1, v1
	v_cmp_neq_f32_e32 vcc, 1.0, v2
	s_mov_b32 s0, 0x3f2aaaab
	s_movk_i32 s4, 0x204
	v_cndmask_b32_e32 v1, 1.0, v1, vcc
	v_cmp_neq_f32_e32 vcc, 0, v1
	s_mov_b32 s1, 0x42b17218
	s_mov_b32 s5, 0x3fb8aa3b
	v_cndmask_b32_e32 v18, 1.0, v2, vcc
	v_frexp_mant_f32_e64 v2, |v18|
	v_cmp_gt_f32_e32 vcc, s0, v2
	s_mov_b32 s0, 0x3f317218
	s_brev_b32 s13, -2
	v_cndmask_b32_e64 v3, 1.0, 2.0, vcc
	v_mul_f32_e32 v2, v2, v3
	v_add_f32_e32 v5, 1.0, v2
	v_rcp_f32_e32 v10, v5
	v_add_f32_e32 v3, -1.0, v5
	v_sub_f32_e32 v7, v2, v3
	v_add_f32_e32 v3, -1.0, v2
	v_mul_f32_e32 v11, v3, v10
	v_mul_f32_e32 v4, v5, v11
	v_fma_f32 v6, v11, v5, -v4
	v_fmac_f32_e32 v6, v11, v7
	v_add_f32_e32 v2, v4, v6
	v_sub_f32_e32 v5, v3, v2
	v_pk_add_f32 v[8:9], v[2:3], v[4:5] neg_lo:[0,1] neg_hi:[0,1]
	v_mov_b32_e32 v7, v2
	v_pk_add_f32 v[2:3], v[8:9], v[6:7] neg_lo:[0,1] neg_hi:[0,1]
	v_mov_b32_e32 v6, 0x3e91f4c4
	v_add_f32_e32 v2, v2, v3
	v_add_f32_e32 v2, v5, v2
	v_mul_f32_e32 v3, v10, v2
	v_add_f32_e32 v2, v11, v3
	v_sub_f32_e32 v4, v2, v11
	v_sub_f32_e32 v12, v3, v4
	v_mul_f32_e32 v3, v2, v2
	v_fma_f32 v5, v2, v2, -v3
	v_add_f32_e32 v4, v12, v12
	v_fmac_f32_e32 v5, v2, v4
	v_add_f32_e32 v4, v3, v5
	v_fmac_f32_e32 v6, 0x3e76c4e1, v4
	v_fmaak_f32 v6, v4, v6, 0x3ecccdef
	v_sub_f32_e32 v3, v4, v3
	v_sub_f32_e32 v13, v5, v3
	v_mul_f32_e32 v3, v4, v6
	v_fma_f32 v5, v4, v6, -v3
	v_fmac_f32_e32 v5, v13, v6
	v_add_f32_e32 v6, v3, v5
	v_add_f32_e32 v7, 0x3f2aaaaa, v6
	v_sub_f32_e32 v3, v6, v3
	v_sub_f32_e32 v3, v5, v3
	v_add_f32_e32 v5, 0xbf2aaaaa, v7
	v_add_f32_e32 v3, 0x31739010, v3
	v_sub_f32_e32 v5, v6, v5
	v_pk_mul_f32 v[8:9], v[2:3], v[4:5]
	v_pk_add_f32 v[10:11], v[2:3], v[4:5]
	v_fma_f32 v6, v4, v2, -v8
	v_fmac_f32_e32 v6, v4, v12
	v_mov_b32_e32 v9, v11
	v_fmac_f32_e32 v6, v13, v2
	v_pk_add_f32 v[4:5], v[8:9], v[6:7]
	v_ldexp_f32 v14, v12, 1
	v_sub_f32_e32 v3, v4, v8
	v_sub_f32_e32 v3, v6, v3
	;; [unrolled: 1-line block ×3, first 2 shown]
	v_add_f32_e32 v9, v11, v6
	v_pk_mul_f32 v[6:7], v[4:5], v[4:5] op_sel:[0,1] op_sel_hi:[1,0]
	v_cvt_f64_f32_e64 v[10:11], |v18|
	v_frexp_exp_i32_f64_e32 v7, v[10:11]
	v_subbrev_co_u32_e32 v7, vcc, 0, v7, vcc
	v_cvt_f32_i32_e32 v7, v7
	v_fma_f32 v8, v4, v5, -v6
	v_fmac_f32_e32 v8, v4, v9
	v_fmac_f32_e32 v8, v3, v5
	v_mul_f32_e32 v4, 0x3f317218, v7
	v_fma_f32 v3, v7, s0, -v4
	v_fmamk_f32 v10, v7, 0xb102e308, v3
	v_ldexp_f32 v11, v2, 1
	v_add_f32_e32 v5, v6, v8
	v_pk_add_f32 v[2:3], v[4:5], v[10:11]
	v_mov_b32_e32 v12, v5
	v_mov_b32_e32 v13, v3
	;; [unrolled: 1-line block ×3, first 2 shown]
	v_pk_add_f32 v[6:7], v[12:13], v[6:7] neg_lo:[0,1] neg_hi:[0,1]
	v_mov_b32_e32 v9, v5
	v_pk_add_f32 v[6:7], v[8:9], v[6:7] neg_lo:[0,1] neg_hi:[0,1]
	v_mov_b32_e32 v11, v2
	v_add_f32_e32 v5, v14, v6
	v_add_f32_e32 v5, v5, v7
	v_pk_add_f32 v[6:7], v[2:3], v[4:5] neg_lo:[0,1] neg_hi:[0,1]
	v_pk_add_f32 v[8:9], v[2:3], v[4:5]
	v_mov_b32_e32 v16, v3
	v_mov_b32_e32 v7, v9
	v_pk_add_f32 v[12:13], v[10:11], v[6:7] neg_lo:[0,1] neg_hi:[0,1]
	v_pk_add_f32 v[6:7], v[10:11], v[6:7]
	v_mov_b32_e32 v4, v5
	v_pk_add_f32 v[10:11], v[6:7], v[2:3] op_sel:[1,0] op_sel_hi:[0,1] neg_lo:[0,1] neg_hi:[0,1]
	v_pk_add_f32 v[14:15], v[8:9], v[10:11] op_sel_hi:[1,0] neg_lo:[0,1] neg_hi:[0,1]
	v_mov_b32_e32 v8, v9
	v_mov_b32_e32 v9, v7
	;; [unrolled: 1-line block ×3, first 2 shown]
	v_pk_add_f32 v[8:9], v[8:9], v[16:17] neg_lo:[0,1] neg_hi:[0,1]
	v_mov_b32_e32 v5, v2
	v_pk_add_f32 v[2:3], v[4:5], v[8:9] neg_lo:[0,1] neg_hi:[0,1]
	v_mov_b32_e32 v14, v12
	v_pk_add_f32 v[4:5], v[14:15], v[2:3]
	v_mov_b32_e32 v13, v7
	v_pk_add_f32 v[8:9], v[4:5], v[4:5] op_sel:[0,1] op_sel_hi:[1,0]
	s_mov_b32 s0, 0x7f800000
	v_pk_add_f32 v[6:7], v[6:7], v[8:9] op_sel:[1,0] op_sel_hi:[0,1]
	v_mov_b32_e32 v5, v6
	v_pk_add_f32 v[10:11], v[4:5], v[12:13] neg_lo:[0,1] neg_hi:[0,1]
	v_mov_b32_e32 v3, v8
	v_sub_f32_e32 v4, v4, v10
	v_pk_add_f32 v[2:3], v[2:3], v[10:11] neg_lo:[0,1] neg_hi:[0,1]
	v_sub_f32_e32 v4, v12, v4
	v_add_f32_e32 v2, v2, v4
	v_add_f32_e32 v2, v2, v3
	;; [unrolled: 1-line block ×3, first 2 shown]
	v_sub_f32_e32 v4, v3, v6
	v_sub_f32_e32 v2, v2, v4
	v_mul_f32_e32 v4, v1, v3
	v_fma_f32 v3, v1, v3, -v4
	v_fmac_f32_e32 v3, v1, v2
	v_add_f32_e32 v2, v4, v3
	v_cmp_class_f32_e64 vcc, v4, s4
	v_sub_f32_e32 v5, v2, v4
	v_sub_f32_e32 v3, v3, v5
	v_cndmask_b32_e32 v2, v2, v4, vcc
	v_mov_b32_e32 v4, 0x37000000
	v_cmp_eq_f32_e32 vcc, s1, v2
	v_cmp_class_f32_e64 s[14:15], v18, s4
	s_nop 0
	v_cndmask_b32_e32 v4, 0, v4, vcc
	v_sub_f32_e32 v5, v2, v4
	v_mul_f32_e32 v6, 0x3fb8aa3b, v5
	v_fma_f32 v7, v5, s5, -v6
	v_rndne_f32_e32 v8, v6
	v_fmamk_f32 v7, v5, 0x32a5705f, v7
	v_sub_f32_e32 v6, v6, v8
	v_add_f32_e32 v6, v6, v7
	v_exp_f32_e32 v6, v6
	v_cvt_i32_f32_e32 v7, v8
	v_cmp_neq_f32_e64 vcc, |v2|, s0
	s_mov_b32 s0, 0xc2ce8ed0
	s_nop 0
	v_cndmask_b32_e32 v2, 0, v3, vcc
	v_ldexp_f32 v3, v6, v7
	v_cmp_ngt_f32_e32 vcc, s0, v5
	v_add_f32_e32 v2, v4, v2
	v_mov_b32_e32 v4, 0x7f800000
	v_cndmask_b32_e32 v3, 0, v3, vcc
	v_cmp_nlt_f32_e32 vcc, s1, v5
	v_mov_b32_e32 v5, 0x7fc00000
	s_nop 0
	v_cndmask_b32_e32 v3, v4, v3, vcc
	v_fma_f32 v2, v3, v2, v3
	v_cmp_class_f32_e64 vcc, v3, s4
	v_cmp_gt_f32_e64 s[4:5], 0, v1
	s_nop 0
	v_cndmask_b32_e32 v2, v2, v3, vcc
	v_trunc_f32_e32 v3, v1
	v_cmp_eq_f32_e32 vcc, v3, v1
	v_mul_f32_e32 v3, 0.5, v1
	v_trunc_f32_e32 v6, v3
	v_cmp_neq_f32_e64 s[0:1], v6, v3
	s_and_b64 s[0:1], vcc, s[0:1]
	s_nop 0
	v_cndmask_b32_e64 v3, 1.0, v18, s[0:1]
	v_bfi_b32 v2, s13, v2, v3
	v_cndmask_b32_e32 v3, v5, v2, vcc
	v_cmp_gt_f32_e32 vcc, 0, v18
	s_nop 1
	v_cndmask_b32_e32 v2, v2, v3, vcc
	v_cmp_eq_f32_e32 vcc, 0, v18
	s_xor_b64 s[4:5], s[4:5], vcc
	v_cndmask_b32_e64 v1, v4, 0, s[4:5]
	v_cndmask_b32_e64 v3, 0, v18, s[0:1]
	v_bfi_b32 v1, s13, v1, v3
	s_or_b64 vcc, vcc, s[14:15]
	v_cndmask_b32_e32 v1, v2, v1, vcc
	v_cmp_o_f32_e32 vcc, v18, v18
	s_nop 1
	v_cndmask_b32_e32 v16, v5, v1, vcc
.LBB9_216:
	s_mul_i32 s1, s6, s83
	v_readlane_b32 s0, v172, 20
	s_sub_i32 s1, s7, s1
	s_xor_b32 s0, s12, s0
	s_add_i32 s4, s6, 1
	s_sub_i32 s5, s1, s83
	s_cmp_ge_u32 s1, s83
	s_cselect_b32 s4, s4, s6
	s_cselect_b32 s1, s5, s1
	s_add_i32 s5, s4, 1
	s_cmp_ge_u32 s1, s83
	s_cselect_b32 s1, s5, s4
	s_xor_b32 s1, s1, s0
	s_sub_i32 s4, s1, s0
	s_cmp_eq_u64 s[50:51], 0
	v_mov_b32_e32 v8, s88
	s_cbranch_scc1 .LBB9_218
; %bb.217:
	v_readlane_b32 s0, v172, 0
	s_mul_i32 s0, s8, s0
	s_add_i32 s0, s4, s0
	s_ashr_i32 s1, s0, 31
	s_lshl_b64 s[0:1], s[0:1], 2
	s_add_u32 s0, s50, s0
	s_addc_u32 s1, s51, s1
	v_mov_b32_e32 v1, 0
	global_load_dword v1, v1, s[0:1]
	s_waitcnt vmcnt(0)
	v_ashrrev_i32_e32 v2, 31, v1
	v_lshrrev_b32_e32 v2, 26, v2
	v_add_u32_e32 v1, v1, v2
	v_ashrrev_i32_e32 v1, 6, v1
	v_min_i32_e32 v8, s88, v1
.LBB9_218:
	v_readlane_b32 s6, v172, 8
	v_readlane_b32 s7, v172, 9
	s_mul_i32 s0, s8, s7
	s_ashr_i32 s1, s0, 31
	s_add_u32 s0, s40, s0
	s_mul_i32 s11, s11, s6
	s_addc_u32 s1, s41, s1
	s_ashr_i32 s5, s11, 31
	s_add_u32 s0, s0, s11
	s_addc_u32 s1, s1, s5
	s_lshl_b32 s33, s4, 4
	v_add_u32_e32 v2, v35, v96
	v_add_u32_e32 v3, s33, v2
	s_mov_b32 s6, 0x10001
	v_lshl_add_u32 v52, v34, 2, 0
	v_cmp_le_i32_e32 vcc, s56, v3
	s_and_saveexec_b64 s[4:5], vcc
	s_xor_b64 s[4:5], exec, s[4:5]
; %bb.219:
	s_movk_i32 s7, 0xb0
	v_mad_u32_u24 v1, v2, s7, v52
	v_mov_b32_e32 v3, 0
	ds_write_b32 v1, v3
                                        ; implicit-def: $vgpr3
; %bb.220:
	s_or_saveexec_b64 s[4:5], s[4:5]
	v_mul_lo_u32 v1, v39, s6
	s_xor_b64 exec, exec, s[4:5]
	s_cbranch_execz .LBB9_222
; %bb.221:
	v_readlane_b32 s6, v172, 17
	s_nop 1
	v_mad_u64_u32 v[4:5], s[6:7], v3, s6, v[34:35]
	v_ashrrev_i32_e32 v5, 31, v4
	v_lshl_add_u64 v[4:5], v[4:5], 3, s[0:1]
	global_load_dwordx2 v[4:5], v[4:5], off
	s_movk_i32 s6, 0xb0
	s_waitcnt vmcnt(0)
	v_cvt_pk_f16_f32 v3, v4, v5
	v_pk_mul_f16 v3, v3, v1
	v_mad_u32_u24 v4, v2, s6, v52
	ds_write_b32 v4, v3
.LBB9_222:
	s_or_b64 exec, exec, s[4:5]
	v_add_u32_e32 v2, 8, v2
	v_add_u32_e32 v3, s33, v2
	v_cmp_le_i32_e32 vcc, s56, v3
	s_and_saveexec_b64 s[4:5], vcc
	s_xor_b64 s[4:5], exec, s[4:5]
; %bb.223:
	s_movk_i32 s6, 0xb0
	v_mad_u32_u24 v2, v2, s6, v52
	v_mov_b32_e32 v3, 0
	ds_write_b32 v2, v3
                                        ; implicit-def: $vgpr3
                                        ; implicit-def: $vgpr2
; %bb.224:
	s_or_saveexec_b64 s[4:5], s[4:5]
	v_and_b32_e32 v53, 0x3ff, v0
	s_xor_b64 exec, exec, s[4:5]
	s_cbranch_execz .LBB9_226
; %bb.225:
	v_readlane_b32 s6, v172, 17
	s_nop 1
	v_mad_u64_u32 v[4:5], s[6:7], v3, s6, v[34:35]
	v_ashrrev_i32_e32 v5, 31, v4
	v_lshl_add_u64 v[4:5], v[4:5], 3, s[0:1]
	global_load_dwordx2 v[4:5], v[4:5], off
	s_movk_i32 s6, 0xb0
	v_mad_u32_u24 v2, v2, s6, v52
	s_waitcnt vmcnt(0)
	v_cvt_pk_f16_f32 v0, v4, v5
	v_pk_mul_f16 v0, v0, v1
	ds_write_b32 v2, v0
.LBB9_226:
	s_or_b64 exec, exec, s[4:5]
	v_lshrrev_b32_e32 v54, 3, v53
	v_lshl_add_u32 v71, v45, 3, v54
	v_cmp_gt_u32_e32 vcc, 16, v71
	s_and_saveexec_b64 s[4:5], vcc
	s_cbranch_execz .LBB9_231
; %bb.227:
	v_or_b32_e32 v0, s33, v71
	v_cmp_le_i32_e32 vcc, s56, v0
	s_and_saveexec_b64 s[6:7], vcc
	s_xor_b64 s[6:7], exec, s[6:7]
	s_cbranch_execz .LBB9_229
; %bb.228:
	v_and_b32_e32 v1, 7, v53
	v_mul_u32_u24_e32 v0, 0xb0, v71
	v_lshlrev_b32_e32 v1, 2, v1
	v_add3_u32 v0, 0, v0, v1
	v_mov_b32_e32 v1, 0
	ds_write_b32 v0, v1 offset:128
                                        ; implicit-def: $vgpr0
                                        ; implicit-def: $vgpr1
.LBB9_229:
	s_andn2_saveexec_b64 s[6:7], s[6:7]
	s_cbranch_execz .LBB9_231
; %bb.230:
	v_readlane_b32 s6, v172, 17
	v_and_b32_e32 v4, 7, v53
	v_mov_b32_e32 v5, 0
	v_mul_lo_u32 v2, v0, s6
	v_ashrrev_i32_e32 v3, 31, v2
	v_lshl_add_u64 v[2:3], v[2:3], 0, v[4:5]
	v_lshl_add_u64 v[2:3], v[2:3], 3, s[0:1]
	global_load_dwordx2 v[2:3], v[2:3], off offset:256
	v_mul_u32_u24_e32 v0, 0xb0, v71
	v_lshlrev_b32_e32 v4, 2, v4
	v_add3_u32 v0, 0, v0, v4
	s_waitcnt vmcnt(0)
	v_cvt_pk_f16_f32 v2, v2, v3
	v_pk_mul_f16 v1, v2, v1
	ds_write_b32 v0, v1 offset:128
.LBB9_231:
	s_or_b64 exec, exec, s[4:5]
	v_readlane_b32 s4, v172, 13
	v_readlane_b32 s5, v172, 14
	s_mul_i32 s0, s4, s10
	s_mul_hi_u32 s1, s4, s8
	s_add_i32 s0, s1, s0
	s_mul_i32 s1, s5, s8
	s_add_i32 s0, s0, s1
	s_mul_i32 s1, s4, s8
	s_add_u32 s1, s44, s1
	s_mul_i32 s4, s9, s63
	s_addc_u32 s0, s45, s0
	s_ashr_i32 s5, s4, 31
	s_add_u32 s30, s1, s4
	s_addc_u32 s31, s0, s5
	s_mul_i32 s0, s60, s10
	s_mul_hi_u32 s1, s60, s8
	s_add_i32 s0, s1, s0
	s_mul_i32 s1, s61, s8
	s_add_i32 s0, s0, s1
	s_mul_i32 s1, s60, s8
	v_and_b32_e32 v9, 0xff0, v98
	s_movk_i32 s8, 0xb0
	v_and_b32_e32 v56, 15, v53
	v_and_b32_e32 v1, 0x7e, v54
	v_mad_u32_u24 v0, v9, s8, 0
	v_mul_u32_u24_e32 v73, 0xb0, v56
	v_lshlrev_b32_e32 v55, 2, v1
	v_add3_u32 v10, v0, v73, v55
	v_readlane_b32 s4, v172, 18
	s_waitcnt lgkmcnt(0)
	s_barrier
	ds_read2_b64 v[4:7], v10 offset1:4
	ds_read2_b64 v[0:3], v10 offset0:8 offset1:12
	ds_read_b64 v[20:21], v10 offset:128
	v_readlane_b32 s5, v172, 19
	s_add_u32 s1, s42, s1
	s_mul_i32 s9, s9, s5
	s_addc_u32 s0, s43, s0
	s_ashr_i32 s4, s9, 31
	v_add_u32_e32 v76, -1, v8
	s_add_u32 s35, s1, s9
	v_cmp_ge_i32_e32 vcc, s34, v76
	v_mul_lo_u32 v24, s72, v71
	v_mul_lo_u32 v18, s58, v71
	s_addc_u32 s36, s0, s4
	s_mov_b32 s37, 0
	s_and_b64 vcc, exec, vcc
	v_or_b32_e32 v72, v9, v56
	v_lshlrev_b32_e32 v26, 1, v53
	v_lshrrev_b32_e32 v75, 1, v53
	v_lshlrev_b32_e32 v70, 2, v53
	v_ashrrev_i32_e32 v25, 31, v24
	v_add_u32_e32 v60, 32, v71
	v_lshl_add_u32 v22, s72, 5, v24
	v_lshrrev_b32_e32 v74, 2, v53
	v_lshlrev_b32_e32 v61, 1, v54
	v_ashrrev_i32_e32 v19, 31, v18
	v_lshlrev_b32_e32 v57, 1, v56
	s_waitcnt lgkmcnt(0)
	s_barrier
	s_cbranch_vccnz .LBB9_246
; %bb.232:
	v_mov_b32_e32 v29, 0
	v_mov_b32_e32 v27, v29
	v_mul_u32_u24_e32 v8, 0x90, v45
	v_lshl_add_u64 v[30:31], s[2:3], 0, v[26:27]
	v_add3_u32 v27, 0, v8, v26
	v_add_u32_e32 v8, s33, v45
	v_mul_hi_u32 v9, s70, v8
	v_add_u32_e32 v9, v8, v9
	v_lshrrev_b32_e32 v9, s71, v9
	v_mul_lo_u32 v9, v9, s56
	v_sub_u32_e32 v9, v8, v9
	v_mad_i64_i32 v[32:33], s[4:5], v9, s74, 0
	v_add_u32_e32 v9, 4, v8
	v_mul_hi_u32 v10, s70, v9
	v_add_u32_e32 v10, v9, v10
	v_lshrrev_b32_e32 v10, s71, v10
	v_mul_lo_u32 v10, v10, s56
	v_sub_u32_e32 v9, v9, v10
	v_mad_i64_i32 v[36:37], s[4:5], v9, s74, 0
	v_add_u32_e32 v9, 8, v8
	v_mul_hi_u32 v10, s70, v9
	v_add_u32_e32 v10, v9, v10
	v_lshrrev_b32_e32 v10, s71, v10
	v_mul_lo_u32 v10, v10, s56
	v_sub_u32_e32 v9, v9, v10
	v_add_u32_e32 v8, 12, v8
	v_mad_i64_i32 v[38:39], s[4:5], v9, s74, 0
	v_mul_hi_u32 v9, s70, v8
	v_add_u32_e32 v9, v8, v9
	v_lshrrev_b32_e32 v9, s71, v9
	v_mul_lo_u32 v9, v9, s56
	v_sub_u32_e32 v8, v8, v9
	v_mad_i64_i32 v[40:41], s[4:5], v8, s74, 0
	v_mbcnt_hi_u32_b32 v8, -1, v99
	v_and_b32_e32 v11, 64, v8
	v_add_u32_e32 v11, 64, v11
	v_xor_b32_e32 v12, 32, v8
	v_cmp_lt_i32_e32 vcc, v12, v11
	v_and_b32_e32 v9, 48, v97
	v_and_b32_e32 v44, 4, v70
	v_cndmask_b32_e32 v12, v8, v12, vcc
	v_lshlrev_b32_e32 v80, 2, v12
	v_xor_b32_e32 v12, 16, v8
	v_cmp_lt_i32_e32 vcc, v12, v11
	v_lshl_add_u32 v11, v45, 5, v75
	v_mad_u32_u24 v10, v9, s8, 0
	v_cndmask_b32_e32 v8, v8, v12, vcc
	v_lshlrev_b32_e32 v81, 2, v8
	v_and_b32_e32 v8, 28, v70
	v_mul_u32_u24_e32 v12, 0xb0, v71
	v_lshlrev_b32_e32 v13, 2, v8
	v_add3_u32 v82, 0, v12, v13
	v_mad_u32_u24 v12, v11, s8, 0
	v_lshlrev_b32_e32 v13, 2, v44
	s_movk_i32 s8, 0x80
	v_add3_u32 v85, v12, v13, s8
	v_and_b32_e32 v12, 0xfc, v74
	v_add_u32_e32 v13, v12, v9
	v_add_u16_e32 v9, v12, v9
	v_lshrrev_b16_e32 v9, 1, v9
	v_cmp_gt_u32_e64 s[18:19], 64, v11
	v_mul_lo_u32 v42, s72, v11
	v_mul_u32_u24_e32 v14, 0x90, v72
	v_lshlrev_b32_e32 v9, 2, v9
	v_cmp_gt_u32_e64 s[8:9], 64, v13
	v_cmp_gt_u32_e64 s[10:11], 63, v13
	;; [unrolled: 1-line block ×4, first 2 shown]
	v_mul_lo_u32 v46, s58, v11
	v_or_b32_e32 v11, 3, v61
	v_or_b32_e32 v12, 2, v61
	v_and_b32_e32 v13, 0xfc, v61
	s_mov_b64 s[20:21], src_private_base
	s_cmp_lg_u64 s[2:3], 0
	v_add3_u32 v9, 0, v14, v9
	v_mul_u32_u24_e32 v11, 0xb0, v11
	v_mul_u32_u24_e32 v12, 0xb0, v12
	v_mul_u32_u24_e32 v13, 0xb0, v13
	v_mul_lo_u32 v48, s58, v60
	s_cselect_b64 s[22:23], -1, 0
	v_cmp_gt_u32_e64 s[0:1], 64, v53
	v_add_u32_e32 v77, 0x240, v27
	v_add_u32_e32 v78, 0x480, v27
	;; [unrolled: 1-line block ×3, first 2 shown]
	v_cmp_gt_u32_e64 s[4:5], 64, v71
	v_add_u32_e32 v83, 0x1600, v82
	v_cmp_gt_u32_e64 s[6:7], 32, v71
	v_ashrrev_i32_e32 v23, 31, v22
	v_add3_u32 v84, v10, v73, v55
	v_ashrrev_i32_e32 v43, 31, v42
	v_ashrrev_i32_e32 v47, 31, v46
	;; [unrolled: 1-line block ×3, first 2 shown]
	v_add3_u32 v86, v10, v13, v57
	v_add3_u32 v87, v10, v12, v57
	;; [unrolled: 1-line block ×3, first 2 shown]
	v_mov_b32_e32 v50, v16
	v_mov_b32_e32 v51, v16
	s_lshl_b32 s24, s34, 6
	v_mov_b32_e32 v93, 0xfeffffff
	v_lshlrev_b32_e32 v28, 2, v8
	v_add_u32_e32 v89, 0x2c00, v9
	s_mov_b32 s20, 0x3fb8aa3b
	s_mov_b32 s38, 0xc2ce8ed0
	;; [unrolled: 1-line block ×5, first 2 shown]
	v_mov_b32_e32 v8, v29
	v_mov_b32_e32 v9, v29
	;; [unrolled: 1-line block ×17, first 2 shown]
.LBB9_233:                              ; =>This Inner Loop Header: Depth=1
	v_cndmask_b32_e64 v12, 0, 1, s[22:23]
	v_cmp_ne_u32_e64 s[16:17], 1, v12
	s_andn2_b64 vcc, exec, s[22:23]
	s_ashr_i32 s25, s24, 31
	s_cbranch_vccnz .LBB9_237
; %bb.234:                              ;   in Loop: Header=BB9_233 Depth=1
	v_mov_b32_e32 v12, 0
	v_mov_b32_e32 v13, 0
	;; [unrolled: 1-line block ×4, first 2 shown]
	s_and_saveexec_b64 s[26:27], s[0:1]
	s_cbranch_execz .LBB9_236
; %bb.235:                              ;   in Loop: Header=BB9_233 Depth=1
	v_lshl_add_u64 v[12:13], s[24:25], 1, v[30:31]
	v_lshl_add_u64 v[94:95], v[32:33], 1, v[12:13]
	;; [unrolled: 1-line block ×5, first 2 shown]
	global_load_ushort v12, v[94:95], off
	global_load_ushort v13, v[100:101], off
	;; [unrolled: 1-line block ×4, first 2 shown]
.LBB9_236:                              ;   in Loop: Header=BB9_233 Depth=1
	s_or_b64 exec, exec, s[26:27]
	s_waitcnt vmcnt(3)
	ds_write_b16 v27, v12 offset:11264
	s_waitcnt vmcnt(2)
	ds_write_b16 v77, v13 offset:11264
	;; [unrolled: 2-line block ×4, first 2 shown]
.LBB9_237:                              ;   in Loop: Header=BB9_233 Depth=1
	s_mul_hi_i32 s27, s24, s72
	s_mul_i32 s26, s24, s72
	s_lshl_b64 s[26:27], s[26:27], 2
	s_add_u32 s26, s35, s26
	s_addc_u32 s27, s36, s27
	scratch_store_dwordx4 off, v[8:11], off
	s_and_saveexec_b64 s[28:29], s[18:19]
	s_cbranch_execz .LBB9_239
; %bb.238:                              ;   in Loop: Header=BB9_233 Depth=1
	v_lshl_add_u64 v[12:13], v[42:43], 2, s[26:27]
	v_lshlrev_b32_e32 v14, 2, v44
	v_mov_b32_e32 v15, v29
	v_lshl_add_u64 v[12:13], v[12:13], 0, v[14:15]
	global_load_dwordx4 v[12:15], v[12:13], off offset:128
	s_waitcnt vmcnt(0)
	ds_write_b128 v85, v[12:15]
.LBB9_239:                              ;   in Loop: Header=BB9_233 Depth=1
	s_or_b64 exec, exec, s[28:29]
	v_lshl_add_u64 v[12:13], v[24:25], 2, s[26:27]
	v_lshl_add_u64 v[12:13], v[12:13], 0, v[28:29]
	v_mov_b32_e32 v17, s21
	v_cndmask_b32_e64 v13, v17, v13, s[4:5]
	v_cndmask_b32_e64 v12, v90, v12, s[4:5]
	flat_load_dwordx4 v[12:15], v[12:13]
	v_lshl_add_u64 v[94:95], v[22:23], 2, s[26:27]
	v_lshl_add_u64 v[94:95], v[94:95], 0, v[28:29]
	v_cndmask_b32_e64 v95, v17, v95, s[6:7]
	v_cndmask_b32_e64 v94, v90, v94, s[6:7]
	s_and_b64 vcc, exec, s[16:17]
	s_waitcnt vmcnt(0) lgkmcnt(0)
	ds_write_b128 v82, v[12:15]
	flat_load_dwordx4 v[12:15], v[94:95]
	s_waitcnt vmcnt(0) lgkmcnt(0)
	ds_write_b128 v83, v[12:15]
	s_waitcnt lgkmcnt(0)
	s_barrier
	ds_read2_b64 v[12:15], v84 offset1:4
	ds_read_b64 v[94:95], v84 offset:128
	s_waitcnt lgkmcnt(1)
	v_mfma_f32_16x16x16_f16 v[100:103], v[12:13], v[4:5], 0
	v_mfma_f32_16x16x16_f16 v[12:15], v[14:15], v[6:7], v[100:103]
	s_nop 6
	ds_read2_b64 v[100:103], v84 offset0:8 offset1:12
	s_waitcnt lgkmcnt(0)
	v_mfma_f32_16x16x16_f16 v[12:15], v[100:101], v[0:1], v[12:15]
	s_barrier
	v_mfma_f32_16x16x16_f16 v[12:15], v[102:103], v[2:3], v[12:15]
	v_mfma_f32_16x16x16_f16 v[12:15], v[94:95], v[20:21], v[12:15]
	s_cbranch_vccnz .LBB9_241
; %bb.240:                              ;   in Loop: Header=BB9_233 Depth=1
	ds_read2_b32 v[94:95], v89 offset1:1
	v_mov_b32_e32 v17, v16
	s_waitcnt lgkmcnt(0)
	v_cvt_f32_f16_e32 v100, v94
	v_cvt_f32_f16_e32 v102, v95
	v_cvt_f32_f16_sdwa v103, v95 dst_sel:DWORD dst_unused:UNUSED_PAD src0_sel:WORD_1
	v_cvt_f32_f16_sdwa v101, v94 dst_sel:DWORD dst_unused:UNUSED_PAD src0_sel:WORD_1
	v_pk_fma_f32 v[14:15], v[16:17], v[102:103], v[14:15]
	v_pk_fma_f32 v[12:13], v[50:51], v[100:101], v[12:13]
.LBB9_241:                              ;   in Loop: Header=BB9_233 Depth=1
	s_nop 0
	v_add_f32_e32 v17, 0x40051340, v12
	v_max_f32_e32 v94, v93, v93
	v_max_f32_e32 v17, v94, v17
	v_cndmask_b32_e64 v17, v93, v17, s[8:9]
	v_add_f32_e32 v94, 0x40051340, v13
	v_max_f32_e32 v95, v17, v17
	v_max_f32_e32 v94, v95, v94
	v_cndmask_b32_e64 v17, v17, v94, s[10:11]
	;; [unrolled: 4-line block ×4, first 2 shown]
	ds_bpermute_b32 v94, v80, v17
	v_max_f32_e32 v17, v17, v17
	s_mul_hi_i32 s17, s24, s58
	s_mul_i32 s16, s24, s58
	s_lshl_b64 s[16:17], s[16:17], 2
	s_waitcnt lgkmcnt(0)
	v_max_f32_e32 v94, v94, v94
	v_max_f32_e32 v17, v17, v94
	ds_bpermute_b32 v94, v81, v17
	s_add_u32 s16, s30, s16
	s_addc_u32 s17, s31, s17
	scratch_store_dwordx4 off, v[8:11], off
	s_and_saveexec_b64 s[26:27], s[18:19]
	s_cbranch_execz .LBB9_243
; %bb.242:                              ;   in Loop: Header=BB9_233 Depth=1
	v_lshl_add_u64 v[100:101], v[46:47], 2, s[16:17]
	v_lshlrev_b32_e32 v102, 2, v44
	v_mov_b32_e32 v103, v29
	v_lshl_add_u64 v[100:101], v[100:101], 0, v[102:103]
	global_load_dwordx4 v[100:103], v[100:101], off offset:128
	s_waitcnt vmcnt(0)
	ds_write_b128 v85, v[100:103]
.LBB9_243:                              ;   in Loop: Header=BB9_233 Depth=1
	s_or_b64 exec, exec, s[26:27]
	v_lshl_add_u64 v[100:101], v[18:19], 2, s[16:17]
	v_lshl_add_u64 v[100:101], v[100:101], 0, v[28:29]
	v_mov_b32_e32 v104, s21
	v_cndmask_b32_e64 v101, v104, v101, s[4:5]
	v_cndmask_b32_e64 v100, v90, v100, s[4:5]
	flat_load_dwordx4 v[100:103], v[100:101]
	s_waitcnt lgkmcnt(0)
	v_max_f32_e32 v108, v94, v94
	v_max_f32_e32 v17, v17, v17
	v_lshl_add_u64 v[106:107], v[48:49], 2, s[16:17]
	v_max_f32_e32 v17, v17, v108
	v_lshl_add_u64 v[106:107], v[106:107], 0, v[28:29]
	v_sub_f32_e32 v108, v12, v17
	v_sub_f32_e32 v109, v13, v17
	v_cndmask_b32_e64 v13, v104, v107, s[6:7]
	v_cndmask_b32_e64 v12, v90, v106, s[6:7]
	v_mul_f32_e32 v104, 0x3fb8aa3b, v108
	v_sub_f32_e32 v14, v14, v17
	v_mul_f32_e32 v106, 0x3fb8aa3b, v109
	v_fma_f32 v112, v108, s20, -v104
	v_rndne_f32_e32 v113, v104
	v_sub_f32_e32 v15, v15, v17
	v_mul_f32_e32 v107, 0x3fb8aa3b, v14
	v_fma_f32 v114, v109, s20, -v106
	v_rndne_f32_e32 v115, v106
	v_fmac_f32_e32 v112, 0x32a5705f, v108
	v_sub_f32_e32 v104, v104, v113
	v_sub_f32_e32 v93, v93, v17
	v_mul_f32_e32 v110, 0x3fb8aa3b, v15
	v_fma_f32 v116, v14, s20, -v107
	v_rndne_f32_e32 v117, v107
	v_fmac_f32_e32 v114, 0x32a5705f, v109
	v_sub_f32_e32 v106, v106, v115
	v_mul_f32_e32 v111, 0x3fb8aa3b, v93
	v_fma_f32 v118, v15, s20, -v110
	v_rndne_f32_e32 v119, v110
	v_cvt_i32_f32_e32 v113, v113
	v_fmac_f32_e32 v116, 0x32a5705f, v14
	v_sub_f32_e32 v107, v107, v117
	v_fma_f32 v120, v93, s20, -v111
	v_rndne_f32_e32 v121, v111
	v_cvt_i32_f32_e32 v115, v115
	v_fmac_f32_e32 v118, 0x32a5705f, v15
	v_sub_f32_e32 v110, v110, v119
	v_cvt_i32_f32_e32 v117, v117
	v_fmac_f32_e32 v120, 0x32a5705f, v93
	v_sub_f32_e32 v111, v111, v121
	v_cvt_i32_f32_e32 v119, v119
	v_cvt_i32_f32_e32 v121, v121
	v_cmp_ngt_f32_e32 vcc, s38, v108
	v_mov_b32_e32 v95, s37
	v_mov_b32_e32 v94, s37
	;; [unrolled: 1-line block ×3, first 2 shown]
	s_add_i32 s34, s34, 1
	s_add_i32 s24, s24, 64
	s_waitcnt vmcnt(0)
	ds_write_b128 v82, v[100:103]
	flat_load_dwordx4 v[100:103], v[12:13]
	v_add_f32_e32 v12, v104, v112
	v_add_f32_e32 v13, v106, v114
	v_exp_f32_e32 v12, v12
	v_add_f32_e32 v104, v107, v116
	v_exp_f32_e32 v13, v13
	;; [unrolled: 2-line block ×4, first 2 shown]
	v_exp_f32_e32 v107, v107
	v_ldexp_f32 v12, v12, v113
	v_ldexp_f32 v13, v13, v115
	v_cndmask_b32_e32 v12, 0, v12, vcc
	v_cmp_ngt_f32_e32 vcc, s38, v109
	v_ldexp_f32 v104, v104, v117
	v_ldexp_f32 v106, v106, v119
	v_cndmask_b32_e32 v13, 0, v13, vcc
	v_cmp_ngt_f32_e32 vcc, s38, v14
	v_ldexp_f32 v107, v107, v121
	s_waitcnt vmcnt(0) lgkmcnt(0)
	ds_write_b128 v83, v[100:103]
	v_cndmask_b32_e32 v104, 0, v104, vcc
	v_cmp_ngt_f32_e32 vcc, s38, v15
	s_waitcnt lgkmcnt(0)
	s_barrier
	v_cndmask_b32_e32 v106, 0, v106, vcc
	v_cmp_ngt_f32_e32 vcc, s38, v93
	s_nop 1
	v_cndmask_b32_e32 v107, 0, v107, vcc
	v_cmp_nlt_f32_e32 vcc, s39, v108
	s_nop 1
	v_cndmask_b32_e32 v12, v91, v12, vcc
	v_cmp_nlt_f32_e32 vcc, s39, v109
	v_cndmask_b32_e64 v12, 0, v12, s[8:9]
	s_nop 0
	v_cndmask_b32_e32 v108, v91, v13, vcc
	v_cmp_nlt_f32_e32 vcc, s39, v14
	v_cndmask_b32_e64 v13, v95, v108, s[10:11]
	;; [unrolled: 4-line block ×3, first 2 shown]
	v_add_f32_e32 v94, v108, v12
	v_cndmask_b32_e32 v106, v91, v106, vcc
	v_cmp_nlt_f32_e32 vcc, s39, v93
	s_nop 1
	v_cndmask_b32_e32 v15, v91, v107, vcc
	v_cmp_le_f32_e32 vcc, s40, v93
	s_nop 1
	v_cndmask_b32_e32 v93, 0, v15, vcc
	v_cndmask_b32_e64 v15, v105, v106, s[14:15]
	v_cvt_f16_f32_e32 v95, v93
	v_cvt_pk_f16_f32 v15, v14, v15
	v_cvt_pk_f16_f32 v14, v12, v13
	v_cndmask_b32_e64 v12, v12, v94, s[10:11]
	v_add_f32_e32 v13, v12, v104
	v_cndmask_b32_e64 v12, v12, v13, s[12:13]
	v_add_f32_e32 v13, v12, v106
	v_mul_u32_u24_e32 v94, 0x10001, v95
	v_cndmask_b32_e64 v12, v12, v13, s[14:15]
	v_pk_mul_f16 v13, v69, v94
	v_pk_mul_f16 v105, v63, v94
	;; [unrolled: 1-line block ×5, first 2 shown]
	v_cvt_f32_f16_e32 v62, v13
	v_cvt_f32_f16_sdwa v63, v13 dst_sel:DWORD dst_unused:UNUSED_PAD src0_sel:WORD_1
	ds_read_u16 v13, v88 offset:32
	ds_read_u16 v58, v86 offset:176
	ds_read_u16 v100, v86
	ds_read_u16 v101, v86 offset:32
	ds_read_u16 v102, v86 offset:208
	ds_read_u16 v113, v86 offset:64
	ds_read_u16 v114, v86 offset:240
	ds_read_u16 v115, v86 offset:96
	ds_read_u16 v116, v86 offset:128
	ds_read_u16 v59, v87
	ds_read_u16 v103, v87 offset:32
	ds_read_u16 v110, v88
	ds_read_u16 v117, v87 offset:64
	ds_read_u16 v118, v86 offset:272
	;; [unrolled: 1-line block ×5, first 2 shown]
	v_pk_mul_f16 v68, v68, v94
	s_waitcnt lgkmcnt(5)
	v_perm_b32 v59, v110, v59, s41
	v_perm_b32 v58, v58, v100, s41
	v_pk_mul_f16 v69, v65, v94
	v_pk_mul_f16 v104, v64, v94
	v_cvt_f32_f16_e32 v64, v68
	v_cvt_f32_f16_sdwa v65, v68 dst_sel:DWORD dst_unused:UNUSED_PAD src0_sel:WORD_1
	ds_read_u16 v122, v88 offset:64
	ds_read_u16 v123, v88 offset:96
	ds_read_u16 v124, v88 offset:128
	v_pk_mul_f16 v67, v67, v94
	v_pk_mul_f16 v95, v66, v94
	v_perm_b32 v111, v13, v103, s41
	v_perm_b32 v110, v102, v101, s41
	v_mfma_f32_16x16x16_f16 v[100:103], v[58:59], v[14:15], v[62:65]
	s_waitcnt lgkmcnt(2)
	v_perm_b32 v59, v122, v117, s41
	v_perm_b32 v58, v114, v113, s41
	v_fmac_f32_e32 v12, v92, v93
	v_cvt_f32_f16_e32 v66, v67
	v_cvt_f32_f16_sdwa v67, v67 dst_sel:DWORD dst_unused:UNUSED_PAD src0_sel:WORD_1
	v_cvt_f32_f16_e32 v68, v69
	v_cvt_f32_f16_sdwa v69, v69 dst_sel:DWORD dst_unused:UNUSED_PAD src0_sel:WORD_1
	;; [unrolled: 2-line block ×4, first 2 shown]
	v_mfma_f32_16x16x16_f16 v[62:65], v[110:111], v[14:15], v[66:69]
	v_cvt_f32_f16_e32 v104, v105
	v_cvt_f32_f16_sdwa v105, v105 dst_sel:DWORD dst_unused:UNUSED_PAD src0_sel:WORD_1
	v_cvt_f32_f16_e32 v106, v107
	s_waitcnt lgkmcnt(1)
	v_perm_b32 v67, v123, v119, s41
	v_perm_b32 v66, v118, v115, s41
	v_mfma_f32_16x16x16_f16 v[92:95], v[58:59], v[14:15], v[92:95]
	s_waitcnt lgkmcnt(0)
	v_perm_b32 v59, v124, v120, s41
	v_perm_b32 v58, v121, v116, s41
	v_cvt_f32_f16_sdwa v107, v107 dst_sel:DWORD dst_unused:UNUSED_PAD src0_sel:WORD_1
	v_cvt_f32_f16_e32 v108, v109
	v_cvt_f32_f16_sdwa v109, v109 dst_sel:DWORD dst_unused:UNUSED_PAD src0_sel:WORD_1
	v_cvt_f32_f16_e32 v110, v112
	v_cvt_f32_f16_sdwa v111, v112 dst_sel:DWORD dst_unused:UNUSED_PAD src0_sel:WORD_1
	v_mfma_f32_16x16x16_f16 v[104:107], v[66:67], v[14:15], v[104:107]
	v_cmp_lt_i32_e32 vcc, s34, v76
	v_cvt_pk_f16_f32 v67, v62, v63
	v_cvt_pk_f16_f32 v65, v64, v65
	v_mfma_f32_16x16x16_f16 v[108:111], v[58:59], v[14:15], v[108:111]
	v_cvt_pk_f16_f32 v69, v100, v101
	v_cvt_pk_f16_f32 v68, v102, v103
	;; [unrolled: 1-line block ×6, first 2 shown]
	s_nop 1
	v_cvt_pk_f16_f32 v59, v108, v109
	v_cvt_pk_f16_f32 v58, v110, v111
	s_barrier
	s_cbranch_vccz .LBB9_247
; %bb.244:                              ;   in Loop: Header=BB9_233 Depth=1
	v_mov_b32_e32 v92, v12
	v_mov_b32_e32 v93, v17
	s_branch .LBB9_233
.LBB9_245:
                                        ; implicit-def: $sgpr4_sgpr5
                                        ; kill: killed $sgpr4_sgpr5
	s_load_dwordx2 s[70:71], s[0:1], 0x5c
	s_branch .LBB9_7
.LBB9_246:
	v_mov_b32_e32 v17, 0xfeffffff
	v_mov_b32_e32 v12, 0
	;; [unrolled: 1-line block ×12, first 2 shown]
.LBB9_247:
	s_lshl_b32 s16, s34, 6
	v_readlane_b32 s0, v172, 4
	s_sub_i32 s20, s0, s16
	s_cmp_lg_u64 s[2:3], 0
	s_cselect_b64 s[4:5], -1, 0
	s_ashr_i32 s17, s16, 31
	s_cmp_eq_u64 s[2:3], 0
	v_readlane_b32 s1, v172, 5
	s_cbranch_scc1 .LBB9_257
; %bb.248:
	s_lshl_b64 s[0:1], s[16:17], 1
	s_add_u32 s0, s2, s0
	s_addc_u32 s1, s3, s1
	v_mov_b32_e32 v27, 0
	v_cmp_gt_i32_e32 vcc, s20, v53
	v_lshl_add_u64 v[8:9], s[0:1], 0, v[26:27]
	v_mov_b32_e32 v11, 0
	s_and_saveexec_b64 s[0:1], vcc
	s_cbranch_execz .LBB9_250
; %bb.249:
	v_add_u32_e32 v10, s33, v45
	v_mul_hi_u32 v11, s70, v10
	v_add_u32_e32 v11, v10, v11
	v_lshrrev_b32_e32 v11, s71, v11
	v_mul_lo_u32 v11, v11, s56
	v_sub_u32_e32 v10, v10, v11
	v_mad_i64_i32 v[10:11], s[2:3], v10, s74, 0
	v_lshl_add_u64 v[10:11], v[10:11], 1, v[8:9]
	global_load_ushort v11, v[10:11], off
.LBB9_250:
	s_or_b64 exec, exec, s[0:1]
	s_movk_i32 s0, 0x90
	v_mad_u32_u24 v10, v45, s0, 0
	v_lshl_add_u32 v13, v53, 1, v10
	s_waitcnt vmcnt(0)
	ds_write_b16 v13, v11 offset:11264
	s_and_saveexec_b64 s[0:1], vcc
	s_cbranch_execz .LBB9_252
; %bb.251:
	v_add3_u32 v11, v45, s33, 4
	v_mul_hi_u32 v13, s70, v11
	v_add_u32_e32 v13, v11, v13
	v_lshrrev_b32_e32 v13, s71, v13
	v_mul_lo_u32 v13, v13, s56
	v_sub_u32_e32 v11, v11, v13
	v_mad_i64_i32 v[14:15], s[2:3], v11, s74, 0
	v_lshl_add_u64 v[14:15], v[14:15], 1, v[8:9]
	global_load_ushort v27, v[14:15], off
.LBB9_252:
	s_or_b64 exec, exec, s[0:1]
	v_add_u32_e32 v11, 0x240, v10
	v_lshl_add_u32 v10, v53, 1, v11
	s_waitcnt vmcnt(0)
	ds_write_b16 v10, v27 offset:11264
	v_mov_b32_e32 v10, 0
	v_mov_b32_e32 v13, 0
	s_and_saveexec_b64 s[0:1], vcc
	s_cbranch_execz .LBB9_254
; %bb.253:
	v_add3_u32 v13, v45, s33, 8
	v_mul_hi_u32 v14, s70, v13
	v_add_u32_e32 v14, v13, v14
	v_lshrrev_b32_e32 v14, s71, v14
	v_mul_lo_u32 v14, v14, s56
	v_sub_u32_e32 v13, v13, v14
	v_mad_i64_i32 v[14:15], s[2:3], v13, s74, 0
	v_lshl_add_u64 v[14:15], v[14:15], 1, v[8:9]
	global_load_ushort v13, v[14:15], off
.LBB9_254:
	s_or_b64 exec, exec, s[0:1]
	v_add_u32_e32 v11, 0x240, v11
	v_lshl_add_u32 v11, v53, 1, v11
	s_waitcnt vmcnt(0)
	ds_write_b16 v11, v13 offset:11264
	s_and_saveexec_b64 s[0:1], vcc
	s_cbranch_execz .LBB9_256
; %bb.255:
	v_add3_u32 v10, v45, s33, 12
	v_mul_hi_u32 v13, s70, v10
	v_add_u32_e32 v13, v10, v13
	v_lshrrev_b32_e32 v13, s71, v13
	v_mul_lo_u32 v13, v13, s56
	v_sub_u32_e32 v10, v10, v13
	v_mad_i64_i32 v[14:15], s[2:3], v10, s74, 0
	v_lshl_add_u64 v[8:9], v[14:15], 1, v[8:9]
	global_load_ushort v10, v[8:9], off
.LBB9_256:
	s_or_b64 exec, exec, s[0:1]
	s_waitcnt vmcnt(0)
	ds_write_b16 v11, v10 offset:11840
.LBB9_257:
	s_mul_hi_i32 s1, s16, s72
	s_mul_i32 s0, s16, s72
	s_lshl_b64 s[0:1], s[0:1], 2
	s_add_u32 s0, s35, s0
	v_lshl_add_u32 v14, v45, 5, v75
	v_mov_b32_e32 v8, 0
	s_mov_b64 s[2:3], src_private_base
	s_addc_u32 s1, s36, s1
	v_cmp_gt_u32_e64 s[10:11], 64, v14
	v_mov_b32_e32 v9, v8
	v_mov_b32_e32 v10, v8
	;; [unrolled: 1-line block ×3, first 2 shown]
	scratch_store_dwordx4 off, v[8:11], off
	s_and_saveexec_b64 s[6:7], s[10:11]
	s_cbranch_execz .LBB9_259
; %bb.258:
	v_mul_lo_u32 v10, s72, v14
	v_ashrrev_i32_e32 v11, 31, v10
	v_and_b32_e32 v9, 4, v70
	v_lshl_add_u64 v[10:11], v[10:11], 2, s[0:1]
	v_lshlrev_b32_e32 v30, 2, v9
	v_mov_b32_e32 v31, v8
	v_lshl_add_u64 v[10:11], v[10:11], 0, v[30:31]
	s_mov_b64 s[8:9], 0x80
	v_lshl_add_u64 v[10:11], v[10:11], 0, s[8:9]
	v_mov_b32_e32 v9, s3
	v_cmp_gt_i32_e32 vcc, s20, v14
	s_nop 1
	v_cndmask_b32_e32 v11, v9, v11, vcc
	v_mov_b32_e32 v9, 0
	v_cndmask_b32_e32 v10, v9, v10, vcc
	flat_load_dwordx4 v[26:29], v[10:11]
	v_mul_u32_u24_e32 v9, 0xb0, v14
	v_add3_u32 v9, 0, v9, v30
	s_waitcnt vmcnt(0) lgkmcnt(0)
	ds_write_b128 v9, v[26:29] offset:128
.LBB9_259:
	s_or_b64 exec, exec, s[6:7]
	v_and_b32_e32 v9, 28, v70
	v_lshlrev_b32_e32 v10, 2, v9
	v_lshl_add_u64 v[24:25], v[24:25], 2, s[0:1]
	v_mov_b32_e32 v11, v8
	v_lshl_add_u64 v[8:9], v[24:25], 0, v[10:11]
	v_mov_b32_e32 v13, s3
	v_cmp_gt_i32_e64 s[8:9], s20, v71
	v_mov_b32_e32 v15, 0
	v_ashrrev_i32_e32 v23, 31, v22
	v_cndmask_b32_e64 v9, v13, v9, s[8:9]
	v_cndmask_b32_e64 v8, v15, v8, s[8:9]
	flat_load_dwordx4 v[24:27], v[8:9]
	v_mul_u32_u24_e32 v8, 0xb0, v71
	v_lshl_add_u64 v[22:23], v[22:23], 2, s[0:1]
	v_add3_u32 v9, 0, v8, v10
	v_lshl_add_u64 v[22:23], v[22:23], 0, v[10:11]
	v_cmp_gt_i32_e64 s[0:1], s20, v60
	s_movk_i32 s2, 0xb0
	v_and_b32_e32 v8, 48, v97
	v_cndmask_b32_e64 v23, v13, v23, s[0:1]
	v_cndmask_b32_e64 v22, v15, v22, s[0:1]
	v_mad_u32_u24 v13, v8, s2, 0
	v_add3_u32 v11, v13, v73, v55
	s_andn2_b64 vcc, exec, s[4:5]
	s_waitcnt vmcnt(0) lgkmcnt(0)
	ds_write_b128 v9, v[24:27]
	flat_load_dwordx4 v[22:25], v[22:23]
	s_waitcnt vmcnt(0) lgkmcnt(0)
	ds_write_b128 v9, v[22:25] offset:5632
	s_waitcnt lgkmcnt(0)
	s_barrier
	ds_read2_b64 v[22:25], v11 offset1:4
	s_waitcnt lgkmcnt(0)
	v_mfma_f32_16x16x16_f16 v[26:29], v[22:23], v[4:5], 0
	v_mfma_f32_16x16x16_f16 v[4:7], v[24:25], v[6:7], v[26:29]
	ds_read2_b64 v[22:25], v11 offset0:8 offset1:12
	s_waitcnt lgkmcnt(0)
	v_mfma_f32_16x16x16_f16 v[4:7], v[22:23], v[0:1], v[4:7]
	ds_read_b64 v[22:23], v11 offset:128
	v_and_b32_e32 v11, 0xfc, v74
	s_waitcnt lgkmcnt(0)
	v_mfma_f32_16x16x16_f16 v[0:3], v[24:25], v[2:3], v[4:7]
	s_barrier
	v_mfma_f32_16x16x16_f16 v[0:3], v[22:23], v[20:21], v[0:3]
	s_nop 1
	v_add_u32_e32 v4, v11, v8
	s_cbranch_vccnz .LBB9_261
; %bb.260:
	s_movk_i32 s2, 0x90
	v_mad_u32_u24 v5, v72, s2, 0
	v_lshlrev_b32_e32 v6, 1, v4
	s_movk_i32 s2, 0x2c00
	v_add3_u32 v5, v5, v6, s2
	ds_read2_b32 v[6:7], v5 offset1:1
	s_waitcnt lgkmcnt(0)
	v_cvt_f32_f16_e32 v20, v6
	v_cvt_f32_f16_e32 v22, v7
	v_cvt_f32_f16_sdwa v23, v7 dst_sel:DWORD dst_unused:UNUSED_PAD src0_sel:WORD_1
	v_cvt_f32_f16_sdwa v21, v6 dst_sel:DWORD dst_unused:UNUSED_PAD src0_sel:WORD_1
	v_pk_fma_f32 v[2:3], v[16:17], v[22:23], v[2:3] op_sel_hi:[0,1,1]
	v_pk_fma_f32 v[0:1], v[16:17], v[20:21], v[0:1] op_sel_hi:[0,1,1]
.LBB9_261:
	v_add_f32_e32 v5, 0x40051340, v0
	v_max_f32_e32 v6, v17, v17
	v_max_f32_e32 v5, v6, v5
	v_cmp_gt_u32_e64 s[4:5], s20, v4
	v_or_b32_e32 v6, 1, v4
	v_add_f32_e32 v7, 0x40051340, v1
	v_cndmask_b32_e64 v5, v17, v5, s[4:5]
	v_max_f32_e32 v8, v5, v5
	v_max_f32_e32 v7, v8, v7
	v_cmp_gt_u32_e64 s[12:13], s20, v6
	v_or_b32_e32 v6, 2, v4
	v_cmp_gt_u32_e64 s[6:7], s20, v6
	v_cndmask_b32_e64 v5, v5, v7, s[12:13]
	v_add_f32_e32 v7, 0x40051340, v2
	v_max_f32_e32 v8, v5, v5
	v_max_f32_e32 v7, v8, v7
	v_cndmask_b32_e64 v5, v5, v7, s[6:7]
	v_or_b32_e32 v4, 3, v4
	v_add_f32_e32 v6, 0x40051340, v3
	v_max_f32_e32 v7, v5, v5
	v_max_f32_e32 v6, v7, v6
	v_cmp_gt_u32_e32 vcc, s20, v4
	s_mul_hi_i32 s3, s16, s58
	s_mul_i32 s2, s16, s58
	v_cndmask_b32_e32 v4, v5, v6, vcc
	v_mbcnt_hi_u32_b32 v5, -1, v99
	v_and_b32_e32 v6, 64, v5
	v_add_u32_e32 v6, 64, v6
	v_xor_b32_e32 v7, 32, v5
	v_cmp_lt_i32_e64 s[14:15], v7, v6
	s_lshl_b64 s[2:3], s[2:3], 2
	s_add_u32 s2, s30, s2
	v_cndmask_b32_e64 v7, v5, v7, s[14:15]
	v_lshlrev_b32_e32 v21, 2, v7
	ds_bpermute_b32 v7, v21, v4
	v_max_f32_e32 v4, v4, v4
	s_mov_b64 s[18:19], src_private_base
	v_add_u32_e32 v8, 0x1600, v9
	s_addc_u32 s3, s31, s3
	s_waitcnt lgkmcnt(0)
	v_max_f32_e32 v7, v7, v7
	v_max_f32_e32 v15, v4, v7
	v_xor_b32_e32 v4, 16, v5
	v_cmp_lt_i32_e64 s[14:15], v4, v6
	s_mov_b32 s16, 0
	s_nop 0
	v_cndmask_b32_e64 v4, v5, v4, s[14:15]
	v_lshlrev_b32_e32 v23, 2, v4
	ds_bpermute_b32 v16, v23, v15
	v_mov_b32_e32 v4, 0
	v_mov_b32_e32 v5, v4
	;; [unrolled: 1-line block ×4, first 2 shown]
	scratch_store_dwordx4 off, v[4:7], off
	s_and_saveexec_b64 s[14:15], s[10:11]
	s_cbranch_execz .LBB9_263
; %bb.262:
	v_mul_lo_u32 v24, s58, v14
	v_and_b32_e32 v5, 4, v70
	v_ashrrev_i32_e32 v25, 31, v24
	v_lshlrev_b32_e32 v6, 2, v5
	v_lshl_add_u64 v[24:25], v[24:25], 2, s[2:3]
	v_mov_b32_e32 v7, v4
	v_lshl_add_u64 v[24:25], v[24:25], 0, v[6:7]
	s_mov_b64 s[10:11], 0x80
	v_lshl_add_u64 v[24:25], v[24:25], 0, s[10:11]
	v_mov_b32_e32 v5, s19
	v_cmp_gt_i32_e64 s[10:11], s20, v14
	s_nop 1
	v_cndmask_b32_e64 v25, v5, v25, s[10:11]
	v_mov_b32_e32 v5, 0
	v_cndmask_b32_e64 v24, v5, v24, s[10:11]
	flat_load_dwordx4 v[24:27], v[24:25]
	v_mul_u32_u24_e32 v5, 0xb0, v14
	v_add3_u32 v5, 0, v5, v6
	s_waitcnt vmcnt(0) lgkmcnt(0)
	ds_write_b128 v5, v[24:27] offset:128
.LBB9_263:
	s_or_b64 exec, exec, s[14:15]
	v_lshl_add_u64 v[6:7], v[18:19], 2, s[2:3]
	v_mov_b32_e32 v11, v4
	v_lshl_add_u64 v[4:5], v[6:7], 0, v[10:11]
	v_mov_b32_e32 v18, s19
	v_mov_b32_e32 v22, 0
	v_cndmask_b32_e64 v5, v18, v5, s[8:9]
	v_cndmask_b32_e64 v4, v22, v4, s[8:9]
	flat_load_dwordx4 v[4:7], v[4:5]
	s_waitcnt lgkmcnt(0)
	v_max_f32_e32 v16, v16, v16
	v_max_f32_e32 v20, v15, v15
	v_or_b32_e32 v25, 3, v61
	v_mul_lo_u32 v24, s58, v60
	v_max_f32_e32 v20, v20, v16
	v_mul_u32_u24_e32 v16, 0xb0, v25
	v_ashrrev_i32_e32 v25, 31, v24
	v_sub_f32_e32 v29, v0, v20
	v_sub_f32_e32 v30, v1, v20
	v_lshl_add_u64 v[0:1], v[24:25], 2, s[2:3]
	v_sub_f32_e32 v31, v2, v20
	v_mul_f32_e32 v2, 0x3fb8aa3b, v29
	v_lshl_add_u64 v[0:1], v[0:1], 0, v[10:11]
	s_mov_b32 s9, 0x3fb8aa3b
	v_sub_f32_e32 v32, v3, v20
	v_rndne_f32_e32 v3, v2
	v_cndmask_b32_e64 v1, v18, v1, s[0:1]
	v_cndmask_b32_e64 v0, v22, v0, s[0:1]
	v_fma_f32 v10, v29, s9, -v2
	v_sub_f32_e32 v18, v2, v3
	v_cvt_i32_f32_e32 v22, v3
	v_or_b32_e32 v27, 2, v61
	v_and_b32_e32 v28, 0xfc, v61
	v_mul_u32_u24_e32 v27, 0xb0, v27
	v_mul_u32_u24_e32 v28, 0xb0, v28
	v_add3_u32 v33, v13, v28, v57
	v_add3_u32 v27, v13, v27, v57
	;; [unrolled: 1-line block ×3, first 2 shown]
	v_mul_f32_e32 v16, 0x3fb8aa3b, v30
	v_mul_f32_e32 v24, 0x3fb8aa3b, v31
	;; [unrolled: 1-line block ×3, first 2 shown]
	v_fma_f32 v11, v30, s9, -v16
	v_rndne_f32_e32 v36, v16
	v_fma_f32 v37, v31, s9, -v24
	v_rndne_f32_e32 v38, v24
	;; [unrolled: 2-line block ×3, first 2 shown]
	v_fmac_f32_e32 v10, 0x32a5705f, v29
	v_sub_f32_e32 v17, v17, v20
	v_fmac_f32_e32 v11, 0x32a5705f, v30
	v_fmac_f32_e32 v37, 0x32a5705f, v31
	;; [unrolled: 1-line block ×3, first 2 shown]
	v_add_f32_e32 v10, v18, v10
	v_mul_f32_e32 v28, 0x3fb8aa3b, v17
	v_exp_f32_e32 v10, v10
	v_fma_f32 v41, v17, s9, -v28
	v_rndne_f32_e32 v42, v28
	v_fmac_f32_e32 v41, 0x32a5705f, v17
	s_mov_b32 s10, 0xc2ce8ed0
	v_ldexp_f32 v10, v10, v22
	v_cmp_ngt_f32_e64 s[0:1], s10, v29
	s_mov_b32 s11, 0x42b17218
	v_mov_b32_e32 v26, 0x7f800000
	s_mov_b32 s14, 0xc1a00000
	v_mov_b32_e32 v15, s16
	v_mov_b32_e32 v14, s16
	v_mov_b32_e32 v19, s16
	s_mov_b32 s8, 0x5040100
	s_waitcnt vmcnt(0)
	ds_write_b128 v9, v[4:7]
	flat_load_dwordx4 v[0:3], v[0:1]
	v_sub_f32_e32 v4, v16, v36
	v_sub_f32_e32 v6, v24, v38
	v_sub_f32_e32 v9, v25, v40
	v_add_f32_e32 v4, v4, v11
	v_add_f32_e32 v6, v6, v37
	v_add_f32_e32 v9, v9, v39
	v_cvt_i32_f32_e32 v5, v36
	v_cvt_i32_f32_e32 v7, v38
	;; [unrolled: 1-line block ×3, first 2 shown]
	v_exp_f32_e32 v4, v4
	v_exp_f32_e32 v6, v6
	;; [unrolled: 1-line block ×3, first 2 shown]
	v_sub_f32_e32 v24, v28, v42
	v_add_f32_e32 v11, v24, v41
	v_cvt_i32_f32_e32 v25, v42
	v_exp_f32_e32 v11, v11
	v_ldexp_f32 v4, v4, v5
	v_ldexp_f32 v5, v6, v7
	;; [unrolled: 1-line block ×3, first 2 shown]
	v_cndmask_b32_e64 v9, 0, v10, s[0:1]
	v_cmp_ngt_f32_e64 s[0:1], s10, v30
	v_ldexp_f32 v7, v11, v25
	s_waitcnt vmcnt(0) lgkmcnt(0)
	ds_write_b128 v8, v[0:3]
	v_cndmask_b32_e64 v4, 0, v4, s[0:1]
	v_cmp_ngt_f32_e64 s[0:1], s10, v31
	s_waitcnt lgkmcnt(0)
	s_barrier
	v_cndmask_b32_e64 v5, 0, v5, s[0:1]
	v_cmp_ngt_f32_e64 s[0:1], s10, v32
	s_nop 1
	v_cndmask_b32_e64 v6, 0, v6, s[0:1]
	v_cmp_ngt_f32_e64 s[0:1], s10, v17
	s_nop 1
	v_cndmask_b32_e64 v7, 0, v7, s[0:1]
	v_cmp_nlt_f32_e64 s[0:1], s11, v29
	s_nop 1
	v_cndmask_b32_e64 v9, v26, v9, s[0:1]
	v_cmp_nlt_f32_e64 s[0:1], s11, v30
	;; [unrolled: 3-line block ×3, first 2 shown]
	v_cndmask_b32_e64 v4, 0, v9, s[4:5]
	v_add_f32_e32 v9, v10, v4
	v_cndmask_b32_e64 v11, v26, v5, s[0:1]
	v_cmp_nlt_f32_e64 s[0:1], s11, v32
	v_cndmask_b32_e64 v5, v15, v10, s[12:13]
	v_cvt_pk_f16_f32 v28, v4, v5
	v_cndmask_b32_e64 v16, v26, v6, s[0:1]
	v_cmp_nlt_f32_e64 s[0:1], s11, v17
	v_cndmask_b32_e64 v4, v4, v9, s[12:13]
	v_add_f32_e32 v5, v4, v11
	v_cndmask_b32_e64 v7, v26, v7, s[0:1]
	v_cmp_le_f32_e64 s[0:1], s14, v17
	v_cndmask_b32_e64 v6, v14, v11, s[6:7]
	v_cndmask_b32_e64 v18, v4, v5, s[6:7]
	;; [unrolled: 1-line block ×3, first 2 shown]
	v_cvt_f16_f32_e32 v10, v22
	v_cndmask_b32_e32 v7, v19, v16, vcc
	v_add_f32_e32 v19, v18, v16
	v_cvt_pk_f16_f32 v29, v6, v7
	v_mul_u32_u24_e32 v30, 0x10001, v10
	v_pk_mul_f16 v9, v67, v30
	v_pk_mul_f16 v10, v65, v30
	;; [unrolled: 1-line block ×3, first 2 shown]
	v_cvt_f32_f16_e32 v14, v9
	v_cvt_f32_f16_sdwa v15, v9 dst_sel:DWORD dst_unused:UNUSED_PAD src0_sel:WORD_1
	v_cvt_f32_f16_e32 v16, v10
	v_cvt_f32_f16_sdwa v17, v10 dst_sel:DWORD dst_unused:UNUSED_PAD src0_sel:WORD_1
	;; [unrolled: 2-line block ×3, first 2 shown]
	ds_read_u16 v2, v13 offset:32
	ds_read_u16 v0, v33 offset:176
	ds_read_u16 v3, v33
	ds_read_u16 v8, v33 offset:32
	ds_read_u16 v10, v33 offset:208
	;; [unrolled: 1-line block ×6, first 2 shown]
	ds_read_u16 v1, v27
	ds_read_u16 v9, v27 offset:32
	ds_read_u16 v11, v13
	ds_read_u16 v39, v27 offset:64
	ds_read_u16 v40, v33 offset:272
	;; [unrolled: 1-line block ×5, first 2 shown]
	v_pk_mul_f16 v5, v69, v30
	v_pk_mul_f16 v7, v68, v30
	s_waitcnt lgkmcnt(5)
	v_perm_b32 v1, v11, v1, s8
	v_perm_b32 v0, v0, v3, s8
	v_perm_b32 v9, v2, v9, s8
	v_perm_b32 v8, v10, v8, s8
	v_cvt_f32_f16_e32 v4, v5
	v_cvt_f32_f16_sdwa v5, v5 dst_sel:DWORD dst_unused:UNUSED_PAD src0_sel:WORD_1
	v_cvt_f32_f16_e32 v6, v7
	v_cvt_f32_f16_sdwa v7, v7 dst_sel:DWORD dst_unused:UNUSED_PAD src0_sel:WORD_1
	ds_read_u16 v11, v13 offset:64
	ds_read_u16 v43, v13 offset:96
	;; [unrolled: 1-line block ×3, first 2 shown]
	v_pk_mul_f16 v31, v64, v30
	v_mfma_f32_16x16x16_f16 v[0:3], v[0:1], v[28:29], v[4:7]
	v_cvt_f32_f16_e32 v26, v31
	v_cvt_f32_f16_sdwa v27, v31 dst_sel:DWORD dst_unused:UNUSED_PAD src0_sel:WORD_1
	v_cndmask_b32_e32 v31, v18, v19, vcc
	v_mfma_f32_16x16x16_f16 v[4:7], v[8:9], v[28:29], v[14:17]
	v_pk_mul_f16 v13, v63, v30
	s_waitcnt lgkmcnt(1)
	v_perm_b32 v19, v43, v41, s8
	v_perm_b32 v18, v40, v37, s8
	v_pk_mul_f16 v17, v62, v30
	v_perm_b32 v11, v11, v39, s8
	v_perm_b32 v10, v36, v32, s8
	v_cvt_f32_f16_e32 v14, v13
	v_cvt_f32_f16_sdwa v15, v13 dst_sel:DWORD dst_unused:UNUSED_PAD src0_sel:WORD_1
	v_cvt_f32_f16_e32 v16, v17
	v_cvt_f32_f16_sdwa v17, v17 dst_sel:DWORD dst_unused:UNUSED_PAD src0_sel:WORD_1
	v_fmac_f32_e32 v31, v12, v22
	v_pk_mul_f16 v22, v59, v30
	v_mfma_f32_16x16x16_f16 v[12:15], v[18:19], v[28:29], v[14:17]
	s_movk_i32 s4, 0xb0
	v_cmp_gt_u32_e64 s[0:1], 16, v53
	s_nop 0
	v_cvt_f32_f16_e32 v16, v22
	v_cvt_f32_f16_sdwa v17, v22 dst_sel:DWORD dst_unused:UNUSED_PAD src0_sel:WORD_1
	ds_bpermute_b32 v22, v21, v31
	v_mfma_f32_16x16x16_f16 v[8:11], v[10:11], v[28:29], v[24:27]
	s_waitcnt lgkmcnt(0)
	s_barrier
	s_nop 0
	v_pk_mul_f16 v26, v58, v30
	v_perm_b32 v25, v44, v42, s8
	v_perm_b32 v24, v33, v38, s8
	v_cvt_f32_f16_e32 v18, v26
	v_cvt_f32_f16_sdwa v19, v26 dst_sel:DWORD dst_unused:UNUSED_PAD src0_sel:WORD_1
	v_add_f32_e32 v22, v31, v22
	s_nop 0
	v_mfma_f32_16x16x16_f16 v[16:19], v[24:25], v[28:29], v[16:19]
	ds_bpermute_b32 v24, v23, v22
	s_and_saveexec_b64 s[2:3], s[0:1]
	s_cbranch_execz .LBB9_265
; %bb.264:
	s_waitcnt lgkmcnt(0)
	v_add_f32_e32 v22, v22, v24
	v_or_b32_e32 v24, v97, v53
	v_mad_u32_u24 v24, v24, s4, 0
	ds_write2_b32 v24, v20, v22 offset0:40 offset1:41
.LBB9_265:
	s_or_b64 exec, exec, s[2:3]
	v_and_b32_e32 v20, 3, v45
	v_cmp_eq_u32_e32 vcc, 0, v20
	v_cmp_ne_u32_e64 s[4:5], 0, v20
	s_waitcnt lgkmcnt(0)
	s_barrier
	s_and_saveexec_b64 s[2:3], s[4:5]
	s_xor_b64 s[2:3], exec, s[2:3]
	s_cbranch_execz .LBB9_267
; %bb.266:
	s_barrier
                                        ; implicit-def: $vgpr21
                                        ; implicit-def: $vgpr23
                                        ; implicit-def: $vgpr98
.LBB9_267:
	s_andn2_saveexec_b64 s[2:3], s[2:3]
	s_cbranch_execz .LBB9_271
; %bb.268:
	v_add_u32_e32 v20, v97, v53
	s_movk_i32 s4, 0xb0
	v_mad_u32_u24 v26, v20, s4, 0
	ds_read_b64 v[24:25], v26 offset:160
	s_mov_b32 s4, 0x3fb8aa3b
	s_mov_b32 s6, 0x42b17218
	;; [unrolled: 1-line block ×3, first 2 shown]
	s_waitcnt lgkmcnt(0)
	ds_bpermute_b32 v20, v21, v24
	v_max_f32_e32 v22, v24, v24
	s_barrier
	s_waitcnt lgkmcnt(0)
	v_max_f32_e32 v20, v20, v20
	v_max_f32_e32 v20, v22, v20
	ds_bpermute_b32 v22, v23, v20
	s_waitcnt lgkmcnt(0)
	v_max_f32_e32 v22, v22, v22
	v_max_f32_e32 v20, v20, v22
	v_sub_f32_e32 v22, v24, v20
	v_mul_f32_e32 v24, 0x3fb8aa3b, v22
	v_fma_f32 v27, v22, s4, -v24
	v_rndne_f32_e32 v28, v24
	v_fmamk_f32 v27, v22, 0x32a5705f, v27
	v_sub_f32_e32 v24, v24, v28
	v_add_f32_e32 v24, v24, v27
	v_cvt_i32_f32_e32 v28, v28
	v_exp_f32_e32 v24, v24
	s_mov_b32 s4, 0xc2ce8ed0
	v_cmp_ngt_f32_e64 s[4:5], s4, v22
	v_mov_b32_e32 v27, 0x7f800000
	v_ldexp_f32 v24, v24, v28
	v_cndmask_b32_e64 v24, 0, v24, s[4:5]
	v_cmp_nlt_f32_e64 s[4:5], s6, v22
	s_nop 1
	v_cndmask_b32_e64 v22, v27, v24, s[4:5]
	v_mul_f32_e32 v24, v25, v22
	ds_bpermute_b32 v21, v21, v24
	s_waitcnt lgkmcnt(0)
	v_fmac_f32_e32 v21, v25, v22
	ds_bpermute_b32 v23, v23, v21
	s_waitcnt lgkmcnt(0)
	v_add_f32_e32 v23, v21, v23
	ds_write_b64 v26, v[22:23] offset:160
	s_and_saveexec_b64 s[4:5], s[0:1]
	s_cbranch_execz .LBB9_270
; %bb.269:
	s_add_i32 s0, s65, s64
	s_lshl_b32 s6, s0, 4
	s_lshl_b64 s[0:1], s[6:7], 3
	s_add_u32 s0, s54, s0
	v_or_b32_e32 v21, v98, v53
	s_addc_u32 s1, s55, s1
	v_lshlrev_b32_e32 v22, 3, v21
	v_mov_b32_e32 v21, v23
	global_store_dwordx2 v22, v[20:21], s[0:1]
.LBB9_270:
	s_or_b64 exec, exec, s[4:5]
.LBB9_271:
	s_or_b64 exec, exec, s[2:3]
	v_cvt_pk_f16_f32 v2, v2, v3
	v_cvt_pk_f16_f32 v3, v4, v5
	;; [unrolled: 1-line block ×3, first 2 shown]
	v_or_b32_e32 v10, v97, v56
	v_mul_u32_u24_e32 v10, 0xb0, v10
	v_cvt_pk_f16_f32 v0, v0, v1
	s_movk_i32 s4, 0xb0
	s_mov_b32 s3, 0
	v_add3_u32 v10, 0, v10, v55
	v_cvt_pk_f16_f32 v1, v6, v7
	v_cvt_pk_f16_f32 v5, v8, v9
	;; [unrolled: 1-line block ×6, first 2 shown]
	ds_write2_b32 v10, v0, v2 offset1:1
	ds_write2_b32 v10, v3, v1 offset0:8 offset1:9
	ds_write2_b32 v10, v5, v4 offset0:16 offset1:17
	;; [unrolled: 1-line block ×4, first 2 shown]
	s_waitcnt lgkmcnt(0)
	s_barrier
	s_and_saveexec_b64 s[0:1], vcc
	s_cbranch_execz .LBB9_273
; %bb.272:
	s_mul_i32 s2, s64, 0x280
	s_lshl_b64 s[6:7], s[2:3], 3
	s_add_u32 s5, s54, s6
	s_addc_u32 s6, s55, s7
	s_lshl_b32 s2, s65, 5
	v_lshrrev_b32_e32 v0, 1, v45
	s_lshl_b64 s[2:3], s[2:3], 3
	v_add_u32_e32 v12, v0, v96
	s_add_u32 s2, s5, s2
	v_lshlrev_b32_e32 v0, 2, v12
	v_and_b32_e32 v1, 15, v12
	s_movk_i32 s5, 0xfc0
	v_and_or_b32 v2, v0, s5, v1
	v_mad_u32_u24 v8, v2, s4, v52
	ds_read2st64_b32 v[0:1], v8 offset1:11
	v_mad_u32_u24 v2, v2, s4, 0
	v_add_u32_e32 v6, 0xa0, v2
	ds_read2st64_b32 v[2:3], v6 offset1:11
	ds_read2st64_b32 v[6:7], v6 offset0:22 offset1:33
	ds_read2st64_b32 v[8:9], v8 offset0:22 offset1:33
	s_waitcnt lgkmcnt(3)
	v_cvt_f32_f16_e32 v4, v0
	v_cvt_f32_f16_sdwa v5, v0 dst_sel:DWORD dst_unused:UNUSED_PAD src0_sel:WORD_1
	v_cvt_f32_f16_e32 v0, v1
	v_cvt_f32_f16_sdwa v1, v1 dst_sel:DWORD dst_unused:UNUSED_PAD src0_sel:WORD_1
	s_waitcnt lgkmcnt(0)
	v_cvt_f32_f16_e32 v10, v8
	v_cvt_f32_f16_sdwa v11, v8 dst_sel:DWORD dst_unused:UNUSED_PAD src0_sel:WORD_1
	v_cvt_f32_f16_e32 v8, v9
	v_cvt_f32_f16_sdwa v9, v9 dst_sel:DWORD dst_unused:UNUSED_PAD src0_sel:WORD_1
	v_pk_fma_f32 v[4:5], v[2:3], v[4:5], 0 op_sel_hi:[0,1,0]
	v_mov_b32_e32 v2, v3
	v_pk_fma_f32 v[0:1], v[2:3], v[0:1], v[4:5] op_sel_hi:[0,1,1]
	v_pk_fma_f32 v[0:1], v[6:7], v[10:11], v[0:1] op_sel_hi:[0,1,1]
	v_mov_b32_e32 v2, v7
	v_pk_fma_f32 v[0:1], v[2:3], v[8:9], v[0:1] op_sel_hi:[0,1,1]
	v_add_u32_e32 v2, 2, v12
	v_lshlrev_b32_e32 v3, 2, v2
	v_and_b32_e32 v2, 15, v2
	s_movk_i32 s5, 0x1fc0
	v_and_or_b32 v4, v3, s5, v2
	v_mul_u32_u24_e32 v13, 40, v12
	v_mad_u32_u24 v8, v4, s4, v52
	s_addc_u32 s3, s6, s3
	ds_read2st64_b32 v[2:3], v8 offset1:11
	v_add_lshl_u32 v13, v13, v34, 3
	v_mad_u32_u24 v4, v4, s4, 0
	v_add_u32_e32 v9, 0xa0, v4
	global_store_dwordx2 v13, v[0:1], s[2:3]
	ds_read2st64_b32 v[4:5], v9 offset1:11
	ds_read2st64_b32 v[0:1], v9 offset0:22 offset1:33
	ds_read2st64_b32 v[8:9], v8 offset0:22 offset1:33
	s_waitcnt lgkmcnt(3)
	v_cvt_f32_f16_e32 v6, v2
	v_cvt_f32_f16_sdwa v7, v2 dst_sel:DWORD dst_unused:UNUSED_PAD src0_sel:WORD_1
	v_cvt_f32_f16_e32 v2, v3
	v_cvt_f32_f16_sdwa v3, v3 dst_sel:DWORD dst_unused:UNUSED_PAD src0_sel:WORD_1
	s_waitcnt lgkmcnt(0)
	v_cvt_f32_f16_e32 v10, v8
	v_cvt_f32_f16_sdwa v11, v8 dst_sel:DWORD dst_unused:UNUSED_PAD src0_sel:WORD_1
	v_cvt_f32_f16_e32 v8, v9
	v_cvt_f32_f16_sdwa v9, v9 dst_sel:DWORD dst_unused:UNUSED_PAD src0_sel:WORD_1
	v_pk_fma_f32 v[6:7], v[4:5], v[6:7], 0 op_sel_hi:[0,1,0]
	v_mov_b32_e32 v4, v5
	v_pk_fma_f32 v[2:3], v[4:5], v[2:3], v[6:7] op_sel_hi:[0,1,1]
	v_pk_fma_f32 v[2:3], v[0:1], v[10:11], v[2:3] op_sel_hi:[0,1,1]
	v_mov_b32_e32 v0, v1
	v_pk_fma_f32 v[0:1], v[0:1], v[8:9], v[2:3] op_sel_hi:[0,1,1]
	v_add_u32_e32 v2, 4, v12
	v_lshlrev_b32_e32 v3, 2, v2
	v_and_b32_e32 v2, 15, v2
	v_and_or_b32 v4, v3, s5, v2
	v_mad_u32_u24 v8, v4, s4, v52
	ds_read2st64_b32 v[2:3], v8 offset1:11
	global_store_dwordx2 v13, v[0:1], s[2:3] offset:640
	v_mad_u32_u24 v0, v4, s4, 0
	v_add_u32_e32 v6, 0xa0, v0
	ds_read2st64_b32 v[0:1], v6 offset1:11
	ds_read2st64_b32 v[6:7], v6 offset0:22 offset1:33
	ds_read2st64_b32 v[8:9], v8 offset0:22 offset1:33
	s_waitcnt lgkmcnt(3)
	v_cvt_f32_f16_e32 v4, v2
	v_cvt_f32_f16_sdwa v5, v2 dst_sel:DWORD dst_unused:UNUSED_PAD src0_sel:WORD_1
	v_cvt_f32_f16_e32 v2, v3
	v_cvt_f32_f16_sdwa v3, v3 dst_sel:DWORD dst_unused:UNUSED_PAD src0_sel:WORD_1
	s_waitcnt lgkmcnt(0)
	v_cvt_f32_f16_e32 v10, v8
	v_cvt_f32_f16_sdwa v11, v8 dst_sel:DWORD dst_unused:UNUSED_PAD src0_sel:WORD_1
	v_cvt_f32_f16_e32 v8, v9
	v_cvt_f32_f16_sdwa v9, v9 dst_sel:DWORD dst_unused:UNUSED_PAD src0_sel:WORD_1
	v_pk_fma_f32 v[4:5], v[0:1], v[4:5], 0 op_sel_hi:[0,1,0]
	v_mov_b32_e32 v0, v1
	v_pk_fma_f32 v[0:1], v[0:1], v[2:3], v[4:5] op_sel_hi:[0,1,1]
	v_pk_fma_f32 v[0:1], v[6:7], v[10:11], v[0:1] op_sel_hi:[0,1,1]
	v_mov_b32_e32 v2, v7
	v_pk_fma_f32 v[0:1], v[2:3], v[8:9], v[0:1] op_sel_hi:[0,1,1]
	v_add_u32_e32 v2, 6, v12
	v_lshlrev_b32_e32 v3, 2, v2
	v_and_b32_e32 v2, 15, v2
	v_and_or_b32 v4, v3, s5, v2
	v_add_u32_e32 v14, 0x500, v13
	v_mad_u32_u24 v8, v4, s4, v52
	ds_read2st64_b32 v[2:3], v8 offset1:11
	global_store_dwordx2 v14, v[0:1], s[2:3]
	v_mad_u32_u24 v0, v4, s4, 0
	v_add_u32_e32 v6, 0xa0, v0
	ds_read2st64_b32 v[0:1], v6 offset1:11
	ds_read2st64_b32 v[6:7], v6 offset0:22 offset1:33
	ds_read2st64_b32 v[8:9], v8 offset0:22 offset1:33
	s_waitcnt lgkmcnt(3)
	v_cvt_f32_f16_e32 v4, v2
	v_cvt_f32_f16_sdwa v5, v2 dst_sel:DWORD dst_unused:UNUSED_PAD src0_sel:WORD_1
	v_cvt_f32_f16_e32 v2, v3
	v_cvt_f32_f16_sdwa v3, v3 dst_sel:DWORD dst_unused:UNUSED_PAD src0_sel:WORD_1
	s_waitcnt lgkmcnt(0)
	v_cvt_f32_f16_e32 v10, v8
	v_cvt_f32_f16_sdwa v11, v8 dst_sel:DWORD dst_unused:UNUSED_PAD src0_sel:WORD_1
	v_cvt_f32_f16_e32 v8, v9
	v_cvt_f32_f16_sdwa v9, v9 dst_sel:DWORD dst_unused:UNUSED_PAD src0_sel:WORD_1
	v_pk_fma_f32 v[4:5], v[0:1], v[4:5], 0 op_sel_hi:[0,1,0]
	v_mov_b32_e32 v0, v1
	v_pk_fma_f32 v[0:1], v[0:1], v[2:3], v[4:5] op_sel_hi:[0,1,1]
	v_pk_fma_f32 v[0:1], v[6:7], v[10:11], v[0:1] op_sel_hi:[0,1,1]
	v_mov_b32_e32 v2, v7
	v_pk_fma_f32 v[0:1], v[2:3], v[8:9], v[0:1] op_sel_hi:[0,1,1]
	v_add_u32_e32 v2, 8, v12
	v_lshlrev_b32_e32 v3, 2, v2
	v_and_b32_e32 v2, 15, v2
	v_and_or_b32 v4, v3, s5, v2
	v_add_u32_e32 v14, 0x780, v13
	v_mad_u32_u24 v8, v4, s4, v52
	ds_read2st64_b32 v[2:3], v8 offset1:11
	global_store_dwordx2 v14, v[0:1], s[2:3]
	;; [unrolled: 29-line block ×5, first 2 shown]
	v_mad_u32_u24 v0, v4, s4, 0
	v_add_u32_e32 v6, 0xa0, v0
	ds_read2st64_b32 v[0:1], v6 offset1:11
	ds_read2st64_b32 v[6:7], v6 offset0:22 offset1:33
	ds_read2st64_b32 v[8:9], v8 offset0:22 offset1:33
	s_waitcnt lgkmcnt(3)
	v_cvt_f32_f16_e32 v4, v2
	v_cvt_f32_f16_sdwa v5, v2 dst_sel:DWORD dst_unused:UNUSED_PAD src0_sel:WORD_1
	v_cvt_f32_f16_e32 v2, v3
	v_cvt_f32_f16_sdwa v3, v3 dst_sel:DWORD dst_unused:UNUSED_PAD src0_sel:WORD_1
	s_waitcnt lgkmcnt(0)
	v_cvt_f32_f16_e32 v10, v8
	v_cvt_f32_f16_sdwa v11, v8 dst_sel:DWORD dst_unused:UNUSED_PAD src0_sel:WORD_1
	v_cvt_f32_f16_e32 v8, v9
	v_cvt_f32_f16_sdwa v9, v9 dst_sel:DWORD dst_unused:UNUSED_PAD src0_sel:WORD_1
	v_pk_fma_f32 v[4:5], v[0:1], v[4:5], 0 op_sel_hi:[0,1,0]
	v_mov_b32_e32 v0, v1
	v_pk_fma_f32 v[0:1], v[0:1], v[2:3], v[4:5] op_sel_hi:[0,1,1]
	v_pk_fma_f32 v[0:1], v[6:7], v[10:11], v[0:1] op_sel_hi:[0,1,1]
	v_mov_b32_e32 v2, v7
	v_add_u32_e32 v12, 0x1180, v13
	v_pk_fma_f32 v[0:1], v[2:3], v[8:9], v[0:1] op_sel_hi:[0,1,1]
	global_store_dwordx2 v12, v[0:1], s[2:3]
	v_add_u32_e32 v12, v35, v54
	v_and_b32_e32 v10, 7, v53
	v_lshlrev_b32_e32 v0, 2, v12
	v_and_b32_e32 v1, 15, v12
	s_movk_i32 s5, 0x3fc0
	v_lshl_add_u32 v13, v10, 2, 0
	v_and_or_b32 v2, v0, s5, v1
	v_mad_u32_u24 v0, v2, s4, v13
	v_add_u32_e32 v8, 0x80, v0
	ds_read2st64_b32 v[0:1], v8 offset1:11
	v_mad_u32_u24 v2, v2, s4, 0
	v_add_u32_e32 v6, 0xa0, v2
	ds_read2st64_b32 v[2:3], v6 offset1:11
	ds_read2st64_b32 v[6:7], v6 offset0:22 offset1:33
	ds_read2st64_b32 v[8:9], v8 offset0:22 offset1:33
	s_waitcnt lgkmcnt(3)
	v_cvt_f32_f16_e32 v4, v0
	v_cvt_f32_f16_sdwa v5, v0 dst_sel:DWORD dst_unused:UNUSED_PAD src0_sel:WORD_1
	v_mul_u32_u24_e32 v11, 40, v12
	v_cvt_f32_f16_e32 v0, v1
	v_cvt_f32_f16_sdwa v1, v1 dst_sel:DWORD dst_unused:UNUSED_PAD src0_sel:WORD_1
	v_or_b32_e32 v14, v11, v10
	s_waitcnt lgkmcnt(0)
	v_cvt_f32_f16_e32 v10, v8
	v_cvt_f32_f16_sdwa v11, v8 dst_sel:DWORD dst_unused:UNUSED_PAD src0_sel:WORD_1
	v_cvt_f32_f16_e32 v8, v9
	v_cvt_f32_f16_sdwa v9, v9 dst_sel:DWORD dst_unused:UNUSED_PAD src0_sel:WORD_1
	v_pk_fma_f32 v[4:5], v[2:3], v[4:5], 0 op_sel_hi:[0,1,0]
	v_mov_b32_e32 v2, v3
	v_pk_fma_f32 v[0:1], v[2:3], v[0:1], v[4:5] op_sel_hi:[0,1,1]
	v_pk_fma_f32 v[0:1], v[6:7], v[10:11], v[0:1] op_sel_hi:[0,1,1]
	v_mov_b32_e32 v2, v7
	v_pk_fma_f32 v[0:1], v[2:3], v[8:9], v[0:1] op_sel_hi:[0,1,1]
	v_add_u32_e32 v2, 8, v12
	v_lshlrev_b32_e32 v3, 2, v2
	v_and_b32_e32 v2, 15, v2
	s_movk_i32 s5, 0x7fc0
	v_and_or_b32 v4, v3, s5, v2
	v_mad_u32_u24 v2, v4, s4, v13
	v_lshlrev_b32_e32 v10, 3, v14
	v_add_u32_e32 v8, 0x80, v2
	ds_read2st64_b32 v[2:3], v8 offset1:11
	global_store_dwordx2 v10, v[0:1], s[2:3] offset:256
	v_mad_u32_u24 v0, v4, s4, 0
	v_add_u32_e32 v6, 0xa0, v0
	ds_read2st64_b32 v[0:1], v6 offset1:11
	ds_read2st64_b32 v[6:7], v6 offset0:22 offset1:33
	ds_read2st64_b32 v[8:9], v8 offset0:22 offset1:33
	s_waitcnt lgkmcnt(3)
	v_cvt_f32_f16_e32 v4, v2
	v_cvt_f32_f16_sdwa v5, v2 dst_sel:DWORD dst_unused:UNUSED_PAD src0_sel:WORD_1
	v_cvt_f32_f16_e32 v2, v3
	v_cvt_f32_f16_sdwa v3, v3 dst_sel:DWORD dst_unused:UNUSED_PAD src0_sel:WORD_1
	v_add_u32_e32 v12, 0xa00, v10
	s_waitcnt lgkmcnt(0)
	v_cvt_f32_f16_e32 v10, v8
	v_cvt_f32_f16_sdwa v11, v8 dst_sel:DWORD dst_unused:UNUSED_PAD src0_sel:WORD_1
	v_cvt_f32_f16_e32 v8, v9
	v_cvt_f32_f16_sdwa v9, v9 dst_sel:DWORD dst_unused:UNUSED_PAD src0_sel:WORD_1
	v_pk_fma_f32 v[4:5], v[0:1], v[4:5], 0 op_sel_hi:[0,1,0]
	v_mov_b32_e32 v0, v1
	v_pk_fma_f32 v[0:1], v[0:1], v[2:3], v[4:5] op_sel_hi:[0,1,1]
	v_pk_fma_f32 v[0:1], v[6:7], v[10:11], v[0:1] op_sel_hi:[0,1,1]
	v_mov_b32_e32 v2, v7
	v_pk_fma_f32 v[0:1], v[2:3], v[8:9], v[0:1] op_sel_hi:[0,1,1]
	global_store_dwordx2 v12, v[0:1], s[2:3] offset:256
.LBB9_273:
	s_or_b64 exec, exec, s[0:1]
	s_barrier
	s_endpgm
	.section	.rodata,"a",@progbits
	.p2align	6, 0x0
	.amdhsa_kernel _ZL18flash_attn_ext_f16ILi80ELi80ELi16ELi1ELb0ELb0EEvPKcS1_S1_S1_S1_PKiPfP15HIP_vector_typeIfLj2EEffffjfiS5_IjLj3EEiiiiiiiiiiiliiliiiiil
		.amdhsa_group_segment_fixed_size 0
		.amdhsa_private_segment_fixed_size 32
		.amdhsa_kernarg_size 464
		.amdhsa_user_sgpr_count 2
		.amdhsa_user_sgpr_dispatch_ptr 0
		.amdhsa_user_sgpr_queue_ptr 0
		.amdhsa_user_sgpr_kernarg_segment_ptr 1
		.amdhsa_user_sgpr_dispatch_id 0
		.amdhsa_user_sgpr_kernarg_preload_length 0
		.amdhsa_user_sgpr_kernarg_preload_offset 0
		.amdhsa_user_sgpr_private_segment_size 0
		.amdhsa_uses_dynamic_stack 0
		.amdhsa_enable_private_segment 1
		.amdhsa_system_sgpr_workgroup_id_x 1
		.amdhsa_system_sgpr_workgroup_id_y 0
		.amdhsa_system_sgpr_workgroup_id_z 0
		.amdhsa_system_sgpr_workgroup_info 0
		.amdhsa_system_vgpr_workitem_id 1
		.amdhsa_next_free_vgpr 173
		.amdhsa_next_free_sgpr 100
		.amdhsa_accum_offset 176
		.amdhsa_reserve_vcc 1
		.amdhsa_float_round_mode_32 0
		.amdhsa_float_round_mode_16_64 0
		.amdhsa_float_denorm_mode_32 3
		.amdhsa_float_denorm_mode_16_64 3
		.amdhsa_dx10_clamp 1
		.amdhsa_ieee_mode 1
		.amdhsa_fp16_overflow 0
		.amdhsa_tg_split 0
		.amdhsa_exception_fp_ieee_invalid_op 0
		.amdhsa_exception_fp_denorm_src 0
		.amdhsa_exception_fp_ieee_div_zero 0
		.amdhsa_exception_fp_ieee_overflow 0
		.amdhsa_exception_fp_ieee_underflow 0
		.amdhsa_exception_fp_ieee_inexact 0
		.amdhsa_exception_int_div_zero 0
	.end_amdhsa_kernel
	.section	.text._ZL18flash_attn_ext_f16ILi80ELi80ELi16ELi1ELb0ELb0EEvPKcS1_S1_S1_S1_PKiPfP15HIP_vector_typeIfLj2EEffffjfiS5_IjLj3EEiiiiiiiiiiiliiliiiiil,"axG",@progbits,_ZL18flash_attn_ext_f16ILi80ELi80ELi16ELi1ELb0ELb0EEvPKcS1_S1_S1_S1_PKiPfP15HIP_vector_typeIfLj2EEffffjfiS5_IjLj3EEiiiiiiiiiiiliiliiiiil,comdat
.Lfunc_end9:
	.size	_ZL18flash_attn_ext_f16ILi80ELi80ELi16ELi1ELb0ELb0EEvPKcS1_S1_S1_S1_PKiPfP15HIP_vector_typeIfLj2EEffffjfiS5_IjLj3EEiiiiiiiiiiiliiliiiiil, .Lfunc_end9-_ZL18flash_attn_ext_f16ILi80ELi80ELi16ELi1ELb0ELb0EEvPKcS1_S1_S1_S1_PKiPfP15HIP_vector_typeIfLj2EEffffjfiS5_IjLj3EEiiiiiiiiiiiliiliiiiil
                                        ; -- End function
	.set _ZL18flash_attn_ext_f16ILi80ELi80ELi16ELi1ELb0ELb0EEvPKcS1_S1_S1_S1_PKiPfP15HIP_vector_typeIfLj2EEffffjfiS5_IjLj3EEiiiiiiiiiiiliiliiiiil.num_vgpr, 173
	.set _ZL18flash_attn_ext_f16ILi80ELi80ELi16ELi1ELb0ELb0EEvPKcS1_S1_S1_S1_PKiPfP15HIP_vector_typeIfLj2EEffffjfiS5_IjLj3EEiiiiiiiiiiiliiliiiiil.num_agpr, 0
	.set _ZL18flash_attn_ext_f16ILi80ELi80ELi16ELi1ELb0ELb0EEvPKcS1_S1_S1_S1_PKiPfP15HIP_vector_typeIfLj2EEffffjfiS5_IjLj3EEiiiiiiiiiiiliiliiiiil.numbered_sgpr, 100
	.set _ZL18flash_attn_ext_f16ILi80ELi80ELi16ELi1ELb0ELb0EEvPKcS1_S1_S1_S1_PKiPfP15HIP_vector_typeIfLj2EEffffjfiS5_IjLj3EEiiiiiiiiiiiliiliiiiil.num_named_barrier, 0
	.set _ZL18flash_attn_ext_f16ILi80ELi80ELi16ELi1ELb0ELb0EEvPKcS1_S1_S1_S1_PKiPfP15HIP_vector_typeIfLj2EEffffjfiS5_IjLj3EEiiiiiiiiiiiliiliiiiil.private_seg_size, 32
	.set _ZL18flash_attn_ext_f16ILi80ELi80ELi16ELi1ELb0ELb0EEvPKcS1_S1_S1_S1_PKiPfP15HIP_vector_typeIfLj2EEffffjfiS5_IjLj3EEiiiiiiiiiiiliiliiiiil.uses_vcc, 1
	.set _ZL18flash_attn_ext_f16ILi80ELi80ELi16ELi1ELb0ELb0EEvPKcS1_S1_S1_S1_PKiPfP15HIP_vector_typeIfLj2EEffffjfiS5_IjLj3EEiiiiiiiiiiiliiliiiiil.uses_flat_scratch, 0
	.set _ZL18flash_attn_ext_f16ILi80ELi80ELi16ELi1ELb0ELb0EEvPKcS1_S1_S1_S1_PKiPfP15HIP_vector_typeIfLj2EEffffjfiS5_IjLj3EEiiiiiiiiiiiliiliiiiil.has_dyn_sized_stack, 0
	.set _ZL18flash_attn_ext_f16ILi80ELi80ELi16ELi1ELb0ELb0EEvPKcS1_S1_S1_S1_PKiPfP15HIP_vector_typeIfLj2EEffffjfiS5_IjLj3EEiiiiiiiiiiiliiliiiiil.has_recursion, 0
	.set _ZL18flash_attn_ext_f16ILi80ELi80ELi16ELi1ELb0ELb0EEvPKcS1_S1_S1_S1_PKiPfP15HIP_vector_typeIfLj2EEffffjfiS5_IjLj3EEiiiiiiiiiiiliiliiiiil.has_indirect_call, 0
	.section	.AMDGPU.csdata,"",@progbits
; Kernel info:
; codeLenInByte = 35592
; TotalNumSgprs: 106
; NumVgprs: 173
; NumAgprs: 0
; TotalNumVgprs: 173
; ScratchSize: 32
; MemoryBound: 0
; FloatMode: 240
; IeeeMode: 1
; LDSByteSize: 0 bytes/workgroup (compile time only)
; SGPRBlocks: 13
; VGPRBlocks: 21
; NumSGPRsForWavesPerEU: 106
; NumVGPRsForWavesPerEU: 173
; AccumOffset: 176
; Occupancy: 2
; WaveLimiterHint : 1
; COMPUTE_PGM_RSRC2:SCRATCH_EN: 1
; COMPUTE_PGM_RSRC2:USER_SGPR: 2
; COMPUTE_PGM_RSRC2:TRAP_HANDLER: 0
; COMPUTE_PGM_RSRC2:TGID_X_EN: 1
; COMPUTE_PGM_RSRC2:TGID_Y_EN: 0
; COMPUTE_PGM_RSRC2:TGID_Z_EN: 0
; COMPUTE_PGM_RSRC2:TIDIG_COMP_CNT: 1
; COMPUTE_PGM_RSRC3_GFX90A:ACCUM_OFFSET: 43
; COMPUTE_PGM_RSRC3_GFX90A:TG_SPLIT: 0
	.section	.text._ZL18flash_attn_ext_f16ILi80ELi80ELi16ELi1ELb1ELb0EEvPKcS1_S1_S1_S1_PKiPfP15HIP_vector_typeIfLj2EEffffjfiS5_IjLj3EEiiiiiiiiiiiliiliiiiil,"axG",@progbits,_ZL18flash_attn_ext_f16ILi80ELi80ELi16ELi1ELb1ELb0EEvPKcS1_S1_S1_S1_PKiPfP15HIP_vector_typeIfLj2EEffffjfiS5_IjLj3EEiiiiiiiiiiiliiliiiiil,comdat
	.globl	_ZL18flash_attn_ext_f16ILi80ELi80ELi16ELi1ELb1ELb0EEvPKcS1_S1_S1_S1_PKiPfP15HIP_vector_typeIfLj2EEffffjfiS5_IjLj3EEiiiiiiiiiiiliiliiiiil ; -- Begin function _ZL18flash_attn_ext_f16ILi80ELi80ELi16ELi1ELb1ELb0EEvPKcS1_S1_S1_S1_PKiPfP15HIP_vector_typeIfLj2EEffffjfiS5_IjLj3EEiiiiiiiiiiiliiliiiiil
	.p2align	8
	.type	_ZL18flash_attn_ext_f16ILi80ELi80ELi16ELi1ELb1ELb0EEvPKcS1_S1_S1_S1_PKiPfP15HIP_vector_typeIfLj2EEffffjfiS5_IjLj3EEiiiiiiiiiiiliiliiiiil,@function
_ZL18flash_attn_ext_f16ILi80ELi80ELi16ELi1ELb1ELb0EEvPKcS1_S1_S1_S1_PKiPfP15HIP_vector_typeIfLj2EEffffjfiS5_IjLj3EEiiiiiiiiiiiliiliiiiil: ; @_ZL18flash_attn_ext_f16ILi80ELi80ELi16ELi1ELb1ELb0EEvPKcS1_S1_S1_S1_PKiPfP15HIP_vector_typeIfLj2EEffffjfiS5_IjLj3EEiiiiiiiiiiiliiliiiiil
; %bb.0:
	s_add_u32 s8, s0, 0xd0
	s_addc_u32 s9, s1, 0
	s_getpc_b64 s[0:1]
	s_add_u32 s0, s0, _ZL14no_device_codePKciS0_iS0_@rel32@lo+4
	s_addc_u32 s1, s1, _ZL14no_device_codePKciS0_iS0_@rel32@hi+12
	s_mov_b32 s32, 0
	s_swappc_b64 s[30:31], s[0:1]
	.section	.rodata,"a",@progbits
	.p2align	6, 0x0
	.amdhsa_kernel _ZL18flash_attn_ext_f16ILi80ELi80ELi16ELi1ELb1ELb0EEvPKcS1_S1_S1_S1_PKiPfP15HIP_vector_typeIfLj2EEffffjfiS5_IjLj3EEiiiiiiiiiiiliiliiiiil
		.amdhsa_group_segment_fixed_size 0
		.amdhsa_private_segment_fixed_size 16
		.amdhsa_kernarg_size 464
		.amdhsa_user_sgpr_count 2
		.amdhsa_user_sgpr_dispatch_ptr 0
		.amdhsa_user_sgpr_queue_ptr 0
		.amdhsa_user_sgpr_kernarg_segment_ptr 1
		.amdhsa_user_sgpr_dispatch_id 0
		.amdhsa_user_sgpr_kernarg_preload_length 0
		.amdhsa_user_sgpr_kernarg_preload_offset 0
		.amdhsa_user_sgpr_private_segment_size 0
		.amdhsa_uses_dynamic_stack 0
		.amdhsa_enable_private_segment 1
		.amdhsa_system_sgpr_workgroup_id_x 1
		.amdhsa_system_sgpr_workgroup_id_y 0
		.amdhsa_system_sgpr_workgroup_id_z 0
		.amdhsa_system_sgpr_workgroup_info 0
		.amdhsa_system_vgpr_workitem_id 0
		.amdhsa_next_free_vgpr 50
		.amdhsa_next_free_sgpr 34
		.amdhsa_accum_offset 52
		.amdhsa_reserve_vcc 1
		.amdhsa_float_round_mode_32 0
		.amdhsa_float_round_mode_16_64 0
		.amdhsa_float_denorm_mode_32 3
		.amdhsa_float_denorm_mode_16_64 3
		.amdhsa_dx10_clamp 1
		.amdhsa_ieee_mode 1
		.amdhsa_fp16_overflow 0
		.amdhsa_tg_split 0
		.amdhsa_exception_fp_ieee_invalid_op 0
		.amdhsa_exception_fp_denorm_src 0
		.amdhsa_exception_fp_ieee_div_zero 0
		.amdhsa_exception_fp_ieee_overflow 0
		.amdhsa_exception_fp_ieee_underflow 0
		.amdhsa_exception_fp_ieee_inexact 0
		.amdhsa_exception_int_div_zero 0
	.end_amdhsa_kernel
	.section	.text._ZL18flash_attn_ext_f16ILi80ELi80ELi16ELi1ELb1ELb0EEvPKcS1_S1_S1_S1_PKiPfP15HIP_vector_typeIfLj2EEffffjfiS5_IjLj3EEiiiiiiiiiiiliiliiiiil,"axG",@progbits,_ZL18flash_attn_ext_f16ILi80ELi80ELi16ELi1ELb1ELb0EEvPKcS1_S1_S1_S1_PKiPfP15HIP_vector_typeIfLj2EEffffjfiS5_IjLj3EEiiiiiiiiiiiliiliiiiil,comdat
.Lfunc_end10:
	.size	_ZL18flash_attn_ext_f16ILi80ELi80ELi16ELi1ELb1ELb0EEvPKcS1_S1_S1_S1_PKiPfP15HIP_vector_typeIfLj2EEffffjfiS5_IjLj3EEiiiiiiiiiiiliiliiiiil, .Lfunc_end10-_ZL18flash_attn_ext_f16ILi80ELi80ELi16ELi1ELb1ELb0EEvPKcS1_S1_S1_S1_PKiPfP15HIP_vector_typeIfLj2EEffffjfiS5_IjLj3EEiiiiiiiiiiiliiliiiiil
                                        ; -- End function
	.set _ZL18flash_attn_ext_f16ILi80ELi80ELi16ELi1ELb1ELb0EEvPKcS1_S1_S1_S1_PKiPfP15HIP_vector_typeIfLj2EEffffjfiS5_IjLj3EEiiiiiiiiiiiliiliiiiil.num_vgpr, max(0, .L_ZL14no_device_codePKciS0_iS0_.num_vgpr)
	.set _ZL18flash_attn_ext_f16ILi80ELi80ELi16ELi1ELb1ELb0EEvPKcS1_S1_S1_S1_PKiPfP15HIP_vector_typeIfLj2EEffffjfiS5_IjLj3EEiiiiiiiiiiiliiliiiiil.num_agpr, max(0, .L_ZL14no_device_codePKciS0_iS0_.num_agpr)
	.set _ZL18flash_attn_ext_f16ILi80ELi80ELi16ELi1ELb1ELb0EEvPKcS1_S1_S1_S1_PKiPfP15HIP_vector_typeIfLj2EEffffjfiS5_IjLj3EEiiiiiiiiiiiliiliiiiil.numbered_sgpr, max(33, .L_ZL14no_device_codePKciS0_iS0_.numbered_sgpr)
	.set _ZL18flash_attn_ext_f16ILi80ELi80ELi16ELi1ELb1ELb0EEvPKcS1_S1_S1_S1_PKiPfP15HIP_vector_typeIfLj2EEffffjfiS5_IjLj3EEiiiiiiiiiiiliiliiiiil.num_named_barrier, max(0, .L_ZL14no_device_codePKciS0_iS0_.num_named_barrier)
	.set _ZL18flash_attn_ext_f16ILi80ELi80ELi16ELi1ELb1ELb0EEvPKcS1_S1_S1_S1_PKiPfP15HIP_vector_typeIfLj2EEffffjfiS5_IjLj3EEiiiiiiiiiiiliiliiiiil.private_seg_size, 0+max(.L_ZL14no_device_codePKciS0_iS0_.private_seg_size)
	.set _ZL18flash_attn_ext_f16ILi80ELi80ELi16ELi1ELb1ELb0EEvPKcS1_S1_S1_S1_PKiPfP15HIP_vector_typeIfLj2EEffffjfiS5_IjLj3EEiiiiiiiiiiiliiliiiiil.uses_vcc, or(1, .L_ZL14no_device_codePKciS0_iS0_.uses_vcc)
	.set _ZL18flash_attn_ext_f16ILi80ELi80ELi16ELi1ELb1ELb0EEvPKcS1_S1_S1_S1_PKiPfP15HIP_vector_typeIfLj2EEffffjfiS5_IjLj3EEiiiiiiiiiiiliiliiiiil.uses_flat_scratch, or(0, .L_ZL14no_device_codePKciS0_iS0_.uses_flat_scratch)
	.set _ZL18flash_attn_ext_f16ILi80ELi80ELi16ELi1ELb1ELb0EEvPKcS1_S1_S1_S1_PKiPfP15HIP_vector_typeIfLj2EEffffjfiS5_IjLj3EEiiiiiiiiiiiliiliiiiil.has_dyn_sized_stack, or(0, .L_ZL14no_device_codePKciS0_iS0_.has_dyn_sized_stack)
	.set _ZL18flash_attn_ext_f16ILi80ELi80ELi16ELi1ELb1ELb0EEvPKcS1_S1_S1_S1_PKiPfP15HIP_vector_typeIfLj2EEffffjfiS5_IjLj3EEiiiiiiiiiiiliiliiiiil.has_recursion, or(0, .L_ZL14no_device_codePKciS0_iS0_.has_recursion)
	.set _ZL18flash_attn_ext_f16ILi80ELi80ELi16ELi1ELb1ELb0EEvPKcS1_S1_S1_S1_PKiPfP15HIP_vector_typeIfLj2EEffffjfiS5_IjLj3EEiiiiiiiiiiiliiliiiiil.has_indirect_call, or(0, .L_ZL14no_device_codePKciS0_iS0_.has_indirect_call)
	.section	.AMDGPU.csdata,"",@progbits
; Kernel info:
; codeLenInByte = 40
; TotalNumSgprs: 40
; NumVgprs: 50
; NumAgprs: 0
; TotalNumVgprs: 50
; ScratchSize: 16
; MemoryBound: 0
; FloatMode: 240
; IeeeMode: 1
; LDSByteSize: 0 bytes/workgroup (compile time only)
; SGPRBlocks: 4
; VGPRBlocks: 6
; NumSGPRsForWavesPerEU: 40
; NumVGPRsForWavesPerEU: 50
; AccumOffset: 52
; Occupancy: 8
; WaveLimiterHint : 1
; COMPUTE_PGM_RSRC2:SCRATCH_EN: 1
; COMPUTE_PGM_RSRC2:USER_SGPR: 2
; COMPUTE_PGM_RSRC2:TRAP_HANDLER: 0
; COMPUTE_PGM_RSRC2:TGID_X_EN: 1
; COMPUTE_PGM_RSRC2:TGID_Y_EN: 0
; COMPUTE_PGM_RSRC2:TGID_Z_EN: 0
; COMPUTE_PGM_RSRC2:TIDIG_COMP_CNT: 0
; COMPUTE_PGM_RSRC3_GFX90A:ACCUM_OFFSET: 12
; COMPUTE_PGM_RSRC3_GFX90A:TG_SPLIT: 0
	.section	.text._ZL33flash_attn_stream_k_fixup_uniformILi80ELi16ELi1EEvPfPK15HIP_vector_typeIfLj2EEiiiiiiS1_IjLj3EES5_S5_,"axG",@progbits,_ZL33flash_attn_stream_k_fixup_uniformILi80ELi16ELi1EEvPfPK15HIP_vector_typeIfLj2EEiiiiiiS1_IjLj3EES5_S5_,comdat
	.globl	_ZL33flash_attn_stream_k_fixup_uniformILi80ELi16ELi1EEvPfPK15HIP_vector_typeIfLj2EEiiiiiiS1_IjLj3EES5_S5_ ; -- Begin function _ZL33flash_attn_stream_k_fixup_uniformILi80ELi16ELi1EEvPfPK15HIP_vector_typeIfLj2EEiiiiiiS1_IjLj3EES5_S5_
	.p2align	8
	.type	_ZL33flash_attn_stream_k_fixup_uniformILi80ELi16ELi1EEvPfPK15HIP_vector_typeIfLj2EEiiiiiiS1_IjLj3EES5_S5_,@function
_ZL33flash_attn_stream_k_fixup_uniformILi80ELi16ELi1EEvPfPK15HIP_vector_typeIfLj2EEiiiiiiS1_IjLj3EES5_S5_: ; @_ZL33flash_attn_stream_k_fixup_uniformILi80ELi16ELi1EEvPfPK15HIP_vector_typeIfLj2EEiiiiiiS1_IjLj3EES5_S5_
; %bb.0:
	s_load_dwordx8 s[8:15], s[0:1], 0x1c
	s_load_dwordx2 s[6:7], s[0:1], 0x10
	s_load_dwordx4 s[16:19], s[0:1], 0x3c
	s_waitcnt lgkmcnt(0)
	s_mul_hi_u32 s5, s11, s2
	s_add_i32 s5, s2, s5
	s_lshr_b32 s5, s5, s12
	s_mul_i32 s11, s5, s13
	s_sub_i32 s12, s2, s11
	s_mul_hi_u32 s11, s12, s14
	s_add_i32 s11, s12, s11
	s_lshr_b32 s11, s11, s15
	s_mul_i32 s13, s11, s16
	s_sub_i32 s12, s12, s13
	;; [unrolled: 5-line block ×3, first 2 shown]
	s_lshl_b32 s12, s17, 4
	s_add_i32 s12, s12, s3
	s_cmp_lt_i32 s12, s6
	s_cselect_b64 s[12:13], -1, 0
	s_add_i32 s16, s16, s4
	s_cmp_lt_i32 s16, s9
	s_cselect_b64 s[14:15], -1, 0
	s_and_b64 s[12:13], s[12:13], s[14:15]
	s_andn2_b64 vcc, exec, s[12:13]
	s_cbranch_vccnz .LBB11_6
; %bb.1:
	s_load_dwordx4 s[12:15], s[0:1], 0x0
	s_mul_i32 s0, s5, s6
	s_mul_i32 s11, s11, s9
	s_add_i32 s0, s0, s3
	s_mul_i32 s0, s0, s7
	s_add_i32 s5, s16, s11
	s_mul_i32 s1, s7, s17
	s_add_i32 s0, s5, s0
	s_mulk_i32 s1, 0x500
	s_mulk_i32 s0, 0x50
	s_add_i32 s0, s0, s1
	v_add_u32_e32 v4, s0, v0
	s_waitcnt lgkmcnt(0)
	v_mov_b32_e32 v2, s12
	v_mov_b32_e32 v3, s13
	v_ashrrev_i32_e32 v5, 31, v4
	v_lshl_add_u64 v[2:3], v[4:5], 2, v[2:3]
	global_load_dword v5, v[2:3], off
	s_mul_i32 s6, s10, s2
	s_add_i32 s7, s6, s10
	s_add_i32 s3, s3, s4
	s_lshl_b32 s0, s7, 4
	s_add_i32 s0, s3, s0
	s_add_i32 s0, s0, -16
	s_ashr_i32 s1, s0, 31
	s_lshl_b64 s[0:1], s[0:1], 3
	s_add_u32 s0, s14, s0
	s_addc_u32 s1, s15, s1
	s_load_dword s9, s[0:1], 0x4
	s_add_i32 s4, s7, -2
	s_cmp_lt_i32 s4, s6
	s_cbranch_scc1 .LBB11_4
; %bb.2:
	s_lshl_b32 s4, s8, 6
	s_ashr_i32 s5, s4, 31
	s_lshl_b64 s[4:5], s[4:5], 2
	s_add_u32 s4, s14, s4
	s_addc_u32 s5, s15, s5
	s_load_dword s0, s[0:1], 0x0
	s_add_i32 s2, s2, 1
	s_mul_i32 s10, s10, s2
	s_mul_i32 s1, s3, 0x50
	s_lshl_b32 s2, s10, 4
	s_mulk_i32 s10, 0x500
	s_add_i32 s2, s3, s2
	s_lshl_b32 s3, s8, 4
	s_add_i32 s1, s1, s10
	s_add_i32 s2, s2, s3
	v_add_u32_e32 v0, s1, v0
	s_add_i32 s7, s7, -1
	s_sub_i32 s2, s2, 32
	v_add_u32_e32 v0, 0xfffff600, v0
	s_waitcnt lgkmcnt(0)
	v_mov_b32_e32 v7, s0
	v_mov_b32_e32 v4, s9
	s_mov_b32 s8, 0x3fb8aa3b
	s_mov_b32 s9, 0xc2ce8ed0
	;; [unrolled: 1-line block ×3, first 2 shown]
	v_mov_b32_e32 v6, 0x7f800000
	s_mov_b32 s11, 0xc1a00000
.LBB11_3:                               ; =>This Inner Loop Header: Depth=1
	v_ashrrev_i32_e32 v1, 31, v0
	v_lshl_add_u64 v[8:9], v[0:1], 2, s[4:5]
	global_load_dword v9, v[8:9], off
	s_ashr_i32 s3, s2, 31
	s_lshl_b64 s[0:1], s[2:3], 3
	s_add_u32 s0, s14, s0
	s_addc_u32 s1, s15, s1
	s_load_dwordx2 s[0:1], s[0:1], 0x0
	v_max_f32_e32 v1, v7, v7
	s_add_i32 s7, s7, -1
	s_add_i32 s2, s2, -16
	v_add_u32_e32 v0, 0xfffffb00, v0
	s_waitcnt lgkmcnt(0)
	v_max_f32_e64 v10, s0, s0
	v_max_f32_e32 v1, v1, v10
	v_sub_f32_e32 v11, s0, v1
	v_sub_f32_e32 v10, v7, v1
	v_mul_f32_e32 v12, 0x3fb8aa3b, v11
	v_mov_b32_e32 v7, v1
	v_mul_f32_e32 v1, 0x3fb8aa3b, v10
	v_fma_f32 v15, v11, s8, -v12
	v_rndne_f32_e32 v16, v12
	v_fma_f32 v13, v10, s8, -v1
	v_rndne_f32_e32 v14, v1
	v_fmac_f32_e32 v15, 0x32a5705f, v11
	v_sub_f32_e32 v12, v12, v16
	v_fmac_f32_e32 v13, 0x32a5705f, v10
	v_sub_f32_e32 v1, v1, v14
	v_add_f32_e32 v12, v12, v15
	v_cvt_i32_f32_e32 v16, v16
	v_add_f32_e32 v1, v1, v13
	v_exp_f32_e32 v12, v12
	v_cvt_i32_f32_e32 v14, v14
	v_exp_f32_e32 v1, v1
	v_cmp_ngt_f32_e32 vcc, s9, v11
	v_ldexp_f32 v12, v12, v16
	v_mov_b32_e32 v8, s1
	v_ldexp_f32 v1, v1, v14
	v_cmp_ngt_f32_e64 s[0:1], s9, v10
	v_cndmask_b32_e32 v12, 0, v12, vcc
	v_cmp_nlt_f32_e32 vcc, s10, v11
	v_cndmask_b32_e64 v1, 0, v1, s[0:1]
	v_cmp_nlt_f32_e64 s[0:1], s10, v10
	v_cndmask_b32_e32 v12, v6, v12, vcc
	v_cmp_le_f32_e32 vcc, s11, v11
	v_cndmask_b32_e64 v1, v6, v1, s[0:1]
	v_cmp_le_f32_e64 s[0:1], s11, v10
	v_cndmask_b32_e32 v12, 0, v12, vcc
	s_cmp_le_i32 s7, s6
	v_cndmask_b32_e64 v10, 0, v1, s[0:1]
	s_waitcnt vmcnt(0)
	v_pk_mul_f32 v[8:9], v[8:9], v[12:13] op_sel_hi:[1,0]
	s_nop 0
	v_pk_fma_f32 v[4:5], v[4:5], v[10:11], v[8:9] op_sel_hi:[1,0,1]
	s_cbranch_scc0 .LBB11_3
	s_branch .LBB11_5
.LBB11_4:
	s_waitcnt lgkmcnt(0)
	v_mov_b32_e32 v4, s9
.LBB11_5:
	s_waitcnt vmcnt(0)
	v_div_scale_f32 v0, s[0:1], v4, v4, v5
	v_rcp_f32_e32 v1, v0
	v_div_scale_f32 v6, vcc, v5, v4, v5
	v_fma_f32 v7, -v0, v1, 1.0
	v_fmac_f32_e32 v1, v7, v1
	v_mul_f32_e32 v7, v6, v1
	v_fma_f32 v8, -v0, v7, v6
	v_fmac_f32_e32 v7, v8, v1
	v_fma_f32 v0, -v0, v7, v6
	v_div_fmas_f32 v0, v0, v1, v7
	v_div_fixup_f32 v0, v0, v4, v5
	global_store_dword v[2:3], v0, off
.LBB11_6:
	s_endpgm
	.section	.rodata,"a",@progbits
	.p2align	6, 0x0
	.amdhsa_kernel _ZL33flash_attn_stream_k_fixup_uniformILi80ELi16ELi1EEvPfPK15HIP_vector_typeIfLj2EEiiiiiiS1_IjLj3EES5_S5_
		.amdhsa_group_segment_fixed_size 0
		.amdhsa_private_segment_fixed_size 0
		.amdhsa_kernarg_size 76
		.amdhsa_user_sgpr_count 2
		.amdhsa_user_sgpr_dispatch_ptr 0
		.amdhsa_user_sgpr_queue_ptr 0
		.amdhsa_user_sgpr_kernarg_segment_ptr 1
		.amdhsa_user_sgpr_dispatch_id 0
		.amdhsa_user_sgpr_kernarg_preload_length 0
		.amdhsa_user_sgpr_kernarg_preload_offset 0
		.amdhsa_user_sgpr_private_segment_size 0
		.amdhsa_uses_dynamic_stack 0
		.amdhsa_enable_private_segment 0
		.amdhsa_system_sgpr_workgroup_id_x 1
		.amdhsa_system_sgpr_workgroup_id_y 1
		.amdhsa_system_sgpr_workgroup_id_z 1
		.amdhsa_system_sgpr_workgroup_info 0
		.amdhsa_system_vgpr_workitem_id 0
		.amdhsa_next_free_vgpr 17
		.amdhsa_next_free_sgpr 20
		.amdhsa_accum_offset 20
		.amdhsa_reserve_vcc 1
		.amdhsa_float_round_mode_32 0
		.amdhsa_float_round_mode_16_64 0
		.amdhsa_float_denorm_mode_32 3
		.amdhsa_float_denorm_mode_16_64 3
		.amdhsa_dx10_clamp 1
		.amdhsa_ieee_mode 1
		.amdhsa_fp16_overflow 0
		.amdhsa_tg_split 0
		.amdhsa_exception_fp_ieee_invalid_op 0
		.amdhsa_exception_fp_denorm_src 0
		.amdhsa_exception_fp_ieee_div_zero 0
		.amdhsa_exception_fp_ieee_overflow 0
		.amdhsa_exception_fp_ieee_underflow 0
		.amdhsa_exception_fp_ieee_inexact 0
		.amdhsa_exception_int_div_zero 0
	.end_amdhsa_kernel
	.section	.text._ZL33flash_attn_stream_k_fixup_uniformILi80ELi16ELi1EEvPfPK15HIP_vector_typeIfLj2EEiiiiiiS1_IjLj3EES5_S5_,"axG",@progbits,_ZL33flash_attn_stream_k_fixup_uniformILi80ELi16ELi1EEvPfPK15HIP_vector_typeIfLj2EEiiiiiiS1_IjLj3EES5_S5_,comdat
.Lfunc_end11:
	.size	_ZL33flash_attn_stream_k_fixup_uniformILi80ELi16ELi1EEvPfPK15HIP_vector_typeIfLj2EEiiiiiiS1_IjLj3EES5_S5_, .Lfunc_end11-_ZL33flash_attn_stream_k_fixup_uniformILi80ELi16ELi1EEvPfPK15HIP_vector_typeIfLj2EEiiiiiiS1_IjLj3EES5_S5_
                                        ; -- End function
	.set _ZL33flash_attn_stream_k_fixup_uniformILi80ELi16ELi1EEvPfPK15HIP_vector_typeIfLj2EEiiiiiiS1_IjLj3EES5_S5_.num_vgpr, 17
	.set _ZL33flash_attn_stream_k_fixup_uniformILi80ELi16ELi1EEvPfPK15HIP_vector_typeIfLj2EEiiiiiiS1_IjLj3EES5_S5_.num_agpr, 0
	.set _ZL33flash_attn_stream_k_fixup_uniformILi80ELi16ELi1EEvPfPK15HIP_vector_typeIfLj2EEiiiiiiS1_IjLj3EES5_S5_.numbered_sgpr, 20
	.set _ZL33flash_attn_stream_k_fixup_uniformILi80ELi16ELi1EEvPfPK15HIP_vector_typeIfLj2EEiiiiiiS1_IjLj3EES5_S5_.num_named_barrier, 0
	.set _ZL33flash_attn_stream_k_fixup_uniformILi80ELi16ELi1EEvPfPK15HIP_vector_typeIfLj2EEiiiiiiS1_IjLj3EES5_S5_.private_seg_size, 0
	.set _ZL33flash_attn_stream_k_fixup_uniformILi80ELi16ELi1EEvPfPK15HIP_vector_typeIfLj2EEiiiiiiS1_IjLj3EES5_S5_.uses_vcc, 1
	.set _ZL33flash_attn_stream_k_fixup_uniformILi80ELi16ELi1EEvPfPK15HIP_vector_typeIfLj2EEiiiiiiS1_IjLj3EES5_S5_.uses_flat_scratch, 0
	.set _ZL33flash_attn_stream_k_fixup_uniformILi80ELi16ELi1EEvPfPK15HIP_vector_typeIfLj2EEiiiiiiS1_IjLj3EES5_S5_.has_dyn_sized_stack, 0
	.set _ZL33flash_attn_stream_k_fixup_uniformILi80ELi16ELi1EEvPfPK15HIP_vector_typeIfLj2EEiiiiiiS1_IjLj3EES5_S5_.has_recursion, 0
	.set _ZL33flash_attn_stream_k_fixup_uniformILi80ELi16ELi1EEvPfPK15HIP_vector_typeIfLj2EEiiiiiiS1_IjLj3EES5_S5_.has_indirect_call, 0
	.section	.AMDGPU.csdata,"",@progbits
; Kernel info:
; codeLenInByte = 816
; TotalNumSgprs: 26
; NumVgprs: 17
; NumAgprs: 0
; TotalNumVgprs: 17
; ScratchSize: 0
; MemoryBound: 0
; FloatMode: 240
; IeeeMode: 1
; LDSByteSize: 0 bytes/workgroup (compile time only)
; SGPRBlocks: 3
; VGPRBlocks: 2
; NumSGPRsForWavesPerEU: 26
; NumVGPRsForWavesPerEU: 17
; AccumOffset: 20
; Occupancy: 8
; WaveLimiterHint : 0
; COMPUTE_PGM_RSRC2:SCRATCH_EN: 0
; COMPUTE_PGM_RSRC2:USER_SGPR: 2
; COMPUTE_PGM_RSRC2:TRAP_HANDLER: 0
; COMPUTE_PGM_RSRC2:TGID_X_EN: 1
; COMPUTE_PGM_RSRC2:TGID_Y_EN: 1
; COMPUTE_PGM_RSRC2:TGID_Z_EN: 1
; COMPUTE_PGM_RSRC2:TIDIG_COMP_CNT: 0
; COMPUTE_PGM_RSRC3_GFX90A:ACCUM_OFFSET: 4
; COMPUTE_PGM_RSRC3_GFX90A:TG_SPLIT: 0
	.section	.text._ZL33flash_attn_stream_k_fixup_generalILi80ELi16ELi1EEvPfPK15HIP_vector_typeIfLj2EEiiiiS1_IjLj3EES5_S5_S5_,"axG",@progbits,_ZL33flash_attn_stream_k_fixup_generalILi80ELi16ELi1EEvPfPK15HIP_vector_typeIfLj2EEiiiiS1_IjLj3EES5_S5_S5_,comdat
	.globl	_ZL33flash_attn_stream_k_fixup_generalILi80ELi16ELi1EEvPfPK15HIP_vector_typeIfLj2EEiiiiS1_IjLj3EES5_S5_S5_ ; -- Begin function _ZL33flash_attn_stream_k_fixup_generalILi80ELi16ELi1EEvPfPK15HIP_vector_typeIfLj2EEiiiiS1_IjLj3EES5_S5_S5_
	.p2align	8
	.type	_ZL33flash_attn_stream_k_fixup_generalILi80ELi16ELi1EEvPfPK15HIP_vector_typeIfLj2EEiiiiS1_IjLj3EES5_S5_S5_,@function
_ZL33flash_attn_stream_k_fixup_generalILi80ELi16ELi1EEvPfPK15HIP_vector_typeIfLj2EEiiiiS1_IjLj3EES5_S5_S5_: ; @_ZL33flash_attn_stream_k_fixup_generalILi80ELi16ELi1EEvPfPK15HIP_vector_typeIfLj2EEiiiiS1_IjLj3EES5_S5_S5_
; %bb.0:
	s_load_dwordx4 s[8:11], s[0:1], 0x10
	s_load_dword s22, s[0:1], 0x50
	s_mov_b32 s12, 0
	s_waitcnt lgkmcnt(0)
	s_mul_hi_i32 s13, s11, s2
	s_cmp_lg_u64 s[12:13], 0
	s_mul_i32 s5, s11, s2
	s_cbranch_scc0 .LBB12_20
; %bb.1:
	s_add_u32 s6, s22, 0
	s_addc_u32 s7, 0, 0
	s_xor_b64 s[6:7], s[6:7], 0
	v_cvt_f32_u32_e32 v1, s6
	v_cvt_f32_u32_e32 v2, s7
	s_sub_u32 s12, 0, s6
	s_subb_u32 s18, 0, s7
	v_fmamk_f32 v1, v2, 0x4f800000, v1
	v_rcp_f32_e32 v1, v1
	s_nop 0
	v_mul_f32_e32 v1, 0x5f7ffffc, v1
	v_mul_f32_e32 v2, 0x2f800000, v1
	v_trunc_f32_e32 v2, v2
	v_fmamk_f32 v1, v2, 0xcf800000, v1
	v_cvt_u32_f32_e32 v2, v2
	v_cvt_u32_f32_e32 v1, v1
	v_readfirstlane_b32 s19, v2
	v_readfirstlane_b32 s14, v1
	s_mul_i32 s15, s12, s19
	s_mul_hi_u32 s21, s12, s14
	s_mul_i32 s20, s18, s14
	s_add_i32 s15, s21, s15
	s_add_i32 s15, s15, s20
	s_mul_i32 s23, s12, s14
	s_mul_i32 s21, s14, s15
	s_mul_hi_u32 s24, s14, s23
	s_mul_hi_u32 s20, s14, s15
	s_add_u32 s21, s24, s21
	s_addc_u32 s20, 0, s20
	s_mul_hi_u32 s25, s19, s23
	s_mul_i32 s23, s19, s23
	s_add_u32 s21, s21, s23
	s_mul_hi_u32 s24, s19, s15
	s_addc_u32 s20, s20, s25
	s_addc_u32 s21, s24, 0
	s_mul_i32 s15, s19, s15
	s_add_u32 s15, s20, s15
	s_addc_u32 s20, 0, s21
	s_add_u32 s21, s14, s15
	s_cselect_b64 s[14:15], -1, 0
	s_cmp_lg_u64 s[14:15], 0
	s_addc_u32 s19, s19, s20
	s_mul_i32 s14, s12, s19
	s_mul_hi_u32 s15, s12, s21
	s_add_i32 s14, s15, s14
	s_mul_i32 s18, s18, s21
	s_add_i32 s14, s14, s18
	s_mul_i32 s12, s12, s21
	s_mul_hi_u32 s18, s19, s12
	s_mul_i32 s20, s19, s12
	s_mul_i32 s24, s21, s14
	s_mul_hi_u32 s12, s21, s12
	s_mul_hi_u32 s23, s21, s14
	s_add_u32 s12, s12, s24
	s_addc_u32 s23, 0, s23
	s_add_u32 s12, s12, s20
	s_mul_hi_u32 s15, s19, s14
	s_addc_u32 s12, s23, s18
	s_addc_u32 s15, s15, 0
	s_mul_i32 s14, s19, s14
	s_add_u32 s12, s12, s14
	s_addc_u32 s18, 0, s15
	s_add_u32 s20, s21, s12
	s_cselect_b64 s[14:15], -1, 0
	s_cmp_lg_u64 s[14:15], 0
	s_addc_u32 s18, s19, s18
	s_ashr_i32 s14, s13, 31
	s_add_u32 s12, s5, s14
	s_mov_b32 s15, s14
	s_addc_u32 s13, s13, s14
	s_xor_b64 s[12:13], s[12:13], s[14:15]
	s_mul_i32 s21, s12, s18
	s_mul_hi_u32 s23, s12, s20
	s_mul_hi_u32 s19, s12, s18
	s_add_u32 s21, s23, s21
	s_addc_u32 s19, 0, s19
	s_mul_hi_u32 s24, s13, s20
	s_mul_i32 s20, s13, s20
	s_add_u32 s20, s21, s20
	s_mul_hi_u32 s23, s13, s18
	s_addc_u32 s19, s19, s24
	s_addc_u32 s20, s23, 0
	s_mul_i32 s18, s13, s18
	s_add_u32 s23, s19, s18
	s_addc_u32 s24, 0, s20
	s_mul_i32 s18, s6, s24
	s_mul_hi_u32 s19, s6, s23
	s_add_i32 s18, s19, s18
	s_mul_i32 s19, s7, s23
	s_add_i32 s25, s18, s19
	s_sub_i32 s20, s13, s25
	s_mul_i32 s18, s6, s23
	s_sub_u32 s12, s12, s18
	s_cselect_b64 s[18:19], -1, 0
	s_cmp_lg_u64 s[18:19], 0
	s_subb_u32 s26, s20, s7
	s_sub_u32 s27, s12, s6
	s_cselect_b64 s[20:21], -1, 0
	s_cmp_lg_u64 s[20:21], 0
	s_subb_u32 s20, s26, 0
	s_cmp_ge_u32 s20, s7
	s_cselect_b32 s21, -1, 0
	s_cmp_ge_u32 s27, s6
	s_cselect_b32 s26, -1, 0
	s_cmp_eq_u32 s20, s7
	s_cselect_b32 s20, s26, s21
	s_add_u32 s21, s23, 1
	s_addc_u32 s26, s24, 0
	s_add_u32 s27, s23, 2
	s_addc_u32 s28, s24, 0
	s_cmp_lg_u32 s20, 0
	s_cselect_b32 s20, s27, s21
	s_cselect_b32 s21, s28, s26
	s_cmp_lg_u64 s[18:19], 0
	s_subb_u32 s13, s13, s25
	s_cmp_ge_u32 s13, s7
	s_cselect_b32 s18, -1, 0
	s_cmp_ge_u32 s12, s6
	s_cselect_b32 s6, -1, 0
	s_cmp_eq_u32 s13, s7
	s_cselect_b32 s6, s6, s18
	s_cmp_lg_u32 s6, 0
	s_cselect_b32 s7, s21, s24
	s_cselect_b32 s6, s20, s23
	s_xor_b64 s[12:13], s[14:15], 0
	s_xor_b64 s[6:7], s[6:7], s[12:13]
	s_sub_u32 s6, s6, s12
	s_load_dwordx4 s[12:15], s[0:1], 0x44
	s_cbranch_execnz .LBB12_3
.LBB12_2:
	v_cvt_f32_u32_e32 v1, s22
	s_sub_i32 s6, 0, s22
	v_rcp_iflag_f32_e32 v1, v1
	s_nop 0
	v_mul_f32_e32 v1, 0x4f7ffffe, v1
	v_cvt_u32_f32_e32 v1, v1
	s_nop 0
	v_readfirstlane_b32 s7, v1
	s_mul_i32 s6, s6, s7
	s_mul_hi_u32 s6, s7, s6
	s_add_i32 s7, s7, s6
	s_mul_hi_u32 s6, s5, s7
	s_waitcnt lgkmcnt(0)
	s_mul_i32 s15, s6, s22
	s_sub_i32 s5, s5, s15
	s_add_i32 s7, s6, 1
	s_sub_i32 s15, s5, s22
	s_cmp_ge_u32 s5, s22
	s_cselect_b32 s6, s7, s6
	s_cselect_b32 s5, s15, s5
	s_add_i32 s7, s6, 1
	s_cmp_ge_u32 s5, s22
	s_cselect_b32 s6, s7, s6
.LBB12_3:
	s_add_i32 s5, s2, 1
	s_mul_hi_i32 s21, s11, s5
	s_mov_b32 s20, 0
	s_cmp_lg_u64 s[20:21], 0
	s_mul_i32 s5, s11, s5
	s_cbranch_scc0 .LBB12_21
; %bb.4:
	s_add_u32 s16, s22, 0
	s_addc_u32 s17, 0, 0
	s_xor_b64 s[18:19], s[16:17], 0
	v_cvt_f32_u32_e32 v1, s18
	v_cvt_f32_u32_e32 v2, s19
	s_sub_u32 s7, 0, s18
	s_waitcnt lgkmcnt(0)
	s_subb_u32 s15, 0, s19
	v_fmamk_f32 v1, v2, 0x4f800000, v1
	v_rcp_f32_e32 v1, v1
	s_nop 0
	v_mul_f32_e32 v1, 0x5f7ffffc, v1
	v_mul_f32_e32 v2, 0x2f800000, v1
	v_trunc_f32_e32 v2, v2
	v_fmamk_f32 v1, v2, 0xcf800000, v1
	v_cvt_u32_f32_e32 v2, v2
	v_cvt_u32_f32_e32 v1, v1
	v_readfirstlane_b32 s20, v2
	v_readfirstlane_b32 s23, v1
	s_mul_i32 s24, s7, s20
	s_mul_hi_u32 s26, s7, s23
	s_mul_i32 s25, s15, s23
	s_add_i32 s24, s26, s24
	s_add_i32 s24, s24, s25
	s_mul_i32 s27, s7, s23
	s_mul_i32 s26, s23, s24
	s_mul_hi_u32 s28, s23, s27
	s_mul_hi_u32 s25, s23, s24
	s_add_u32 s26, s28, s26
	s_addc_u32 s25, 0, s25
	s_mul_hi_u32 s29, s20, s27
	s_mul_i32 s27, s20, s27
	s_add_u32 s26, s26, s27
	s_mul_hi_u32 s28, s20, s24
	s_addc_u32 s25, s25, s29
	s_addc_u32 s26, s28, 0
	s_mul_i32 s24, s20, s24
	s_add_u32 s24, s25, s24
	s_addc_u32 s26, 0, s26
	s_add_u32 s23, s23, s24
	s_cselect_b64 s[24:25], -1, 0
	s_cmp_lg_u64 s[24:25], 0
	s_addc_u32 s20, s20, s26
	s_mul_i32 s24, s7, s20
	s_mul_hi_u32 s25, s7, s23
	s_add_i32 s24, s25, s24
	s_mul_i32 s15, s15, s23
	s_add_i32 s24, s24, s15
	s_mul_i32 s7, s7, s23
	s_mul_hi_u32 s25, s20, s7
	s_mul_i32 s26, s20, s7
	s_mul_i32 s28, s23, s24
	s_mul_hi_u32 s7, s23, s7
	s_mul_hi_u32 s27, s23, s24
	s_add_u32 s7, s7, s28
	s_addc_u32 s27, 0, s27
	s_add_u32 s7, s7, s26
	s_mul_hi_u32 s15, s20, s24
	s_addc_u32 s7, s27, s25
	s_addc_u32 s15, s15, 0
	s_mul_i32 s24, s20, s24
	s_add_u32 s7, s7, s24
	s_addc_u32 s15, 0, s15
	s_add_u32 s7, s23, s7
	s_cselect_b64 s[24:25], -1, 0
	s_cmp_lg_u64 s[24:25], 0
	s_addc_u32 s15, s20, s15
	s_ashr_i32 s24, s21, 31
	s_add_u32 s20, s5, s24
	s_mov_b32 s25, s24
	s_addc_u32 s21, s21, s24
	s_xor_b64 s[20:21], s[20:21], s[24:25]
	s_mul_i32 s26, s20, s15
	s_mul_hi_u32 s27, s20, s7
	s_mul_hi_u32 s23, s20, s15
	s_add_u32 s26, s27, s26
	s_addc_u32 s23, 0, s23
	s_mul_hi_u32 s28, s21, s7
	s_mul_i32 s7, s21, s7
	s_add_u32 s7, s26, s7
	s_mul_hi_u32 s27, s21, s15
	s_addc_u32 s7, s23, s28
	s_addc_u32 s23, s27, 0
	s_mul_i32 s15, s21, s15
	s_add_u32 s7, s7, s15
	s_addc_u32 s15, 0, s23
	s_mul_i32 s23, s18, s15
	s_mul_hi_u32 s26, s18, s7
	s_add_i32 s23, s26, s23
	s_mul_i32 s26, s19, s7
	s_add_i32 s23, s23, s26
	s_sub_i32 s28, s21, s23
	s_mul_i32 s26, s18, s7
	s_sub_u32 s20, s20, s26
	s_cselect_b64 s[26:27], -1, 0
	s_cmp_lg_u64 s[26:27], 0
	s_subb_u32 s30, s28, s19
	s_sub_u32 s31, s20, s18
	s_cselect_b64 s[28:29], -1, 0
	s_cmp_lg_u64 s[28:29], 0
	s_subb_u32 s28, s30, 0
	s_cmp_ge_u32 s28, s19
	s_cselect_b32 s29, -1, 0
	s_cmp_ge_u32 s31, s18
	s_cselect_b32 s30, -1, 0
	s_cmp_eq_u32 s28, s19
	s_cselect_b32 s28, s30, s29
	s_add_u32 s29, s7, 1
	s_addc_u32 s30, s15, 0
	s_add_u32 s31, s7, 2
	s_addc_u32 s33, s15, 0
	s_cmp_lg_u32 s28, 0
	s_cselect_b32 s28, s31, s29
	s_cselect_b32 s29, s33, s30
	s_cmp_lg_u64 s[26:27], 0
	s_subb_u32 s21, s21, s23
	s_cmp_ge_u32 s21, s19
	s_cselect_b32 s23, -1, 0
	s_cmp_ge_u32 s20, s18
	s_cselect_b32 s18, -1, 0
	s_cmp_eq_u32 s21, s19
	s_cselect_b32 s18, s18, s23
	s_cmp_lg_u32 s18, 0
	s_cselect_b32 s19, s29, s15
	s_cselect_b32 s18, s28, s7
	s_xor_b64 s[20:21], s[24:25], 0
	s_xor_b64 s[18:19], s[18:19], s[20:21]
	s_sub_u32 s18, s18, s20
	s_cbranch_execnz .LBB12_6
.LBB12_5:
	v_cvt_f32_u32_e32 v1, s22
	s_sub_i32 s7, 0, s22
	v_rcp_iflag_f32_e32 v1, v1
	s_nop 0
	v_mul_f32_e32 v1, 0x4f7ffffe, v1
	v_cvt_u32_f32_e32 v1, v1
	s_waitcnt lgkmcnt(0)
	v_readfirstlane_b32 s15, v1
	s_mul_i32 s7, s7, s15
	s_mul_hi_u32 s7, s15, s7
	s_add_i32 s15, s15, s7
	s_mul_hi_u32 s7, s5, s15
	s_mul_i32 s16, s7, s22
	s_sub_i32 s5, s5, s16
	s_add_i32 s15, s7, 1
	s_sub_i32 s16, s5, s22
	s_cmp_ge_u32 s5, s22
	s_cselect_b32 s7, s15, s7
	s_cselect_b32 s5, s16, s5
	s_add_i32 s15, s7, 1
	s_cmp_ge_u32 s5, s22
	s_cselect_b32 s18, s15, s7
.LBB12_6:
	s_cmp_eq_u32 s6, s18
	s_waitcnt lgkmcnt(0)
	s_mul_hi_u32 s5, s6, s12
	s_cselect_b64 s[16:17], -1, 0
	s_add_i32 s5, s5, s6
	s_lshr_b32 s7, s5, s13
	s_mul_i32 s5, s7, s14
	s_cmp_eq_u32 s5, s6
	s_mul_hi_u32 s5, s18, s12
	s_cselect_b64 s[20:21], -1, 0
	s_add_i32 s5, s5, s18
	s_lshr_b32 s5, s5, s13
	s_cmp_eq_u32 s7, s5
	s_mul_i32 s5, s5, s14
	s_cselect_b64 s[24:25], -1, 0
	s_cmp_lg_u32 s5, s18
	s_cselect_b64 s[18:19], -1, 0
	s_and_b64 s[18:19], s[24:25], s[18:19]
	s_or_b64 s[16:17], s[16:17], s[20:21]
	s_or_b64 s[16:17], s[16:17], s[18:19]
	s_and_b64 vcc, exec, s[16:17]
	s_cbranch_vccnz .LBB12_23
; %bb.7:
	s_load_dwordx8 s[24:31], s[0:1], 0x20
	s_load_dword s5, s[0:1], 0x40
	s_waitcnt lgkmcnt(0)
	s_mul_hi_u32 s15, s6, s24
	s_add_i32 s15, s15, s6
	s_lshr_b32 s20, s15, s25
	s_mul_i32 s15, s20, s26
	s_sub_i32 s15, s6, s15
	s_mul_hi_u32 s16, s15, s27
	s_add_i32 s16, s15, s16
	s_lshr_b32 s21, s16, s28
	s_mul_i32 s16, s21, s29
	s_sub_i32 s15, s15, s16
	;; [unrolled: 5-line block ×3, first 2 shown]
	s_mul_hi_u32 s15, s5, s12
	s_add_i32 s5, s5, s15
	s_lshr_b32 s23, s5, s13
	s_lshl_b32 s5, s23, 4
	s_add_i32 s5, s5, s3
	s_cmp_lt_i32 s5, s8
	s_cselect_b64 s[16:17], -1, 0
	s_add_i32 s24, s24, s4
	s_cmp_lt_i32 s24, s10
	s_cselect_b64 s[18:19], -1, 0
	s_and_b64 s[16:17], s[16:17], s[18:19]
	s_andn2_b64 vcc, exec, s[16:17]
	s_cbranch_vccnz .LBB12_23
; %bb.8:
	s_load_dwordx4 s[16:19], s[0:1], 0x0
	s_mov_b32 s0, 0
	s_add_i32 s15, s3, s4
	s_lshl_b32 s4, s22, 6
	s_mov_b32 s5, s0
	s_lshl_b64 s[4:5], s[4:5], 2
	s_waitcnt lgkmcnt(0)
	s_add_u32 s4, s18, s4
	s_mul_i32 s1, s20, s8
	s_addc_u32 s5, s19, s5
	s_mul_i32 s21, s21, s10
	s_add_i32 s1, s1, s3
	s_mul_i32 s1, s1, s9
	s_add_i32 s3, s24, s21
	;; [unrolled: 2-line block ×3, first 2 shown]
	s_mulk_i32 s8, 0x500
	s_mulk_i32 s1, 0x50
	s_add_i32 s8, s8, s1
	v_add_u32_e32 v4, s8, v0
	v_mov_b32_e32 v2, s16
	v_mov_b32_e32 v3, s17
	v_ashrrev_i32_e32 v5, 31, v4
	v_lshl_add_u64 v[2:3], v[4:5], 2, v[2:3]
	global_load_dword v1, v[2:3], off
	v_cvt_f32_u32_e32 v4, s22
	s_lshl_b32 s1, s2, 4
	s_add_i32 s8, s1, s15
	s_ashr_i32 s9, s8, 31
	s_lshl_b64 s[8:9], s[8:9], 3
	v_rcp_iflag_f32_e32 v4, v4
	s_add_u32 s8, s18, s8
	s_addc_u32 s9, s19, s9
	s_load_dwordx2 s[8:9], s[8:9], 0x0
	v_mul_f32_e32 v4, 0x4f7ffffe, v4
	v_cvt_u32_f32_e32 v7, v4
	s_mul_i32 s1, s15, 0x50
	s_add_i32 s21, s2, -1
	v_add_u32_e32 v6, s1, v0
	s_waitcnt lgkmcnt(0)
	v_mov_b32_e32 v0, s9
	v_mov_b32_e32 v9, s8
	s_mov_b32 s10, 0x3fb8aa3b
	s_mov_b32 s20, 0xc2ce8ed0
	;; [unrolled: 1-line block ×4, first 2 shown]
	v_mov_b32_e32 v8, 0x7f800000
	s_mul_hi_i32 s1, s21, s11
	s_cmp_lg_u64 s[0:1], 0
	s_mul_i32 s16, s21, s11
	s_cbranch_scc0 .LBB12_19
.LBB12_9:
	s_add_u32 s2, s22, 0
	s_addc_u32 s3, 0, 0
	s_xor_b64 s[2:3], s[2:3], 0
	v_cvt_f32_u32_e32 v4, s2
	v_cvt_f32_u32_e32 v5, s3
	s_sub_u32 s17, 0, s2
	s_subb_u32 s25, 0, s3
	v_fmac_f32_e32 v4, 0x4f800000, v5
	v_rcp_f32_e32 v4, v4
	s_nop 0
	v_mul_f32_e32 v4, 0x5f7ffffc, v4
	v_mul_f32_e32 v5, 0x2f800000, v4
	v_trunc_f32_e32 v5, v5
	v_fmac_f32_e32 v4, 0xcf800000, v5
	v_cvt_u32_f32_e32 v5, v5
	v_cvt_u32_f32_e32 v4, v4
	v_readfirstlane_b32 s26, v5
	v_readfirstlane_b32 s8, v4
	s_mul_i32 s9, s17, s26
	s_mul_hi_u32 s28, s17, s8
	s_mul_i32 s27, s25, s8
	s_add_i32 s9, s28, s9
	s_mul_i32 s29, s17, s8
	s_add_i32 s9, s9, s27
	s_mul_i32 s28, s8, s9
	s_mul_hi_u32 s30, s8, s29
	s_mul_hi_u32 s27, s8, s9
	s_add_u32 s28, s30, s28
	s_addc_u32 s27, 0, s27
	s_mul_hi_u32 s31, s26, s29
	s_mul_i32 s29, s26, s29
	s_add_u32 s28, s28, s29
	s_mul_hi_u32 s30, s26, s9
	s_addc_u32 s27, s27, s31
	s_addc_u32 s28, s30, 0
	s_mul_i32 s9, s26, s9
	s_add_u32 s9, s27, s9
	s_addc_u32 s27, 0, s28
	s_add_u32 s28, s8, s9
	s_cselect_b64 s[8:9], -1, 0
	s_cmp_lg_u64 s[8:9], 0
	s_addc_u32 s26, s26, s27
	s_mul_i32 s8, s17, s26
	s_mul_hi_u32 s9, s17, s28
	s_add_i32 s8, s9, s8
	s_mul_i32 s25, s25, s28
	s_add_i32 s8, s8, s25
	s_mul_i32 s17, s17, s28
	s_mul_hi_u32 s25, s26, s17
	s_mul_i32 s27, s26, s17
	s_mul_i32 s30, s28, s8
	s_mul_hi_u32 s17, s28, s17
	s_mul_hi_u32 s29, s28, s8
	s_add_u32 s17, s17, s30
	s_addc_u32 s29, 0, s29
	s_add_u32 s17, s17, s27
	s_mul_hi_u32 s9, s26, s8
	s_addc_u32 s17, s29, s25
	s_addc_u32 s9, s9, 0
	s_mul_i32 s8, s26, s8
	s_add_u32 s8, s17, s8
	s_addc_u32 s17, 0, s9
	s_add_u32 s25, s28, s8
	s_cselect_b64 s[8:9], -1, 0
	s_cmp_lg_u64 s[8:9], 0
	s_addc_u32 s17, s26, s17
	s_ashr_i32 s8, s1, 31
	s_add_u32 s26, s16, s8
	s_mov_b32 s9, s8
	s_addc_u32 s27, s1, s8
	s_xor_b64 s[26:27], s[26:27], s[8:9]
	s_mul_i32 s28, s26, s17
	s_mul_hi_u32 s29, s26, s25
	s_mul_hi_u32 s1, s26, s17
	s_add_u32 s28, s29, s28
	s_addc_u32 s1, 0, s1
	s_mul_hi_u32 s30, s27, s25
	s_mul_i32 s25, s27, s25
	s_add_u32 s25, s28, s25
	s_mul_hi_u32 s29, s27, s17
	s_addc_u32 s1, s1, s30
	s_addc_u32 s25, s29, 0
	s_mul_i32 s17, s27, s17
	s_add_u32 s1, s1, s17
	s_addc_u32 s17, 0, s25
	s_mul_i32 s25, s2, s17
	s_mul_hi_u32 s28, s2, s1
	s_add_i32 s25, s28, s25
	s_mul_i32 s28, s3, s1
	s_add_i32 s25, s25, s28
	s_sub_i32 s30, s27, s25
	s_mul_i32 s28, s2, s1
	s_sub_u32 s26, s26, s28
	s_cselect_b64 s[28:29], -1, 0
	s_cmp_lg_u64 s[28:29], 0
	s_subb_u32 s33, s30, s3
	s_sub_u32 s34, s26, s2
	s_cselect_b64 s[30:31], -1, 0
	s_cmp_lg_u64 s[30:31], 0
	s_subb_u32 s30, s33, 0
	s_cmp_ge_u32 s30, s3
	s_cselect_b32 s31, -1, 0
	s_cmp_ge_u32 s34, s2
	s_cselect_b32 s33, -1, 0
	s_cmp_eq_u32 s30, s3
	s_cselect_b32 s30, s33, s31
	s_add_u32 s31, s1, 1
	s_addc_u32 s33, s17, 0
	s_add_u32 s34, s1, 2
	s_addc_u32 s35, s17, 0
	s_cmp_lg_u32 s30, 0
	s_cselect_b32 s30, s34, s31
	s_cselect_b32 s31, s35, s33
	s_cmp_lg_u64 s[28:29], 0
	s_subb_u32 s25, s27, s25
	s_cmp_ge_u32 s25, s3
	s_cselect_b32 s27, -1, 0
	s_cmp_ge_u32 s26, s2
	s_cselect_b32 s2, -1, 0
	s_cmp_eq_u32 s25, s3
	s_cselect_b32 s2, s2, s27
	s_cmp_lg_u32 s2, 0
	s_cselect_b32 s3, s31, s17
	s_cselect_b32 s2, s30, s1
	s_xor_b64 s[8:9], s[8:9], 0
	s_xor_b64 s[2:3], s[2:3], s[8:9]
	s_sub_u32 s8, s2, s8
	s_cbranch_execnz .LBB12_11
.LBB12_10:
	s_sub_i32 s1, 0, s22
	v_readfirstlane_b32 s2, v7
	s_mul_i32 s1, s1, s2
	s_mul_hi_u32 s1, s2, s1
	s_add_i32 s2, s2, s1
	s_mul_hi_u32 s1, s16, s2
	s_mul_i32 s3, s1, s22
	s_sub_i32 s3, s16, s3
	s_add_i32 s2, s1, 1
	s_sub_i32 s8, s3, s22
	s_cmp_ge_u32 s3, s22
	s_cselect_b32 s1, s2, s1
	s_cselect_b32 s3, s8, s3
	s_add_i32 s2, s1, 1
	s_cmp_ge_u32 s3, s22
	s_cselect_b32 s8, s2, s1
.LBB12_11:
	s_cmp_lg_u32 s6, s8
	s_cbranch_scc0 .LBB12_15
; %bb.12:
	s_add_i32 s1, s21, s22
	s_lshl_b32 s1, s1, 4
	s_add_i32 s2, s1, s15
	s_mov_b32 s3, s0
	s_lshl_b64 s[2:3], s[2:3], 3
	s_add_u32 s16, s18, s2
	s_mul_hi_u32 s1, s8, s12
	s_addc_u32 s17, s19, s3
	s_add_i32 s1, s1, s8
	s_lshr_b32 s1, s1, s13
	s_mul_i32 s2, s1, s14
	s_cmp_eq_u32 s2, s8
	s_cselect_b64 s[2:3], -1, 0
	s_cmp_lt_u32 s1, s7
	s_cselect_b64 s[26:27], -1, 0
	s_or_b64 s[26:27], s[26:27], s[2:3]
	s_mov_b64 s[2:3], -1
	s_and_b64 vcc, exec, s[26:27]
	s_mov_b32 s1, s21
	s_mov_b32 s25, s6
	s_cbranch_vccnz .LBB12_14
; %bb.13:
	s_add_i32 s1, s21, -1
	s_mov_b64 s[2:3], 0
	s_mov_b32 s25, s8
.LBB12_14:
	s_mul_i32 s8, s21, 0x500
	v_add_u32_e32 v4, s8, v6
	v_ashrrev_i32_e32 v5, 31, v4
	v_lshl_add_u64 v[4:5], v[4:5], 2, s[4:5]
	global_load_dword v5, v[4:5], off
	s_load_dwordx2 s[8:9], s[16:17], 0x0
	v_max_f32_e32 v4, v9, v9
	s_waitcnt lgkmcnt(0)
	v_max_f32_e64 v10, s8, s8
	v_max_f32_e32 v10, v4, v10
	v_sub_f32_e32 v11, v9, v10
	v_sub_f32_e32 v13, s8, v10
	v_mul_f32_e32 v4, 0x3fb8aa3b, v11
	v_mul_f32_e32 v12, 0x3fb8aa3b, v13
	v_fma_f32 v14, v11, s10, -v4
	v_rndne_f32_e32 v15, v4
	v_fma_f32 v16, v13, s10, -v12
	v_rndne_f32_e32 v17, v12
	v_fmac_f32_e32 v14, 0x32a5705f, v11
	v_sub_f32_e32 v4, v4, v15
	v_fmac_f32_e32 v16, 0x32a5705f, v13
	v_sub_f32_e32 v12, v12, v17
	v_add_f32_e32 v4, v4, v14
	v_cvt_i32_f32_e32 v15, v15
	v_add_f32_e32 v12, v12, v16
	v_exp_f32_e32 v14, v4
	v_cvt_i32_f32_e32 v17, v17
	v_exp_f32_e32 v12, v12
	v_cmp_ngt_f32_e32 vcc, s20, v11
	v_ldexp_f32 v14, v14, v15
	v_mov_b32_e32 v4, s9
	v_ldexp_f32 v12, v12, v17
	v_cndmask_b32_e32 v14, 0, v14, vcc
	v_cmp_ngt_f32_e32 vcc, s20, v13
	s_nop 1
	v_cndmask_b32_e32 v12, 0, v12, vcc
	v_cmp_nlt_f32_e32 vcc, s23, v11
	s_nop 1
	v_cndmask_b32_e32 v14, v8, v14, vcc
	v_cmp_nlt_f32_e32 vcc, s23, v13
	s_nop 1
	v_cndmask_b32_e32 v15, v8, v12, vcc
	v_cmp_le_f32_e32 vcc, s24, v11
	s_nop 1
	v_cndmask_b32_e32 v12, 0, v14, vcc
	v_cmp_le_f32_e32 vcc, s24, v13
	s_nop 1
	v_cndmask_b32_e32 v14, 0, v15, vcc
	s_waitcnt vmcnt(0)
	v_pk_mul_f32 v[4:5], v[4:5], v[14:15] op_sel_hi:[1,0]
	s_nop 0
	v_pk_fma_f32 v[4:5], v[0:1], v[12:13], v[4:5] op_sel_hi:[1,0,1]
	s_cbranch_execz .LBB12_16
	s_branch .LBB12_17
.LBB12_15:
                                        ; implicit-def: $vgpr4_vgpr5
                                        ; implicit-def: $sgpr2_sgpr3
                                        ; implicit-def: $vgpr10
                                        ; implicit-def: $sgpr1
                                        ; implicit-def: $sgpr25
.LBB12_16:
	s_add_i32 s1, s21, -1
	s_mov_b64 s[2:3], 0
	s_mov_b32 s25, s6
	v_mov_b32_e32 v10, v9
	s_waitcnt vmcnt(0)
	v_mov_b64_e32 v[4:5], v[0:1]
.LBB12_17:
	s_andn2_b64 vcc, exec, s[2:3]
	s_cbranch_vccz .LBB12_22
; %bb.18:
	s_mov_b32 s6, s25
	s_mov_b32 s21, s1
	v_mov_b32_e32 v9, v10
	s_waitcnt vmcnt(0)
	v_mov_b64_e32 v[0:1], v[4:5]
	s_mul_hi_i32 s1, s21, s11
	s_cmp_lg_u64 s[0:1], 0
	s_mul_i32 s16, s21, s11
	s_cbranch_scc1 .LBB12_9
.LBB12_19:
                                        ; implicit-def: $sgpr8_sgpr9
	s_branch .LBB12_10
.LBB12_20:
                                        ; implicit-def: $sgpr6_sgpr7
	s_load_dwordx4 s[12:15], s[0:1], 0x44
	s_branch .LBB12_2
.LBB12_21:
                                        ; implicit-def: $sgpr18_sgpr19
	s_branch .LBB12_5
.LBB12_22:
	v_div_scale_f32 v0, s[0:1], v4, v4, v5
	s_waitcnt vmcnt(0)
	v_rcp_f32_e32 v1, v0
	v_div_scale_f32 v6, vcc, v5, v4, v5
	v_fma_f32 v7, -v0, v1, 1.0
	v_fmac_f32_e32 v1, v7, v1
	v_mul_f32_e32 v7, v6, v1
	v_fma_f32 v8, -v0, v7, v6
	v_fmac_f32_e32 v7, v8, v1
	v_fma_f32 v0, -v0, v7, v6
	v_div_fmas_f32 v0, v0, v1, v7
	v_div_fixup_f32 v0, v0, v4, v5
	global_store_dword v[2:3], v0, off
.LBB12_23:
	s_endpgm
	.section	.rodata,"a",@progbits
	.p2align	6, 0x0
	.amdhsa_kernel _ZL33flash_attn_stream_k_fixup_generalILi80ELi16ELi1EEvPfPK15HIP_vector_typeIfLj2EEiiiiS1_IjLj3EES5_S5_S5_
		.amdhsa_group_segment_fixed_size 0
		.amdhsa_private_segment_fixed_size 0
		.amdhsa_kernarg_size 336
		.amdhsa_user_sgpr_count 2
		.amdhsa_user_sgpr_dispatch_ptr 0
		.amdhsa_user_sgpr_queue_ptr 0
		.amdhsa_user_sgpr_kernarg_segment_ptr 1
		.amdhsa_user_sgpr_dispatch_id 0
		.amdhsa_user_sgpr_kernarg_preload_length 0
		.amdhsa_user_sgpr_kernarg_preload_offset 0
		.amdhsa_user_sgpr_private_segment_size 0
		.amdhsa_uses_dynamic_stack 0
		.amdhsa_enable_private_segment 0
		.amdhsa_system_sgpr_workgroup_id_x 1
		.amdhsa_system_sgpr_workgroup_id_y 1
		.amdhsa_system_sgpr_workgroup_id_z 1
		.amdhsa_system_sgpr_workgroup_info 0
		.amdhsa_system_vgpr_workitem_id 0
		.amdhsa_next_free_vgpr 18
		.amdhsa_next_free_sgpr 36
		.amdhsa_accum_offset 20
		.amdhsa_reserve_vcc 1
		.amdhsa_float_round_mode_32 0
		.amdhsa_float_round_mode_16_64 0
		.amdhsa_float_denorm_mode_32 3
		.amdhsa_float_denorm_mode_16_64 3
		.amdhsa_dx10_clamp 1
		.amdhsa_ieee_mode 1
		.amdhsa_fp16_overflow 0
		.amdhsa_tg_split 0
		.amdhsa_exception_fp_ieee_invalid_op 0
		.amdhsa_exception_fp_denorm_src 0
		.amdhsa_exception_fp_ieee_div_zero 0
		.amdhsa_exception_fp_ieee_overflow 0
		.amdhsa_exception_fp_ieee_underflow 0
		.amdhsa_exception_fp_ieee_inexact 0
		.amdhsa_exception_int_div_zero 0
	.end_amdhsa_kernel
	.section	.text._ZL33flash_attn_stream_k_fixup_generalILi80ELi16ELi1EEvPfPK15HIP_vector_typeIfLj2EEiiiiS1_IjLj3EES5_S5_S5_,"axG",@progbits,_ZL33flash_attn_stream_k_fixup_generalILi80ELi16ELi1EEvPfPK15HIP_vector_typeIfLj2EEiiiiS1_IjLj3EES5_S5_S5_,comdat
.Lfunc_end12:
	.size	_ZL33flash_attn_stream_k_fixup_generalILi80ELi16ELi1EEvPfPK15HIP_vector_typeIfLj2EEiiiiS1_IjLj3EES5_S5_S5_, .Lfunc_end12-_ZL33flash_attn_stream_k_fixup_generalILi80ELi16ELi1EEvPfPK15HIP_vector_typeIfLj2EEiiiiS1_IjLj3EES5_S5_S5_
                                        ; -- End function
	.set _ZL33flash_attn_stream_k_fixup_generalILi80ELi16ELi1EEvPfPK15HIP_vector_typeIfLj2EEiiiiS1_IjLj3EES5_S5_S5_.num_vgpr, 18
	.set _ZL33flash_attn_stream_k_fixup_generalILi80ELi16ELi1EEvPfPK15HIP_vector_typeIfLj2EEiiiiS1_IjLj3EES5_S5_S5_.num_agpr, 0
	.set _ZL33flash_attn_stream_k_fixup_generalILi80ELi16ELi1EEvPfPK15HIP_vector_typeIfLj2EEiiiiS1_IjLj3EES5_S5_S5_.numbered_sgpr, 36
	.set _ZL33flash_attn_stream_k_fixup_generalILi80ELi16ELi1EEvPfPK15HIP_vector_typeIfLj2EEiiiiS1_IjLj3EES5_S5_S5_.num_named_barrier, 0
	.set _ZL33flash_attn_stream_k_fixup_generalILi80ELi16ELi1EEvPfPK15HIP_vector_typeIfLj2EEiiiiS1_IjLj3EES5_S5_S5_.private_seg_size, 0
	.set _ZL33flash_attn_stream_k_fixup_generalILi80ELi16ELi1EEvPfPK15HIP_vector_typeIfLj2EEiiiiS1_IjLj3EES5_S5_S5_.uses_vcc, 1
	.set _ZL33flash_attn_stream_k_fixup_generalILi80ELi16ELi1EEvPfPK15HIP_vector_typeIfLj2EEiiiiS1_IjLj3EES5_S5_S5_.uses_flat_scratch, 0
	.set _ZL33flash_attn_stream_k_fixup_generalILi80ELi16ELi1EEvPfPK15HIP_vector_typeIfLj2EEiiiiS1_IjLj3EES5_S5_S5_.has_dyn_sized_stack, 0
	.set _ZL33flash_attn_stream_k_fixup_generalILi80ELi16ELi1EEvPfPK15HIP_vector_typeIfLj2EEiiiiS1_IjLj3EES5_S5_S5_.has_recursion, 0
	.set _ZL33flash_attn_stream_k_fixup_generalILi80ELi16ELi1EEvPfPK15HIP_vector_typeIfLj2EEiiiiS1_IjLj3EES5_S5_S5_.has_indirect_call, 0
	.section	.AMDGPU.csdata,"",@progbits
; Kernel info:
; codeLenInByte = 2936
; TotalNumSgprs: 42
; NumVgprs: 18
; NumAgprs: 0
; TotalNumVgprs: 18
; ScratchSize: 0
; MemoryBound: 0
; FloatMode: 240
; IeeeMode: 1
; LDSByteSize: 0 bytes/workgroup (compile time only)
; SGPRBlocks: 5
; VGPRBlocks: 2
; NumSGPRsForWavesPerEU: 42
; NumVGPRsForWavesPerEU: 18
; AccumOffset: 20
; Occupancy: 8
; WaveLimiterHint : 0
; COMPUTE_PGM_RSRC2:SCRATCH_EN: 0
; COMPUTE_PGM_RSRC2:USER_SGPR: 2
; COMPUTE_PGM_RSRC2:TRAP_HANDLER: 0
; COMPUTE_PGM_RSRC2:TGID_X_EN: 1
; COMPUTE_PGM_RSRC2:TGID_Y_EN: 1
; COMPUTE_PGM_RSRC2:TGID_Z_EN: 1
; COMPUTE_PGM_RSRC2:TIDIG_COMP_CNT: 0
; COMPUTE_PGM_RSRC3_GFX90A:ACCUM_OFFSET: 4
; COMPUTE_PGM_RSRC3_GFX90A:TG_SPLIT: 0
	.section	.text._ZL26flash_attn_combine_resultsILi80EEvPKfPK15HIP_vector_typeIfLj2EEPfi,"axG",@progbits,_ZL26flash_attn_combine_resultsILi80EEvPKfPK15HIP_vector_typeIfLj2EEPfi,comdat
	.globl	_ZL26flash_attn_combine_resultsILi80EEvPKfPK15HIP_vector_typeIfLj2EEPfi ; -- Begin function _ZL26flash_attn_combine_resultsILi80EEvPKfPK15HIP_vector_typeIfLj2EEPfi
	.p2align	8
	.type	_ZL26flash_attn_combine_resultsILi80EEvPKfPK15HIP_vector_typeIfLj2EEPfi,@function
_ZL26flash_attn_combine_resultsILi80EEvPKfPK15HIP_vector_typeIfLj2EEPfi: ; @_ZL26flash_attn_combine_resultsILi80EEvPKfPK15HIP_vector_typeIfLj2EEPfi
; %bb.0:
	s_load_dwordx2 s[6:7], s[0:1], 0x20
	s_load_dword s23, s[0:1], 0x18
	s_load_dwordx4 s[16:19], s[0:1], 0x0
	s_load_dwordx2 s[14:15], s[0:1], 0x10
	s_waitcnt lgkmcnt(0)
	s_mul_i32 s0, s6, s4
	s_add_i32 s0, s0, s2
	s_mul_i32 s22, s0, s7
	s_add_i32 s22, s22, s3
	s_lshl_b32 s12, s23, 1
	s_mul_i32 s2, s22, s23
	v_cmp_gt_i32_e32 vcc, s12, v0
	s_and_saveexec_b64 s[0:1], vcc
	s_cbranch_execz .LBB13_13
; %bb.1:
	v_xad_u32 v1, v0, -1, s12
	s_movk_i32 s4, 0x4f
	s_ashr_i32 s3, s2, 31
	v_cmp_lt_u32_e32 vcc, s4, v1
	s_mov_b64 s[6:7], -1
	v_mov_b32_e32 v2, v0
	s_and_saveexec_b64 s[4:5], vcc
	s_cbranch_execz .LBB13_10
; %bb.2:
	s_mov_b32 s6, 0xcccccccd
	v_mul_hi_u32 v1, v1, s6
	v_lshrrev_b32_e32 v6, 6, v1
	s_lshl_b64 s[6:7], s[2:3], 3
	v_add_u32_e32 v2, -1, v6
	s_add_u32 s6, s18, s6
	v_add_u32_e32 v1, 0x50, v0
	v_lshrrev_b32_e32 v3, 1, v2
	s_addc_u32 s7, s19, s7
	v_add_u32_e32 v7, 1, v3
	v_cmp_lt_u32_e32 vcc, 13, v2
	v_mov_b32_e32 v4, 0
	v_mov_b64_e32 v[2:3], v[0:1]
	s_and_saveexec_b64 s[8:9], vcc
	s_cbranch_execz .LBB13_6
; %bb.3:
	v_and_b32_e32 v8, -8, v7
	s_mov_b32 s13, 0
	v_lshl_add_u32 v9, v0, 2, 0
	s_mov_b64 s[10:11], 0
	v_mov_b32_e32 v5, 0
	v_mov_b64_e32 v[2:3], v[0:1]
.LBB13_4:                               ; =>This Inner Loop Header: Depth=1
	v_mov_b32_e32 v4, v2
	v_lshl_add_u64 v[24:25], v[4:5], 2, s[6:7]
	v_mov_b32_e32 v4, v3
	v_add_u32_e32 v10, 0xa0, v3
	v_mov_b32_e32 v11, v5
	v_lshl_add_u64 v[26:27], v[4:5], 2, s[6:7]
	v_add_u32_e32 v4, 0xa0, v2
	v_lshl_add_u64 v[10:11], v[10:11], 2, s[6:7]
	global_load_dword v1, v[24:25], off
	v_lshl_add_u64 v[24:25], v[4:5], 2, s[6:7]
	v_add_u32_e32 v4, 0x140, v2
	global_load_dword v28, v[26:27], off
	global_load_dword v29, v[24:25], off
	;; [unrolled: 1-line block ×3, first 2 shown]
	v_lshl_add_u64 v[10:11], v[4:5], 2, s[6:7]
	v_add_u32_e32 v4, 0x1e0, v2
	v_add_u32_e32 v12, 0x140, v3
	v_mov_b32_e32 v13, v5
	v_add_u32_e32 v14, 0x1e0, v3
	v_mov_b32_e32 v15, v5
	v_lshl_add_u64 v[24:25], v[4:5], 2, s[6:7]
	v_add_u32_e32 v4, 0x280, v2
	v_lshl_add_u64 v[12:13], v[12:13], 2, s[6:7]
	v_lshl_add_u64 v[14:15], v[14:15], 2, s[6:7]
	global_load_dword v26, v[10:11], off
	global_load_dword v27, v[12:13], off
	;; [unrolled: 1-line block ×4, first 2 shown]
	v_lshl_add_u64 v[10:11], v[4:5], 2, s[6:7]
	v_add_u32_e32 v4, 0x320, v2
	v_add_u32_e32 v16, 0x280, v3
	v_mov_b32_e32 v17, v5
	v_add_u32_e32 v18, 0x320, v3
	v_mov_b32_e32 v19, v5
	v_lshl_add_u64 v[12:13], v[4:5], 2, s[6:7]
	v_add_u32_e32 v4, 0x3c0, v2
	v_add_u32_e32 v20, 0x3c0, v3
	v_mov_b32_e32 v21, v5
	v_add_u32_e32 v22, 0x460, v3
	v_mov_b32_e32 v23, v5
	v_lshl_add_u64 v[16:17], v[16:17], 2, s[6:7]
	v_lshl_add_u64 v[18:19], v[18:19], 2, s[6:7]
	global_load_dword v14, v[10:11], off
	global_load_dword v15, v[16:17], off
	;; [unrolled: 1-line block ×4, first 2 shown]
	v_lshl_add_u64 v[10:11], v[4:5], 2, s[6:7]
	v_add_u32_e32 v4, 0x460, v2
	v_lshl_add_u64 v[20:21], v[20:21], 2, s[6:7]
	v_lshl_add_u64 v[22:23], v[22:23], 2, s[6:7]
	;; [unrolled: 1-line block ×3, first 2 shown]
	global_load_dword v16, v[10:11], off
	global_load_dword v17, v[20:21], off
	;; [unrolled: 1-line block ×4, first 2 shown]
	v_add_u32_e32 v8, -8, v8
	s_add_i32 s13, s13, 16
	v_cmp_eq_u32_e32 vcc, 0, v8
	v_add_u32_e32 v10, 0x400, v9
	v_add_u32_e32 v11, 0x600, v9
	v_add_u32_e32 v12, 0x800, v9
	v_add_u32_e32 v13, 0xc00, v9
	v_add_u32_e32 v20, 0xe00, v9
	v_add_u32_e32 v21, 0x1000, v9
	v_add_u32_e32 v3, 0x500, v3
	v_mov_b32_e32 v4, s13
	s_or_b64 s[10:11], vcc, s[10:11]
	v_add_u32_e32 v2, 0x500, v2
	s_waitcnt vmcnt(14)
	ds_write2_b32 v9, v1, v28 offset1:80
	s_waitcnt vmcnt(12)
	ds_write2_b32 v9, v29, v30 offset0:160 offset1:240
	v_add_u32_e32 v9, 0x1400, v9
	s_waitcnt vmcnt(10)
	ds_write2_b32 v10, v26, v27 offset0:64 offset1:144
	s_waitcnt vmcnt(8)
	ds_write2_b32 v11, v31, v32 offset0:96 offset1:176
	;; [unrolled: 2-line block ×6, first 2 shown]
	s_andn2_b64 exec, exec, s[10:11]
	s_cbranch_execnz .LBB13_4
; %bb.5:
	s_or_b64 exec, exec, s[10:11]
.LBB13_6:
	s_or_b64 exec, exec, s[8:9]
	v_and_b32_e32 v1, 7, v7
	v_cmp_ne_u32_e32 vcc, 0, v1
	s_and_saveexec_b64 s[8:9], vcc
	s_cbranch_execz .LBB13_9
; %bb.7:
	s_movk_i32 s10, 0x140
	v_mul_lo_u32 v4, v4, s10
	v_lshlrev_b32_e32 v5, 2, v0
	v_add3_u32 v7, v4, v5, 0
	s_mov_b64 s[10:11], 0
	v_mov_b32_e32 v5, 0
.LBB13_8:                               ; =>This Inner Loop Header: Depth=1
	v_mov_b32_e32 v4, v2
	v_lshl_add_u64 v[8:9], v[4:5], 2, s[6:7]
	v_mov_b32_e32 v4, v3
	v_lshl_add_u64 v[10:11], v[4:5], 2, s[6:7]
	global_load_dword v4, v[8:9], off
	global_load_dword v12, v[10:11], off
	v_add_u32_e32 v1, -1, v1
	v_cmp_eq_u32_e32 vcc, 0, v1
	v_add_u32_e32 v2, 0xa0, v2
	v_add_u32_e32 v3, 0xa0, v3
	s_or_b64 s[10:11], vcc, s[10:11]
	s_waitcnt vmcnt(0)
	ds_write2_b32 v7, v4, v12 offset1:80
	v_add_u32_e32 v7, 0x280, v7
	s_andn2_b64 exec, exec, s[10:11]
	s_cbranch_execnz .LBB13_8
.LBB13_9:
	s_or_b64 exec, exec, s[8:9]
	v_add_u32_e32 v1, 1, v6
	v_and_b32_e32 v4, 0x7fffffe, v1
	s_movk_i32 s6, 0x50
	v_mad_u64_u32 v[2:3], s[6:7], v4, s6, v[0:1]
	v_cmp_ne_u32_e32 vcc, v1, v4
	s_orn2_b64 s[6:7], vcc, exec
.LBB13_10:
	s_or_b64 exec, exec, s[4:5]
	s_and_b64 exec, exec, s[6:7]
	s_cbranch_execz .LBB13_13
; %bb.11:
	s_lshl_b64 s[4:5], s[2:3], 3
	s_add_u32 s4, s18, s4
	v_mov_b32_e32 v3, 0
	s_addc_u32 s5, s19, s5
	v_lshl_add_u64 v[4:5], v[2:3], 2, s[4:5]
	v_lshl_add_u32 v1, v2, 2, 0
	s_mov_b64 s[4:5], 0
	s_mov_b64 s[6:7], 0x140
.LBB13_12:                              ; =>This Inner Loop Header: Depth=1
	global_load_dword v3, v[4:5], off
	v_add_u32_e32 v2, 0x50, v2
	v_cmp_le_i32_e32 vcc, s12, v2
	v_lshl_add_u64 v[4:5], v[4:5], 0, s[6:7]
	s_or_b64 s[4:5], vcc, s[4:5]
	s_waitcnt vmcnt(0)
	ds_write_b32 v1, v3
	v_add_u32_e32 v1, 0x140, v1
	s_andn2_b64 exec, exec, s[4:5]
	s_cbranch_execnz .LBB13_12
.LBB13_13:
	s_or_b64 exec, exec, s[0:1]
	v_mov_b32_e32 v1, 0
	s_waitcnt lgkmcnt(0)
	s_barrier
	ds_read_b32 v1, v1
	s_cmp_lt_i32 s23, 2
	s_cbranch_scc1 .LBB13_21
; %bb.14:
	s_cmp_eq_u32 s23, 2
	s_cbranch_scc1 .LBB13_18
; %bb.15:
	s_add_i32 s3, s23, -1
	s_and_b32 s4, s3, -2
	s_add_i32 s6, 0, 8
	s_mov_b32 s5, 2
	s_waitcnt lgkmcnt(0)
	v_mov_b32_e32 v4, v1
.LBB13_16:                              ; =>This Inner Loop Header: Depth=1
	v_mov_b32_e32 v2, v1
	v_mov_b32_e32 v1, s6
	;; [unrolled: 1-line block ×3, first 2 shown]
	ds_read2_b32 v[4:5], v1 offset1:2
	s_cmp_lg_u32 s4, s5
	s_cselect_b64 s[8:9], -1, 0
	v_max_f32_e32 v1, v3, v3
	v_max_f32_e32 v6, v2, v2
	s_waitcnt lgkmcnt(0)
	v_cmp_u_f32_e32 vcc, v5, v5
	v_max_f32_e32 v7, v5, v5
	v_max_f32_e32 v8, v4, v4
	v_cndmask_b32_e64 v5, 0, 1, vcc
	v_cmp_u_f32_e32 vcc, v4, v4
	v_readfirstlane_b32 s0, v5
	s_lshl_b32 s0, s0, 1
	v_cndmask_b32_e64 v9, 0, 1, vcc
	v_max_f32_e32 v4, v1, v7
	v_readfirstlane_b32 s1, v9
	s_or_b32 s0, s1, s0
	s_and_b32 s7, s0, 3
	s_cmp_lg_u32 s7, 0
	s_cselect_b64 s[0:1], -1, 0
	s_cmp_eq_u32 s7, 0
	s_cselect_b64 s[10:11], -1, 0
	s_and_b64 s[8:9], s[10:11], s[8:9]
	v_max_f32_e32 v1, v6, v8
	s_add_i32 s5, s5, 2
	s_add_i32 s6, s6, 16
	s_and_b64 vcc, exec, s[8:9]
	s_cbranch_vccnz .LBB13_16
; %bb.17:
	s_add_i32 s5, s5, -4
	s_and_b64 s[6:7], s[0:1], exec
	s_cselect_b32 s5, s5, s3
	s_or_b32 s5, s5, 1
	v_cndmask_b32_e64 v1, v1, v2, s[0:1]
	v_cndmask_b32_e64 v2, v4, v3, s[0:1]
	s_cmp_lg_u32 s3, s4
	v_max_f32_e32 v2, v2, v2
	v_max_f32_e32 v1, v1, v1
	s_cselect_b64 s[6:7], -1, 0
	v_max_f32_e32 v1, v1, v2
	s_or_b64 s[0:1], s[6:7], s[0:1]
	s_and_b64 vcc, exec, s[0:1]
	s_cbranch_vccnz .LBB13_19
	s_branch .LBB13_21
.LBB13_18:
	s_mov_b32 s5, 1
	s_cbranch_execz .LBB13_21
.LBB13_19:
	s_lshl_b32 s1, s5, 3
	s_sub_i32 s0, s23, s5
	s_add_i32 s1, s1, 0
.LBB13_20:                              ; =>This Inner Loop Header: Depth=1
	v_mov_b32_e32 v2, s1
	ds_read_b32 v2, v2
	s_waitcnt lgkmcnt(1)
	v_max_f32_e32 v1, v1, v1
	s_add_i32 s0, s0, -1
	s_add_i32 s1, s1, 8
	s_cmp_eq_u32 s0, 0
	s_waitcnt lgkmcnt(0)
	v_max_f32_e32 v2, v2, v2
	v_max_f32_e32 v1, v1, v2
	s_cbranch_scc0 .LBB13_20
.LBB13_21:
	s_cmp_lt_i32 s23, 1
	s_cbranch_scc1 .LBB13_26
; %bb.22:
	s_mul_i32 s18, s2, 0x50
	s_ashr_i32 s19, s18, 31
	s_cmp_lt_u32 s23, 8
	s_cbranch_scc1 .LBB13_27
; %bb.23:
	s_lshl_b64 s[0:1], s[18:19], 2
	s_add_u32 s20, s16, s0
	v_mov_b32_e32 v7, 0
	s_addc_u32 s21, s17, s1
	s_and_b32 s24, s23, 0x7ffffff8
	v_add_u32_e32 v4, 0x140, v0
	s_mov_b32 s25, 0
	s_mov_b32 s26, 0x3fb8aa3b
	;; [unrolled: 1-line block ×4, first 2 shown]
	v_mov_b32_e32 v8, 0x7f800000
	s_mov_b32 s29, 0
	v_mov_b32_e32 v2, v7
	v_mov_b32_e32 v3, v7
.LBB13_24:                              ; =>This Inner Loop Header: Depth=1
	v_add_u32_e32 v6, 0xfffffec0, v4
	v_mov_b32_e32 v9, s25
	v_lshl_add_u64 v[26:27], v[6:7], 2, s[20:21]
	v_add_u32_e32 v6, 0xffffff10, v4
	ds_read2_b64 v[10:13], v9 offset1:1
	ds_read2_b64 v[14:17], v9 offset0:2 offset1:3
	ds_read2_b64 v[18:21], v9 offset0:4 offset1:5
	;; [unrolled: 1-line block ×3, first 2 shown]
	v_lshl_add_u64 v[30:31], v[6:7], 2, s[20:21]
	v_add_u32_e32 v6, 0xffffff60, v4
	global_load_dword v33, v[26:27], off
	global_load_dword v35, v[30:31], off
	v_lshl_add_u64 v[26:27], v[6:7], 2, s[20:21]
	v_add_u32_e32 v6, 0xffffffb0, v4
	v_mov_b32_e32 v5, v7
	v_lshl_add_u64 v[30:31], v[6:7], 2, s[20:21]
	v_add_u32_e32 v6, 0x50, v4
	v_lshl_add_u64 v[28:29], v[4:5], 2, s[20:21]
	global_load_dword v37, v[26:27], off
	global_load_dword v39, v[30:31], off
	;; [unrolled: 1-line block ×3, first 2 shown]
	v_lshl_add_u64 v[26:27], v[6:7], 2, s[20:21]
	v_add_u32_e32 v6, 0xa0, v4
	s_waitcnt lgkmcnt(3)
	v_mov_b32_e32 v32, v11
	v_sub_f32_e32 v9, v12, v1
	v_mov_b32_e32 v34, v13
	global_load_dword v11, v[26:27], off
	v_lshl_add_u64 v[12:13], v[6:7], 2, s[20:21]
	v_add_u32_e32 v6, 0xf0, v4
	s_waitcnt lgkmcnt(2)
	v_mov_b32_e32 v36, v15
	global_load_dword v15, v[12:13], off
	v_lshl_add_u64 v[12:13], v[6:7], 2, s[20:21]
	v_mov_b32_e32 v38, v17
	global_load_dword v17, v[12:13], off
	v_sub_f32_e32 v5, v10, v1
	s_waitcnt lgkmcnt(1)
	v_mov_b32_e32 v40, v19
	v_sub_f32_e32 v19, v20, v1
	s_waitcnt lgkmcnt(0)
	v_sub_f32_e32 v20, v22, v1
	v_mul_f32_e32 v22, 0x3fb8aa3b, v5
	v_sub_f32_e32 v28, v14, v1
	v_sub_f32_e32 v29, v16, v1
	v_mov_b32_e32 v14, v23
	v_mul_f32_e32 v23, 0x3fb8aa3b, v9
	v_fma_f32 v6, v5, s26, -v22
	v_rndne_f32_e32 v42, v22
	v_sub_f32_e32 v18, v18, v1
	v_mov_b32_e32 v10, v21
	v_sub_f32_e32 v21, v24, v1
	v_mov_b32_e32 v16, v25
	v_mul_f32_e32 v24, 0x3fb8aa3b, v28
	v_mul_f32_e32 v25, 0x3fb8aa3b, v29
	v_fma_f32 v43, v9, s26, -v23
	v_rndne_f32_e32 v44, v23
	v_fmac_f32_e32 v6, 0x32a5705f, v5
	v_sub_f32_e32 v12, v22, v42
	v_mul_f32_e32 v26, 0x3fb8aa3b, v18
	v_mul_f32_e32 v27, 0x3fb8aa3b, v19
	;; [unrolled: 1-line block ×3, first 2 shown]
	v_fma_f32 v45, v28, s26, -v24
	v_rndne_f32_e32 v46, v24
	v_fma_f32 v47, v29, s26, -v25
	v_rndne_f32_e32 v48, v25
	v_fmac_f32_e32 v43, 0x32a5705f, v9
	v_sub_f32_e32 v22, v23, v44
	v_add_f32_e32 v6, v12, v6
	v_fma_f32 v49, v18, s26, -v26
	v_rndne_f32_e32 v50, v26
	v_fma_f32 v51, v19, s26, -v27
	v_rndne_f32_e32 v52, v27
	;; [unrolled: 2-line block ×3, first 2 shown]
	v_cvt_i32_f32_e32 v13, v42
	v_fmac_f32_e32 v45, 0x32a5705f, v28
	v_sub_f32_e32 v24, v24, v46
	v_fmac_f32_e32 v47, 0x32a5705f, v29
	v_sub_f32_e32 v25, v25, v48
	v_add_f32_e32 v12, v22, v43
	v_exp_f32_e32 v6, v6
	v_cvt_i32_f32_e32 v23, v44
	v_fmac_f32_e32 v49, 0x32a5705f, v18
	v_sub_f32_e32 v26, v26, v50
	v_fmac_f32_e32 v51, 0x32a5705f, v19
	v_sub_f32_e32 v27, v27, v52
	;; [unrolled: 2-line block ×3, first 2 shown]
	v_add_f32_e32 v22, v24, v45
	v_add_f32_e32 v24, v25, v47
	v_exp_f32_e32 v12, v12
	v_mul_f32_e32 v31, 0x3fb8aa3b, v21
	v_cvt_i32_f32_e32 v42, v46
	v_cvt_i32_f32_e32 v44, v48
	v_add_f32_e32 v25, v26, v49
	v_add_f32_e32 v26, v27, v51
	;; [unrolled: 1-line block ×3, first 2 shown]
	v_exp_f32_e32 v22, v22
	v_exp_f32_e32 v24, v24
	v_fma_f32 v55, v21, s26, -v31
	v_rndne_f32_e32 v56, v31
	v_cvt_i32_f32_e32 v46, v50
	v_cvt_i32_f32_e32 v48, v52
	;; [unrolled: 1-line block ×3, first 2 shown]
	v_exp_f32_e32 v25, v25
	v_exp_f32_e32 v26, v26
	;; [unrolled: 1-line block ×3, first 2 shown]
	v_fmac_f32_e32 v55, 0x32a5705f, v21
	v_sub_f32_e32 v31, v31, v56
	v_ldexp_f32 v6, v6, v13
	v_cmp_ngt_f32_e64 s[12:13], s27, v5
	v_add_f32_e32 v30, v31, v55
	v_ldexp_f32 v12, v12, v23
	v_cmp_ngt_f32_e32 vcc, s27, v9
	v_cndmask_b32_e64 v6, 0, v6, s[12:13]
	v_cmp_nlt_f32_e64 s[12:13], s28, v5
	v_cvt_i32_f32_e32 v52, v56
	v_exp_f32_e32 v30, v30
	v_ldexp_f32 v13, v22, v42
	v_cmp_ngt_f32_e64 s[0:1], s27, v28
	v_ldexp_f32 v22, v24, v44
	v_cmp_ngt_f32_e64 s[2:3], s27, v29
	v_cndmask_b32_e32 v12, 0, v12, vcc
	v_cmp_nlt_f32_e32 vcc, s28, v9
	v_cndmask_b32_e64 v6, v8, v6, s[12:13]
	v_ldexp_f32 v23, v25, v46
	v_cmp_ngt_f32_e64 s[4:5], s27, v18
	v_ldexp_f32 v24, v26, v48
	v_cmp_ngt_f32_e64 s[6:7], s27, v19
	;; [unrolled: 2-line block ×3, first 2 shown]
	v_cndmask_b32_e64 v9, 0, v13, s[0:1]
	v_cmp_nlt_f32_e64 s[0:1], s28, v28
	v_cndmask_b32_e64 v13, 0, v22, s[2:3]
	v_cndmask_b32_e32 v12, v8, v12, vcc
	s_waitcnt vmcnt(7)
	v_pk_fma_f32 v[2:3], v[6:7], v[32:33], v[2:3] op_sel_hi:[0,1,1]
	v_cmp_nlt_f32_e64 s[2:3], s28, v29
	v_cndmask_b32_e64 v22, 0, v23, s[4:5]
	v_cmp_nlt_f32_e64 s[4:5], s28, v18
	v_cndmask_b32_e64 v23, 0, v24, s[6:7]
	;; [unrolled: 2-line block ×3, first 2 shown]
	v_cndmask_b32_e64 v18, v8, v9, s[0:1]
	s_waitcnt vmcnt(6)
	v_pk_fma_f32 v[2:3], v[12:13], v[34:35], v[2:3] op_sel_hi:[0,1,1]
	v_cmp_nlt_f32_e64 s[8:9], s28, v20
	v_cndmask_b32_e64 v20, v8, v13, s[2:3]
	s_waitcnt vmcnt(5)
	v_pk_fma_f32 v[2:3], v[18:19], v[36:37], v[2:3] op_sel_hi:[0,1,1]
	v_ldexp_f32 v26, v30, v52
	v_cmp_ngt_f32_e64 s[10:11], s27, v21
	v_cndmask_b32_e64 v22, v8, v22, s[4:5]
	s_waitcnt vmcnt(4)
	v_pk_fma_f32 v[2:3], v[20:21], v[38:39], v[2:3] op_sel_hi:[0,1,1]
	v_cndmask_b32_e64 v25, 0, v26, s[10:11]
	v_cndmask_b32_e64 v24, v8, v23, s[6:7]
	s_waitcnt vmcnt(3)
	v_pk_fma_f32 v[2:3], v[22:23], v[40:41], v[2:3] op_sel_hi:[0,1,1]
	v_cmp_nlt_f32_e64 s[10:11], s28, v21
	v_cndmask_b32_e64 v26, v8, v19, s[8:9]
	s_waitcnt vmcnt(2)
	v_pk_fma_f32 v[2:3], v[24:25], v[10:11], v[2:3] op_sel_hi:[0,1,1]
	s_add_i32 s29, s29, 8
	s_add_i32 s25, s25, 64
	v_cndmask_b32_e64 v28, v8, v25, s[10:11]
	s_waitcnt vmcnt(1)
	v_pk_fma_f32 v[2:3], v[26:27], v[14:15], v[2:3] op_sel_hi:[0,1,1]
	s_cmp_eq_u32 s24, s29
	v_add_u32_e32 v4, 0x280, v4
	s_waitcnt vmcnt(0)
	v_pk_fma_f32 v[2:3], v[28:29], v[16:17], v[2:3] op_sel_hi:[0,1,1]
	s_cbranch_scc0 .LBB13_24
; %bb.25:
	s_and_b32 s2, s23, 7
	s_cmp_eq_u32 s2, 0
	s_cbranch_scc0 .LBB13_28
	s_branch .LBB13_30
.LBB13_26:
	s_waitcnt lgkmcnt(0)
	v_mov_b32_e32 v1, 0x7fc00000
	s_branch .LBB13_31
.LBB13_27:
	v_mov_b32_e32 v2, 0
	s_mov_b32 s24, 0
	v_mov_b32_e32 v3, v2
	s_and_b32 s2, s23, 7
	s_cmp_eq_u32 s2, 0
	s_cbranch_scc1 .LBB13_30
.LBB13_28:
	s_lshl_b64 s[0:1], s[18:19], 2
	s_mul_i32 s3, s24, 0x50
	s_add_u32 s0, s16, s0
	v_add_u32_e32 v4, s3, v0
	v_mov_b32_e32 v5, 0
	s_addc_u32 s1, s17, s1
	v_lshl_add_u64 v[4:5], v[4:5], 2, s[0:1]
	s_lshl_b32 s0, s24, 3
	s_add_i32 s3, s0, 0
	s_mov_b32 s4, 0x3fb8aa3b
	s_mov_b32 s5, 0xc2ce8ed0
	;; [unrolled: 1-line block ×3, first 2 shown]
	v_mov_b32_e32 v6, 0x7f800000
	s_mov_b64 s[0:1], 0x140
.LBB13_29:                              ; =>This Inner Loop Header: Depth=1
	global_load_dword v9, v[4:5], off
	v_mov_b32_e32 v7, s3
	ds_read_b64 v[10:11], v7
	s_add_i32 s3, s3, 8
	s_add_i32 s2, s2, -1
	v_lshl_add_u64 v[4:5], v[4:5], 0, s[0:1]
	s_cmp_lg_u32 s2, 0
	s_waitcnt lgkmcnt(0)
	v_sub_f32_e32 v7, v10, v1
	v_mul_f32_e32 v8, 0x3fb8aa3b, v7
	v_fma_f32 v10, v7, s4, -v8
	v_rndne_f32_e32 v12, v8
	v_fmac_f32_e32 v10, 0x32a5705f, v7
	v_sub_f32_e32 v8, v8, v12
	v_add_f32_e32 v8, v8, v10
	v_cvt_i32_f32_e32 v12, v12
	v_exp_f32_e32 v10, v8
	v_cmp_ngt_f32_e32 vcc, s5, v7
	v_mov_b32_e32 v8, v11
	v_ldexp_f32 v10, v10, v12
	v_cndmask_b32_e32 v10, 0, v10, vcc
	v_cmp_nlt_f32_e32 vcc, s6, v7
	s_nop 1
	v_cndmask_b32_e32 v10, v6, v10, vcc
	s_waitcnt vmcnt(0)
	v_pk_fma_f32 v[2:3], v[10:11], v[8:9], v[2:3] op_sel_hi:[0,1,1]
	s_cbranch_scc1 .LBB13_29
.LBB13_30:
	s_waitcnt lgkmcnt(0)
	v_div_scale_f32 v1, s[0:1], v2, v2, v3
	v_rcp_f32_e32 v4, v1
	v_div_scale_f32 v5, vcc, v3, v2, v3
	v_fma_f32 v6, -v1, v4, 1.0
	v_fmac_f32_e32 v4, v6, v4
	v_mul_f32_e32 v6, v5, v4
	v_fma_f32 v7, -v1, v6, v5
	v_fmac_f32_e32 v6, v7, v4
	v_fma_f32 v1, -v1, v6, v5
	v_div_fmas_f32 v1, v1, v4, v6
	v_div_fixup_f32 v1, v1, v2, v3
.LBB13_31:
	s_mul_i32 s0, s22, 0x50
	s_ashr_i32 s1, s0, 31
	s_lshl_b64 s[0:1], s[0:1], 2
	s_add_u32 s0, s14, s0
	s_addc_u32 s1, s15, s1
	v_lshlrev_b32_e32 v0, 2, v0
	global_store_dword v0, v1, s[0:1]
	s_endpgm
	.section	.rodata,"a",@progbits
	.p2align	6, 0x0
	.amdhsa_kernel _ZL26flash_attn_combine_resultsILi80EEvPKfPK15HIP_vector_typeIfLj2EEPfi
		.amdhsa_group_segment_fixed_size 0
		.amdhsa_private_segment_fixed_size 0
		.amdhsa_kernarg_size 288
		.amdhsa_user_sgpr_count 2
		.amdhsa_user_sgpr_dispatch_ptr 0
		.amdhsa_user_sgpr_queue_ptr 0
		.amdhsa_user_sgpr_kernarg_segment_ptr 1
		.amdhsa_user_sgpr_dispatch_id 0
		.amdhsa_user_sgpr_kernarg_preload_length 0
		.amdhsa_user_sgpr_kernarg_preload_offset 0
		.amdhsa_user_sgpr_private_segment_size 0
		.amdhsa_uses_dynamic_stack 0
		.amdhsa_enable_private_segment 0
		.amdhsa_system_sgpr_workgroup_id_x 1
		.amdhsa_system_sgpr_workgroup_id_y 1
		.amdhsa_system_sgpr_workgroup_id_z 1
		.amdhsa_system_sgpr_workgroup_info 0
		.amdhsa_system_vgpr_workitem_id 0
		.amdhsa_next_free_vgpr 57
		.amdhsa_next_free_sgpr 30
		.amdhsa_accum_offset 60
		.amdhsa_reserve_vcc 1
		.amdhsa_float_round_mode_32 0
		.amdhsa_float_round_mode_16_64 0
		.amdhsa_float_denorm_mode_32 3
		.amdhsa_float_denorm_mode_16_64 3
		.amdhsa_dx10_clamp 1
		.amdhsa_ieee_mode 1
		.amdhsa_fp16_overflow 0
		.amdhsa_tg_split 0
		.amdhsa_exception_fp_ieee_invalid_op 0
		.amdhsa_exception_fp_denorm_src 0
		.amdhsa_exception_fp_ieee_div_zero 0
		.amdhsa_exception_fp_ieee_overflow 0
		.amdhsa_exception_fp_ieee_underflow 0
		.amdhsa_exception_fp_ieee_inexact 0
		.amdhsa_exception_int_div_zero 0
	.end_amdhsa_kernel
	.section	.text._ZL26flash_attn_combine_resultsILi80EEvPKfPK15HIP_vector_typeIfLj2EEPfi,"axG",@progbits,_ZL26flash_attn_combine_resultsILi80EEvPKfPK15HIP_vector_typeIfLj2EEPfi,comdat
.Lfunc_end13:
	.size	_ZL26flash_attn_combine_resultsILi80EEvPKfPK15HIP_vector_typeIfLj2EEPfi, .Lfunc_end13-_ZL26flash_attn_combine_resultsILi80EEvPKfPK15HIP_vector_typeIfLj2EEPfi
                                        ; -- End function
	.set _ZL26flash_attn_combine_resultsILi80EEvPKfPK15HIP_vector_typeIfLj2EEPfi.num_vgpr, 57
	.set _ZL26flash_attn_combine_resultsILi80EEvPKfPK15HIP_vector_typeIfLj2EEPfi.num_agpr, 0
	.set _ZL26flash_attn_combine_resultsILi80EEvPKfPK15HIP_vector_typeIfLj2EEPfi.numbered_sgpr, 30
	.set _ZL26flash_attn_combine_resultsILi80EEvPKfPK15HIP_vector_typeIfLj2EEPfi.num_named_barrier, 0
	.set _ZL26flash_attn_combine_resultsILi80EEvPKfPK15HIP_vector_typeIfLj2EEPfi.private_seg_size, 0
	.set _ZL26flash_attn_combine_resultsILi80EEvPKfPK15HIP_vector_typeIfLj2EEPfi.uses_vcc, 1
	.set _ZL26flash_attn_combine_resultsILi80EEvPKfPK15HIP_vector_typeIfLj2EEPfi.uses_flat_scratch, 0
	.set _ZL26flash_attn_combine_resultsILi80EEvPKfPK15HIP_vector_typeIfLj2EEPfi.has_dyn_sized_stack, 0
	.set _ZL26flash_attn_combine_resultsILi80EEvPKfPK15HIP_vector_typeIfLj2EEPfi.has_recursion, 0
	.set _ZL26flash_attn_combine_resultsILi80EEvPKfPK15HIP_vector_typeIfLj2EEPfi.has_indirect_call, 0
	.section	.AMDGPU.csdata,"",@progbits
; Kernel info:
; codeLenInByte = 3032
; TotalNumSgprs: 36
; NumVgprs: 57
; NumAgprs: 0
; TotalNumVgprs: 57
; ScratchSize: 0
; MemoryBound: 0
; FloatMode: 240
; IeeeMode: 1
; LDSByteSize: 0 bytes/workgroup (compile time only)
; SGPRBlocks: 4
; VGPRBlocks: 7
; NumSGPRsForWavesPerEU: 36
; NumVGPRsForWavesPerEU: 57
; AccumOffset: 60
; Occupancy: 8
; WaveLimiterHint : 0
; COMPUTE_PGM_RSRC2:SCRATCH_EN: 0
; COMPUTE_PGM_RSRC2:USER_SGPR: 2
; COMPUTE_PGM_RSRC2:TRAP_HANDLER: 0
; COMPUTE_PGM_RSRC2:TGID_X_EN: 1
; COMPUTE_PGM_RSRC2:TGID_Y_EN: 1
; COMPUTE_PGM_RSRC2:TGID_Z_EN: 1
; COMPUTE_PGM_RSRC2:TIDIG_COMP_CNT: 0
; COMPUTE_PGM_RSRC3_GFX90A:ACCUM_OFFSET: 14
; COMPUTE_PGM_RSRC3_GFX90A:TG_SPLIT: 0
	.section	.text._ZL18flash_attn_ext_f16ILi96ELi96ELi16ELi1ELb0ELb0EEvPKcS1_S1_S1_S1_PKiPfP15HIP_vector_typeIfLj2EEffffjfiS5_IjLj3EEiiiiiiiiiiiliiliiiiil,"axG",@progbits,_ZL18flash_attn_ext_f16ILi96ELi96ELi16ELi1ELb0ELb0EEvPKcS1_S1_S1_S1_PKiPfP15HIP_vector_typeIfLj2EEffffjfiS5_IjLj3EEiiiiiiiiiiiliiliiiiil,comdat
	.globl	_ZL18flash_attn_ext_f16ILi96ELi96ELi16ELi1ELb0ELb0EEvPKcS1_S1_S1_S1_PKiPfP15HIP_vector_typeIfLj2EEffffjfiS5_IjLj3EEiiiiiiiiiiiliiliiiiil ; -- Begin function _ZL18flash_attn_ext_f16ILi96ELi96ELi16ELi1ELb0ELb0EEvPKcS1_S1_S1_S1_PKiPfP15HIP_vector_typeIfLj2EEffffjfiS5_IjLj3EEiiiiiiiiiiiliiliiiiil
	.p2align	8
	.type	_ZL18flash_attn_ext_f16ILi96ELi96ELi16ELi1ELb0ELb0EEvPKcS1_S1_S1_S1_PKiPfP15HIP_vector_typeIfLj2EEffffjfiS5_IjLj3EEiiiiiiiiiiiliiliiiiil,@function
_ZL18flash_attn_ext_f16ILi96ELi96ELi16ELi1ELb0ELb0EEvPKcS1_S1_S1_S1_PKiPfP15HIP_vector_typeIfLj2EEffffjfiS5_IjLj3EEiiiiiiiiiiiliiliiiiil: ; @_ZL18flash_attn_ext_f16ILi96ELi96ELi16ELi1ELb0ELb0EEvPKcS1_S1_S1_S1_PKiPfP15HIP_vector_typeIfLj2EEffffjfiS5_IjLj3EEiiiiiiiiiiiliiliiiiil
; %bb.0:
	s_load_dwordx2 s[10:11], s[0:1], 0x80
	s_load_dwordx4 s[52:55], s[0:1], 0x64
	s_mov_b32 s60, s2
                                        ; implicit-def: $vgpr186 : SGPR spill to VGPR lane
	s_load_dword s61, s[0:1], 0xd0
	s_mov_b32 s4, 0
	s_waitcnt lgkmcnt(0)
	s_abs_i32 s2, s11
	v_cvt_f32_u32_e32 v1, s2
	s_sub_i32 s6, 0, s2
	s_abs_i32 s5, s53
	s_xor_b32 s3, s53, s11
	v_rcp_iflag_f32_e32 v1, v1
	s_ashr_i32 s3, s3, 31
	v_mul_f32_e32 v1, 0x4f7ffffe, v1
	v_cvt_u32_f32_e32 v1, v1
	s_nop 0
	v_readfirstlane_b32 s7, v1
	s_mul_i32 s6, s6, s7
	s_mul_hi_u32 s6, s7, s6
	s_add_i32 s7, s7, s6
	s_mul_hi_u32 s6, s5, s7
	s_mul_i32 s7, s6, s2
	s_sub_i32 s5, s5, s7
	s_add_i32 s8, s6, 1
	s_sub_i32 s7, s5, s2
	s_cmp_ge_u32 s5, s2
	s_cselect_b32 s6, s8, s6
	s_cselect_b32 s5, s7, s5
	s_add_i32 s7, s6, 1
	s_cmp_ge_u32 s5, s2
	s_cselect_b32 s2, s7, s6
	s_add_i32 s5, s10, 63
	s_xor_b32 s2, s2, s3
	s_ashr_i32 s6, s5, 31
	s_sub_i32 s3, s2, s3
	s_lshr_b32 s2, s6, 26
	s_add_i32 s5, s5, s2
	s_add_i32 s2, s52, 15
	s_lshr_b32 s2, s2, 4
	s_ashr_i32 s5, s5, 6
	v_writelane_b32 v186, s2, 0
	v_writelane_b32 v186, s5, 1
	s_mul_i32 s2, s2, s5
	v_writelane_b32 v186, s3, 2
	v_writelane_b32 v186, s2, 3
	s_mul_i32 s3, s2, s3
	s_mov_b32 s2, s10
	v_writelane_b32 v186, s2, 4
	s_nop 1
	v_writelane_b32 v186, s3, 5
	s_mul_i32 s2, s3, s11
	s_mul_i32 s8, s2, s54
	v_writelane_b32 v186, s3, 6
	s_ashr_i32 s9, s8, 31
	v_writelane_b32 v186, s2, 7
	s_mul_i32 s2, s9, s60
	s_mul_hi_u32 s3, s8, s60
	s_add_i32 s5, s3, s2
	s_cmp_lg_u64 s[4:5], 0
	s_mul_i32 s4, s8, s60
	s_cbranch_scc0 .LBB14_2
; %bb.1:
	s_add_u32 s2, s61, 0
	s_addc_u32 s3, 0, 0
	s_xor_b64 s[6:7], s[2:3], 0
	v_cvt_f32_u32_e32 v1, s6
	v_cvt_f32_u32_e32 v2, s7
	s_sub_u32 s12, 0, s6
	s_subb_u32 s13, 0, s7
	s_mov_b64 s[2:3], 0
	v_fmamk_f32 v1, v2, 0x4f800000, v1
	v_rcp_f32_e32 v1, v1
	s_nop 0
	v_mul_f32_e32 v1, 0x5f7ffffc, v1
	v_mul_f32_e32 v2, 0x2f800000, v1
	v_trunc_f32_e32 v2, v2
	v_fmamk_f32 v1, v2, 0xcf800000, v1
	v_cvt_u32_f32_e32 v2, v2
	v_cvt_u32_f32_e32 v1, v1
	v_readfirstlane_b32 s14, v2
	v_readfirstlane_b32 s10, v1
	s_mul_i32 s11, s12, s14
	s_mul_hi_u32 s16, s12, s10
	s_mul_i32 s15, s13, s10
	s_add_i32 s11, s16, s11
	s_add_i32 s11, s11, s15
	s_mul_i32 s17, s12, s10
	s_mul_i32 s16, s10, s11
	s_mul_hi_u32 s18, s10, s17
	s_mul_hi_u32 s15, s10, s11
	s_add_u32 s16, s18, s16
	s_addc_u32 s15, 0, s15
	s_mul_hi_u32 s19, s14, s17
	s_mul_i32 s17, s14, s17
	s_add_u32 s16, s16, s17
	s_mul_hi_u32 s18, s14, s11
	s_addc_u32 s15, s15, s19
	s_addc_u32 s16, s18, 0
	s_mul_i32 s11, s14, s11
	s_add_u32 s11, s15, s11
	s_addc_u32 s15, 0, s16
	s_add_u32 s16, s10, s11
	s_cselect_b64 s[10:11], -1, 0
	s_cmp_lg_u64 s[10:11], 0
	s_addc_u32 s14, s14, s15
	s_mul_i32 s10, s12, s14
	s_mul_hi_u32 s11, s12, s16
	s_add_i32 s10, s11, s10
	s_mul_i32 s13, s13, s16
	s_add_i32 s10, s10, s13
	s_mul_i32 s12, s12, s16
	s_mul_hi_u32 s13, s14, s12
	s_mul_i32 s15, s14, s12
	s_mul_i32 s18, s16, s10
	s_mul_hi_u32 s12, s16, s12
	s_mul_hi_u32 s17, s16, s10
	s_add_u32 s12, s12, s18
	s_addc_u32 s17, 0, s17
	s_add_u32 s12, s12, s15
	s_mul_hi_u32 s11, s14, s10
	s_addc_u32 s12, s17, s13
	s_addc_u32 s11, s11, 0
	s_mul_i32 s10, s14, s10
	s_add_u32 s10, s12, s10
	s_addc_u32 s12, 0, s11
	s_add_u32 s15, s16, s10
	s_cselect_b64 s[10:11], -1, 0
	s_cmp_lg_u64 s[10:11], 0
	s_addc_u32 s14, s14, s12
	s_ashr_i32 s10, s5, 31
	s_add_u32 s12, s4, s10
	s_mov_b32 s11, s10
	s_addc_u32 s13, s5, s10
	s_xor_b64 s[12:13], s[12:13], s[10:11]
	s_mul_i32 s16, s12, s14
	s_mul_hi_u32 s17, s12, s15
	s_mul_hi_u32 s5, s12, s14
	s_add_u32 s16, s17, s16
	s_addc_u32 s5, 0, s5
	s_mul_hi_u32 s18, s13, s15
	s_mul_i32 s15, s13, s15
	s_add_u32 s15, s16, s15
	s_mul_hi_u32 s17, s13, s14
	s_addc_u32 s5, s5, s18
	s_addc_u32 s15, s17, 0
	s_mul_i32 s14, s13, s14
	s_add_u32 s5, s5, s14
	s_addc_u32 s18, 0, s15
	s_mul_i32 s14, s6, s18
	s_mul_hi_u32 s15, s6, s5
	s_add_i32 s14, s15, s14
	s_mul_i32 s15, s7, s5
	s_add_i32 s19, s14, s15
	s_sub_i32 s16, s13, s19
	s_mul_i32 s14, s6, s5
	s_sub_u32 s12, s12, s14
	s_cselect_b64 s[14:15], -1, 0
	s_cmp_lg_u64 s[14:15], 0
	s_subb_u32 s20, s16, s7
	s_sub_u32 s21, s12, s6
	s_cselect_b64 s[16:17], -1, 0
	s_cmp_lg_u64 s[16:17], 0
	s_subb_u32 s16, s20, 0
	s_cmp_ge_u32 s16, s7
	s_cselect_b32 s17, -1, 0
	s_cmp_ge_u32 s21, s6
	s_cselect_b32 s20, -1, 0
	s_cmp_eq_u32 s16, s7
	s_cselect_b32 s16, s20, s17
	s_add_u32 s17, s5, 1
	s_addc_u32 s20, s18, 0
	s_add_u32 s21, s5, 2
	s_addc_u32 s22, s18, 0
	s_cmp_lg_u32 s16, 0
	s_cselect_b32 s16, s21, s17
	s_cselect_b32 s17, s22, s20
	s_cmp_lg_u64 s[14:15], 0
	s_subb_u32 s13, s13, s19
	s_cmp_ge_u32 s13, s7
	s_cselect_b32 s14, -1, 0
	s_cmp_ge_u32 s12, s6
	s_cselect_b32 s6, -1, 0
	s_cmp_eq_u32 s13, s7
	s_cselect_b32 s6, s6, s14
	s_cmp_lg_u32 s6, 0
	s_cselect_b32 s7, s17, s18
	s_cselect_b32 s6, s16, s5
	s_xor_b64 s[10:11], s[10:11], 0
	s_xor_b64 s[6:7], s[6:7], s[10:11]
	s_sub_u32 s78, s6, s10
	s_branch .LBB14_3
.LBB14_2:
	s_mov_b64 s[2:3], -1
                                        ; implicit-def: $sgpr78_sgpr79
.LBB14_3:
	s_load_dwordx2 s[6:7], s[0:1], 0x74
	v_cvt_f32_u32_e32 v1, s61
	s_andn2_b64 vcc, exec, s[2:3]
	s_waitcnt lgkmcnt(0)
	v_writelane_b32 v186, s6, 8
	s_nop 1
	v_writelane_b32 v186, s7, 9
	s_cbranch_vccnz .LBB14_5
; %bb.4:
	v_rcp_iflag_f32_e32 v2, v1
	s_sub_i32 s2, 0, s61
	v_mul_f32_e32 v2, 0x4f7ffffe, v2
	v_cvt_u32_f32_e32 v2, v2
	s_nop 0
	v_readfirstlane_b32 s3, v2
	s_mul_i32 s2, s2, s3
	s_mul_hi_u32 s2, s3, s2
	s_add_i32 s3, s3, s2
	s_mul_hi_u32 s2, s4, s3
	s_mul_i32 s5, s2, s61
	s_sub_i32 s4, s4, s5
	s_add_i32 s3, s2, 1
	s_sub_i32 s5, s4, s61
	s_cmp_ge_u32 s4, s61
	s_cselect_b32 s2, s3, s2
	s_cselect_b32 s4, s5, s4
	s_add_i32 s3, s2, 1
	s_cmp_ge_u32 s4, s61
	s_cselect_b32 s78, s3, s2
.LBB14_5:
	s_add_i32 s2, s60, 1
	s_mul_i32 s3, s9, s2
	s_mul_hi_u32 s4, s8, s2
	s_add_i32 s7, s4, s3
	s_mov_b32 s6, 0
	s_cmp_lg_u64 s[6:7], 0
	s_mul_i32 s6, s8, s2
	s_cbranch_scc0 .LBB14_242
; %bb.6:
	s_add_u32 s2, s61, 0
	s_addc_u32 s3, 0, 0
	s_xor_b64 s[4:5], s[2:3], 0
	v_cvt_f32_u32_e32 v2, s4
	v_cvt_f32_u32_e32 v3, s5
	s_sub_u32 s10, 0, s4
	s_subb_u32 s11, 0, s5
	v_fmamk_f32 v2, v3, 0x4f800000, v2
	v_rcp_f32_e32 v2, v2
	s_nop 0
	v_mul_f32_e32 v2, 0x5f7ffffc, v2
	v_mul_f32_e32 v3, 0x2f800000, v2
	v_trunc_f32_e32 v3, v3
	v_fmamk_f32 v2, v3, 0xcf800000, v2
	v_cvt_u32_f32_e32 v3, v3
	v_cvt_u32_f32_e32 v2, v2
	v_readfirstlane_b32 s12, v3
	v_readfirstlane_b32 s8, v2
	s_mul_i32 s9, s10, s12
	s_mul_hi_u32 s14, s10, s8
	s_mul_i32 s13, s11, s8
	s_add_i32 s9, s14, s9
	s_add_i32 s9, s9, s13
	s_mul_i32 s15, s10, s8
	s_mul_i32 s14, s8, s9
	s_mul_hi_u32 s16, s8, s15
	s_mul_hi_u32 s13, s8, s9
	s_add_u32 s14, s16, s14
	s_addc_u32 s13, 0, s13
	s_mul_hi_u32 s17, s12, s15
	s_mul_i32 s15, s12, s15
	s_add_u32 s14, s14, s15
	s_mul_hi_u32 s16, s12, s9
	s_addc_u32 s13, s13, s17
	s_addc_u32 s14, s16, 0
	s_mul_i32 s9, s12, s9
	s_add_u32 s9, s13, s9
	s_addc_u32 s13, 0, s14
	s_add_u32 s14, s8, s9
	s_cselect_b64 s[8:9], -1, 0
	s_cmp_lg_u64 s[8:9], 0
	s_addc_u32 s12, s12, s13
	s_mul_i32 s8, s10, s12
	s_mul_hi_u32 s9, s10, s14
	s_add_i32 s8, s9, s8
	s_mul_i32 s11, s11, s14
	s_add_i32 s8, s8, s11
	s_mul_i32 s10, s10, s14
	s_mul_hi_u32 s11, s12, s10
	s_mul_i32 s13, s12, s10
	s_mul_i32 s16, s14, s8
	s_mul_hi_u32 s10, s14, s10
	s_mul_hi_u32 s15, s14, s8
	s_add_u32 s10, s10, s16
	s_addc_u32 s15, 0, s15
	s_add_u32 s10, s10, s13
	s_mul_hi_u32 s9, s12, s8
	s_addc_u32 s10, s15, s11
	s_addc_u32 s9, s9, 0
	s_mul_i32 s8, s12, s8
	s_add_u32 s8, s10, s8
	s_addc_u32 s10, 0, s9
	s_add_u32 s13, s14, s8
	s_cselect_b64 s[8:9], -1, 0
	s_cmp_lg_u64 s[8:9], 0
	s_addc_u32 s12, s12, s10
	s_ashr_i32 s8, s7, 31
	s_add_u32 s10, s6, s8
	s_mov_b32 s9, s8
	s_addc_u32 s11, s7, s8
	s_xor_b64 s[10:11], s[10:11], s[8:9]
	s_mul_i32 s14, s10, s12
	s_mul_hi_u32 s15, s10, s13
	s_mul_hi_u32 s7, s10, s12
	s_add_u32 s14, s15, s14
	s_addc_u32 s7, 0, s7
	s_mul_hi_u32 s16, s11, s13
	s_mul_i32 s13, s11, s13
	s_add_u32 s13, s14, s13
	s_mul_hi_u32 s15, s11, s12
	s_addc_u32 s7, s7, s16
	s_addc_u32 s13, s15, 0
	s_mul_i32 s12, s11, s12
	s_add_u32 s7, s7, s12
	s_addc_u32 s16, 0, s13
	s_mul_i32 s12, s4, s16
	s_mul_hi_u32 s13, s4, s7
	s_add_i32 s12, s13, s12
	s_mul_i32 s13, s5, s7
	s_add_i32 s17, s12, s13
	s_sub_i32 s14, s11, s17
	s_mul_i32 s12, s4, s7
	s_sub_u32 s10, s10, s12
	s_cselect_b64 s[12:13], -1, 0
	s_cmp_lg_u64 s[12:13], 0
	s_subb_u32 s18, s14, s5
	s_sub_u32 s19, s10, s4
	s_cselect_b64 s[14:15], -1, 0
	s_cmp_lg_u64 s[14:15], 0
	s_subb_u32 s14, s18, 0
	s_cmp_ge_u32 s14, s5
	s_cselect_b32 s15, -1, 0
	s_cmp_ge_u32 s19, s4
	s_cselect_b32 s18, -1, 0
	s_cmp_eq_u32 s14, s5
	s_cselect_b32 s14, s18, s15
	s_add_u32 s15, s7, 1
	s_addc_u32 s18, s16, 0
	s_add_u32 s19, s7, 2
	s_addc_u32 s20, s16, 0
	s_cmp_lg_u32 s14, 0
	s_cselect_b32 s14, s19, s15
	s_cselect_b32 s15, s20, s18
	s_cmp_lg_u64 s[12:13], 0
	s_subb_u32 s11, s11, s17
	s_cmp_ge_u32 s11, s5
	s_cselect_b32 s12, -1, 0
	s_cmp_ge_u32 s10, s4
	s_cselect_b32 s4, -1, 0
	s_cmp_eq_u32 s11, s5
	s_cselect_b32 s4, s4, s12
	s_cmp_lg_u32 s4, 0
	s_cselect_b32 s5, s15, s16
	s_cselect_b32 s4, s14, s7
	s_xor_b64 s[8:9], s[8:9], 0
	s_xor_b64 s[4:5], s[4:5], s[8:9]
	s_sub_u32 s4, s4, s8
	v_writelane_b32 v186, s4, 10
	s_nop 1
	v_writelane_b32 v186, s5, 11
	s_load_dwordx2 s[68:69], s[0:1], 0x5c
	s_cbranch_execnz .LBB14_8
.LBB14_7:
	v_rcp_iflag_f32_e32 v1, v1
	s_sub_i32 s2, 0, s61
	v_mul_f32_e32 v1, 0x4f7ffffe, v1
	v_cvt_u32_f32_e32 v1, v1
	s_nop 0
	v_readfirstlane_b32 s3, v1
	s_mul_i32 s2, s2, s3
	s_mul_hi_u32 s2, s3, s2
	s_add_i32 s3, s3, s2
	s_mul_hi_u32 s2, s6, s3
	s_mul_i32 s4, s2, s61
	s_sub_i32 s4, s6, s4
	s_add_i32 s3, s2, 1
	s_sub_i32 s5, s4, s61
	s_cmp_ge_u32 s4, s61
	s_cselect_b32 s2, s3, s2
	s_cselect_b32 s4, s5, s4
	s_add_i32 s3, s2, 1
	s_cmp_ge_u32 s4, s61
	s_cselect_b32 s2, s3, s2
	v_writelane_b32 v186, s2, 10
	s_nop 1
	v_writelane_b32 v186, s3, 11
.LBB14_8:
	s_load_dwordx16 s[36:51], s[0:1], 0x0
	s_load_dwordx4 s[12:15], s[0:1], 0x40
	s_load_dword s2, s[0:1], 0x50
	v_bfe_u32 v43, v0, 10, 10
	v_bfe_u32 v98, v0, 5, 5
	s_mov_b32 s87, 0
	s_waitcnt lgkmcnt(0)
	v_cvt_f16_f32_e32 v49, s12
	v_writelane_b32 v186, s2, 12
	s_load_dwordx2 s[2:3], s[0:1], 0x8c
	s_load_dwordx4 s[56:59], s[0:1], 0x98
	s_load_dwordx2 s[76:77], s[0:1], 0xa8
	s_load_dwordx2 s[16:17], s[0:1], 0xb8
	s_nop 0
	s_load_dwordx2 s[0:1], s[0:1], 0xc8
	s_waitcnt lgkmcnt(0)
	s_ashr_i32 s66, s2, 2
	s_ashr_i32 s54, s58, 2
	v_lshl_add_u32 v47, v43, 1, v98
	s_ashr_i32 s70, s17, 1
	v_writelane_b32 v186, s0, 13
	v_and_b32_e32 v42, 31, v0
	v_lshlrev_b32_e32 v100, 2, v43
	v_writelane_b32 v186, s1, 14
	s_ashr_i32 s0, s55, 3
	v_readlane_b32 s4, v186, 1
	s_abs_i32 s85, s4
	v_cvt_f32_u32_e32 v1, s85
	v_writelane_b32 v186, s0, 15
	s_mov_b32 s1, s3
	s_sub_i32 s2, 0, s85
	v_rcp_iflag_f32_e32 v1, v1
	v_writelane_b32 v186, s0, 16
	v_lshlrev_b32_e32 v99, 4, v43
	v_mbcnt_lo_u32_b32 v101, -1, 0
	v_mul_f32_e32 v1, 0x4f7ffffe, v1
	v_cvt_u32_f32_e32 v1, v1
	v_writelane_b32 v186, s1, 17
	s_ashr_i32 s1, s4, 31
	v_writelane_b32 v186, s1, 18
	v_readfirstlane_b32 s3, v1
	s_mul_i32 s2, s2, s3
	s_mul_hi_u32 s2, s3, s2
	s_abs_i32 s1, s78
	s_add_i32 s35, s3, s2
	s_mul_hi_u32 s2, s1, s35
	s_mul_i32 s2, s2, s85
	s_sub_i32 s1, s1, s2
	s_ashr_i32 s0, s78, 31
	s_sub_i32 s2, s1, s85
	s_cmp_ge_u32 s1, s85
	s_cselect_b32 s1, s2, s1
	s_sub_i32 s2, s1, s85
	s_cmp_ge_u32 s1, s85
	s_cselect_b32 s1, s2, s1
	s_xor_b32 s1, s1, s0
	s_sub_i32 s34, s1, s0
	v_readlane_b32 s0, v186, 10
	s_mov_b32 s6, s0
	s_sub_i32 s0, s0, s78
	s_add_i32 s2, s0, s34
	s_min_i32 s79, s4, s2
	s_cmp_gt_i32 s6, s78
	v_readlane_b32 s1, v186, 11
	s_cselect_b64 s[22:23], -1, 0
	s_cmp_le_i32 s6, s78
	s_cselect_b64 s[0:1], -1, 0
	s_cmp_gt_i32 s4, s2
	s_cselect_b64 s[2:3], -1, 0
	s_or_b64 s[0:1], s[2:3], s[0:1]
	s_and_b64 vcc, exec, s[0:1]
	s_cbranch_vccz .LBB14_11
; %bb.9:
	s_andn2_b64 vcc, exec, s[22:23]
	s_cbranch_vccz .LBB14_214
.LBB14_10:
	s_endpgm
.LBB14_11:
	s_cmp_lg_u64 s[42:43], 0
	v_writelane_b32 v186, s61, 19
	s_cselect_b64 s[0:1], -1, 0
	v_writelane_b32 v186, s0, 20
	s_mov_b64 s[2:3], s[14:15]
	v_and_b32_e32 v44, 15, v0
	s_movk_i32 s15, 0xd0
	v_and_b32_e32 v2, 0x3f0, v100
	v_lshrrev_b32_e32 v6, 1, v0
	v_writelane_b32 v186, s1, 21
	s_mul_i32 s0, s52, s53
	s_cmp_eq_u64 s[44:45], 0
	v_mad_u32_u24 v3, v2, s15, 0
	v_mul_u32_u24_e32 v4, 0xd0, v44
	v_and_b32_e32 v6, 0x78, v6
	v_writelane_b32 v186, s0, 22
	s_cselect_b64 s[0:1], -1, 0
	v_add3_u32 v102, v3, v4, v6
	v_and_b32_e32 v3, 48, v99
	v_writelane_b32 v186, s0, 23
	v_mad_u32_u24 v7, v3, s15, 0
	v_bfe_u32 v8, v0, 2, 8
	v_writelane_b32 v186, s1, 24
	s_mov_b32 s1, s13
	v_add3_u32 v107, v7, v4, v6
	v_and_b32_e32 v4, 60, v8
	v_writelane_b32 v186, s0, 25
	v_add_u32_e32 v108, v4, v3
	v_add_u16_e32 v3, v4, v3
	v_writelane_b32 v186, s1, 26
	v_or_b32_e32 v2, v2, v44
	v_lshrrev_b16_e32 v3, 1, v3
	v_writelane_b32 v186, s2, 27
	v_bfe_u32 v5, v0, 3, 7
	v_mul_u32_u24_e32 v2, 0x90, v2
	v_lshlrev_b32_e32 v3, 2, v3
	v_writelane_b32 v186, s3, 28
	v_cmp_nle_f32_e64 s[0:1], s13, 0
	v_and_b32_e32 v46, 0x3ff, v0
	v_add3_u32 v109, 0, v2, v3
	v_lshlrev_b32_e32 v2, 1, v5
	v_writelane_b32 v186, s0, 29
	s_cmp_lg_u64 s[46:47], 0
	v_lshlrev_b32_e32 v10, 2, v46
	v_and_b32_e32 v3, 60, v2
	v_or_b32_e32 v4, 2, v2
	v_or_b32_e32 v2, 3, v2
	v_writelane_b32 v186, s1, 30
	s_cselect_b64 s[0:1], -1, 0
	v_add_u32_e32 v103, v8, v99
	v_and_b32_e32 v48, 12, v10
	v_lshl_add_u32 v105, v43, 3, v5
	v_mul_u32_u24_e32 v2, 0xd0, v2
	v_lshlrev_b32_e32 v5, 1, v44
	v_writelane_b32 v186, s0, 31
	v_mad_u32_u24 v9, v103, s15, 0
	v_lshlrev_b32_e32 v11, 2, v48
	s_movk_i32 s2, 0x80
	v_add3_u32 v112, v7, v2, v5
	v_bfe_u32 v2, v0, 10, 2
	v_writelane_b32 v186, s1, 32
	v_add3_u32 v104, v9, v11, s2
	v_cmp_eq_u32_e64 s[2:3], 0, v2
	v_bfe_u32 v1, v0, 4, 6
	v_add_u32_e32 v51, v100, v1
	v_writelane_b32 v186, s2, 33
	v_mul_u32_u24_e32 v3, 0xd0, v3
	v_add_u32_e32 v115, v1, v43
	v_writelane_b32 v186, s3, 34
	v_cmp_ne_u32_e64 s[2:3], 0, v2
	v_or_b32_e32 v2, v100, v46
	v_lshlrev_b32_e32 v52, 3, v2
	v_or_b32_e32 v2, v99, v44
	v_mul_u32_u24_e32 v2, 0xd0, v2
	v_add3_u32 v113, 0, v2, v6
	v_lshrrev_b32_e32 v2, 10, v0
	v_bfe_u32 v2, v2, 1, 9
	v_add_u32_e32 v114, v2, v98
	v_lshlrev_b32_e32 v1, 2, v114
	v_and_b32_e32 v2, 15, v114
	s_movk_i32 s4, 0x3c0
	v_add_u32_e32 v116, 2, v114
	v_mul_u32_u24_e32 v4, 0xd0, v4
	v_add3_u32 v110, v7, v3, v5
	v_and_or_b32 v1, v1, s4, v2
	v_lshlrev_b32_e32 v2, 2, v116
	v_and_b32_e32 v3, 15, v116
	s_movk_i32 s4, 0x7c0
	v_add_u32_e32 v117, 4, v114
	v_add3_u32 v111, v7, v4, v5
	v_and_or_b32 v2, v2, s4, v3
	v_lshlrev_b32_e32 v3, 2, v117
	v_and_b32_e32 v4, 15, v117
	v_add_u32_e32 v118, 6, v114
	v_and_or_b32 v3, v3, s4, v4
	v_lshlrev_b32_e32 v4, 2, v118
	v_and_b32_e32 v5, 15, v118
	v_add_u32_e32 v119, 8, v114
	;; [unrolled: 4-line block ×3, first 2 shown]
	v_and_b32_e32 v50, 28, v10
	v_writelane_b32 v186, s2, 35
	v_and_or_b32 v5, v5, s4, v6
	v_lshlrev_b32_e32 v6, 2, v120
	v_and_b32_e32 v7, 15, v120
	v_add_u32_e32 v121, 12, v114
	v_mul_u32_u24_e32 v9, 0xd0, v105
	v_lshlrev_b32_e32 v10, 2, v50
	v_writelane_b32 v186, s3, 36
	s_lshl_b32 s86, s60, 4
	v_and_or_b32 v6, v6, s4, v7
	v_lshlrev_b32_e32 v7, 2, v121
	v_and_b32_e32 v8, 15, v121
	v_add_u32_e32 v122, 14, v114
	s_ashr_i32 s71, s70, 31
	s_ashr_i32 s67, s66, 31
	;; [unrolled: 1-line block ×3, first 2 shown]
	v_add3_u32 v106, 0, v9, v10
	v_writelane_b32 v186, s60, 37
	s_lshl_b64 s[2:3], s[86:87], 3
	v_and_or_b32 v7, v7, s4, v8
	v_lshlrev_b32_e32 v8, 2, v122
	v_and_b32_e32 v9, 15, v122
	s_mov_b64 s[88:89], src_private_base
	s_add_u32 s2, s50, s2
	v_and_or_b32 v8, v8, s4, v9
	v_lshlrev_b32_e32 v9, 2, v115
	v_and_b32_e32 v10, 15, v115
	v_add_u32_e32 v123, 4, v115
	v_readlane_b32 s19, v186, 7
	s_addc_u32 s3, s51, s3
	v_and_or_b32 v9, v9, s4, v10
	v_lshlrev_b32_e32 v10, 2, v123
	v_and_b32_e32 v11, 15, v123
	s_movk_i32 s4, 0xfc0
	s_abs_i32 s88, s19
	v_and_or_b32 v10, v10, s4, v11
	v_cvt_f32_u32_e32 v11, s88
	v_readlane_b32 s18, v186, 6
	s_abs_i32 s61, s18
	v_cvt_f32_u32_e32 v14, s61
	v_rcp_iflag_f32_e32 v11, v11
	v_add_u32_e32 v124, 8, v115
	v_lshlrev_b32_e32 v12, 2, v124
	v_and_b32_e32 v13, 15, v124
	v_mul_f32_e32 v11, 0x4f7ffffe, v11
	v_cvt_u32_f32_e32 v11, v11
	v_add_u32_e32 v125, 12, v115
	v_and_or_b32 v12, v12, s4, v13
	v_lshlrev_b32_e32 v13, 2, v125
	v_and_b32_e32 v15, 15, v125
	v_readlane_b32 s17, v186, 3
	v_and_or_b32 v13, v13, s4, v15
	v_readfirstlane_b32 s4, v11
	v_rcp_iflag_f32_e32 v11, v14
	s_abs_i32 s63, s17
	s_mov_b32 s6, s16
	v_cvt_f32_u32_e32 v14, s63
	v_writelane_b32 v186, s6, 38
	v_mov_b32_e32 v53, 0
	v_lshl_add_u64 v[54:55], s[2:3], 0, v[52:53]
	v_writelane_b32 v186, s7, 39
	s_mul_i32 s3, s53, 48
	v_writelane_b32 v186, s3, 40
	s_ashr_i32 s3, s19, 31
	s_abs_i32 s58, s16
	v_mul_f32_e32 v11, 0x4f7ffffe, v11
	v_writelane_b32 v186, s3, 41
	s_sub_i32 s3, 0, s88
	v_cvt_f32_u32_e32 v15, s58
	v_rcp_iflag_f32_e32 v14, v14
	v_cvt_u32_f32_e32 v11, v11
	s_mul_i32 s3, s3, s4
	s_mul_hi_u32 s3, s4, s3
	s_add_i32 s3, s4, s3
	v_writelane_b32 v186, s3, 42
	s_ashr_i32 s3, s18, 31
	v_rcp_iflag_f32_e32 v15, v15
	v_mul_f32_e32 v14, 0x4f7ffffe, v14
	v_readfirstlane_b32 s5, v11
	v_writelane_b32 v186, s3, 43
	s_sub_i32 s3, 0, s61
	v_cvt_u32_f32_e32 v14, v14
	s_mul_i32 s3, s3, s5
	s_mul_hi_u32 s3, s5, s3
	s_add_i32 s3, s5, s3
	v_mul_f32_e32 v15, 0x4f7ffffe, v15
	v_writelane_b32 v186, s3, 44
	s_ashr_i32 s3, s17, 31
	v_cvt_u32_f32_e32 v15, v15
	v_readfirstlane_b32 s16, v14
	v_writelane_b32 v186, s3, 45
	s_sub_i32 s3, 0, s63
	s_mul_i32 s3, s3, s16
	s_mul_hi_u32 s3, s16, s3
	s_add_i32 s3, s16, s3
	v_readfirstlane_b32 s2, v15
	v_writelane_b32 v186, s3, 46
	s_sub_i32 s3, 0, s58
	s_mul_i32 s3, s3, s2
	s_mul_hi_u32 s3, s2, s3
	s_add_i32 s2, s2, s3
	v_and_b32_e32 v11, 3, v0
	v_mul_lo_u32 v64, s54, v103
	v_writelane_b32 v186, s2, 47
	v_cmp_gt_u32_e64 s[2:3], 16, v46
	v_lshlrev_b32_e32 v52, 4, v11
	v_ashrrev_i32_e32 v65, 31, v64
	v_writelane_b32 v186, s2, 48
	v_mul_lo_u32 v58, s66, v103
	v_mul_u32_u24_e32 v129, 0xd0, v2
	v_mul_u32_u24_e32 v130, 0xd0, v3
	v_lshl_add_u64 v[2:3], v[64:65], 2, v[52:53]
	v_writelane_b32 v186, s3, 49
	s_mov_b32 s2, s70
	v_ashrrev_i32_e32 v59, 31, v58
	v_mul_lo_u32 v60, s66, v105
	v_mul_lo_u32 v66, s54, v105
	v_lshl_add_u64 v[2:3], s[40:41], 0, v[2:3]
	s_mov_b64 s[98:99], 0x80
	v_writelane_b32 v186, s2, 50
	v_mul_u32_u24_e32 v11, 0x90, v43
	v_lshlrev_b32_e32 v56, 1, v46
	v_lshl_add_u32 v62, s66, 5, v60
	v_lshl_add_u32 v68, s54, 5, v66
	v_lshl_add_u64 v[70:71], v[2:3], 0, s[98:99]
	v_lshl_add_u64 v[2:3], v[58:59], 2, v[52:53]
	v_writelane_b32 v186, s3, 51
	s_lshl_b64 s[2:3], s[70:71], 1
	s_mov_b32 s14, 0x10001
	v_add3_u32 v126, 0, v11, v56
	v_ashrrev_i32_e32 v61, 31, v60
	v_ashrrev_i32_e32 v63, 31, v62
	;; [unrolled: 1-line block ×4, first 2 shown]
	v_add_u32_e32 v11, v99, v46
	v_mul_u32_u24_e32 v128, 0xd0, v1
	v_and_b32_e32 v1, 7, v0
	v_lshl_add_u64 v[2:3], s[38:39], 0, v[2:3]
	v_lshl_add_u32 v142, v44, 2, 0
	v_writelane_b32 v186, s2, 52
	v_cmp_gt_u32_e64 s[0:1], 64, v46
	v_cmp_gt_u32_e64 s[6:7], 64, v103
	;; [unrolled: 1-line block ×5, first 2 shown]
	v_mul_u32_u24_e32 v127, 0xd0, v11
	v_mul_u32_u24_e32 v131, 0xd0, v4
	;; [unrolled: 1-line block ×10, first 2 shown]
	v_mov_b32_e32 v45, v53
	v_mov_b32_e32 v57, v53
	v_lshlrev_b32_e32 v72, 4, v1
	v_mov_b32_e32 v73, v53
	v_lshl_add_u64 v[74:75], v[2:3], 0, s[98:99]
	s_mov_b32 s53, 0x42b17218
	s_mov_b32 s4, 0x3fb8aa3b
	;; [unrolled: 1-line block ×3, first 2 shown]
	v_mov_b32_e32 v2, v53
	v_mov_b32_e32 v3, v53
	;; [unrolled: 1-line block ×4, first 2 shown]
	s_mov_b32 s33, 0xc1a00000
	v_mul_lo_u32 v140, v49, s14
	v_lshl_add_u32 v141, v42, 2, 0
	s_mov_b32 s65, 0x5040100
	v_mad_u32_u24 v143, v51, s15, v142
	v_add_u32_e32 v144, 4, v43
	v_add_u32_e32 v145, 0x240, v126
	;; [unrolled: 1-line block ×8, first 2 shown]
	v_or_b32_e32 v152, 1, v108
	v_or_b32_e32 v153, 2, v108
	;; [unrolled: 1-line block ×3, first 2 shown]
	v_mul_u32_u24_e32 v155, 0xd0, v47
	v_add_u32_e32 v156, 8, v47
	v_mov_b32_e32 v157, 0x3e91f4c4
	v_mov_b32_e32 v158, 0x37000000
	;; [unrolled: 1-line block ×4, first 2 shown]
	v_mbcnt_hi_u32_b32 v161, -1, v101
	v_mov_b32_e32 v162, 0
	v_lshl_add_u64 v[76:77], v[66:67], 2, s[40:41]
	v_lshl_add_u64 v[78:79], v[68:69], 2, s[40:41]
	;; [unrolled: 1-line block ×4, first 2 shown]
	v_cmp_gt_u32_e64 s[14:15], 63, v108
	v_cmp_gt_u32_e64 s[16:17], 62, v108
	v_cmp_gt_u32_e64 s[18:19], 61, v108
	v_writelane_b32 v186, s3, 53
	s_lshl_b64 s[90:91], s[54:55], 8
	s_lshl_b64 s[2:3], s[66:67], 8
                                        ; implicit-def: $vgpr1
	v_writelane_b32 v186, s35, 54
	s_branch .LBB14_14
.LBB14_12:                              ;   in Loop: Header=BB14_14 Depth=1
	s_or_b64 exec, exec, s[22:23]
	s_barrier
.LBB14_13:                              ;   in Loop: Header=BB14_14 Depth=1
	v_readlane_b32 s24, v186, 1
	s_add_i32 s20, s78, s24
	s_abs_i32 s22, s20
	v_readlane_b32 s35, v186, 54
	s_mul_hi_u32 s23, s22, s35
	s_mul_i32 s23, s23, s85
	s_sub_i32 s22, s22, s23
	s_ashr_i32 s21, s20, 31
	s_sub_i32 s23, s22, s85
	s_cmp_ge_u32 s22, s85
	s_cselect_b32 s22, s23, s22
	s_sub_i32 s23, s22, s85
	s_cmp_ge_u32 s22, s85
	s_cselect_b32 s22, s23, s22
	s_xor_b32 s22, s22, s21
	s_sub_i32 s21, s21, s22
	s_add_i32 s78, s20, s21
	v_readlane_b32 s20, v186, 10
	s_mov_b32 s22, s20
	s_sub_i32 s20, s20, s78
	s_min_i32 s79, s24, s20
	s_cmp_gt_i32 s22, s78
	v_readlane_b32 s21, v186, 11
	s_cselect_b64 s[22:23], -1, 0
	s_cmp_le_i32 s24, s20
	s_cselect_b64 s[20:21], -1, 0
	s_and_b64 s[20:21], s[20:21], s[22:23]
	s_mov_b32 s34, 0
	s_and_b64 vcc, exec, s[20:21]
	s_cbranch_vccz .LBB14_213
.LBB14_14:                              ; =>This Loop Header: Depth=1
                                        ;     Child Loop BB14_136 Depth 2
                                        ;     Child Loop BB14_35 Depth 2
	s_ashr_i32 s20, s78, 31
	v_readlane_b32 s21, v186, 41
	s_xor_b32 s20, s20, s21
	s_abs_i32 s21, s78
	v_readlane_b32 s22, v186, 42
	s_mul_hi_u32 s22, s21, s22
	s_mul_i32 s23, s22, s88
	s_sub_i32 s21, s21, s23
	s_add_i32 s23, s22, 1
	s_sub_i32 s24, s21, s88
	s_cmp_ge_u32 s21, s88
	s_cselect_b32 s22, s23, s22
	s_cselect_b32 s21, s24, s21
	s_add_i32 s23, s22, 1
	s_cmp_ge_u32 s21, s88
	s_cselect_b32 s21, s23, s22
	s_xor_b32 s21, s21, s20
	v_readlane_b32 s22, v186, 20
	s_sub_i32 s20, s21, s20
	v_readlane_b32 s23, v186, 21
	s_ashr_i32 s21, s20, 31
	s_andn2_b64 vcc, exec, s[22:23]
	s_mov_b64 s[96:97], 0
	s_cbranch_vccnz .LBB14_16
; %bb.15:                               ;   in Loop: Header=BB14_14 Depth=1
	s_abs_i32 s22, s20
	v_readlane_b32 s23, v186, 47
	s_mul_hi_u32 s23, s22, s23
	s_mul_i32 s23, s23, s58
	s_sub_i32 s22, s22, s23
	s_sub_i32 s23, s22, s58
	s_cmp_ge_u32 s22, s58
	s_cselect_b32 s22, s23, s22
	s_sub_i32 s23, s22, s58
	s_cmp_ge_u32 s22, s58
	s_cselect_b32 s22, s23, s22
	s_xor_b32 s22, s22, s21
	s_sub_i32 s22, s22, s21
	s_ashr_i32 s23, s22, 31
	v_readlane_b32 s26, v186, 13
	v_readlane_b32 s27, v186, 14
	s_mul_i32 s23, s26, s23
	s_mul_hi_u32 s24, s26, s22
	s_add_i32 s23, s24, s23
	s_mul_i32 s24, s27, s22
	s_add_i32 s23, s23, s24
	s_mul_i32 s22, s26, s22
	s_add_u32 s96, s42, s22
	s_addc_u32 s97, s43, s23
.LBB14_16:                              ;   in Loop: Header=BB14_14 Depth=1
	v_readlane_b32 s22, v186, 7
	s_mul_i32 s22, s20, s22
	s_sub_i32 s22, s78, s22
	s_ashr_i32 s23, s22, 31
	v_readlane_b32 s24, v186, 43
	s_xor_b32 s23, s23, s24
	s_abs_i32 s24, s22
	v_readlane_b32 s25, v186, 44
	s_mul_hi_u32 s25, s24, s25
	s_mul_i32 s26, s25, s61
	s_sub_i32 s24, s24, s26
	s_add_i32 s26, s25, 1
	s_sub_i32 s27, s24, s61
	s_cmp_ge_u32 s24, s61
	s_cselect_b32 s25, s26, s25
	s_cselect_b32 s24, s27, s24
	s_add_i32 s26, s25, 1
	s_cmp_ge_u32 s24, s61
	s_cselect_b32 s24, s26, s25
	s_xor_b32 s24, s24, s23
	s_sub_i32 s28, s24, s23
	v_readlane_b32 s23, v186, 6
	s_mul_i32 s23, s28, s23
	s_sub_i32 s27, s22, s23
	s_ashr_i32 s22, s27, 31
	v_readlane_b32 s23, v186, 45
	s_xor_b32 s22, s22, s23
	s_abs_i32 s23, s27
	v_readlane_b32 s24, v186, 46
	s_mul_hi_u32 s24, s23, s24
	s_mul_i32 s25, s24, s63
	s_sub_i32 s23, s23, s25
	s_add_i32 s25, s24, 1
	s_sub_i32 s26, s23, s63
	s_cmp_ge_u32 s23, s63
	s_cselect_b32 s24, s25, s24
	s_cselect_b32 s23, s26, s23
	s_add_i32 s25, s24, 1
	s_cmp_ge_u32 s23, s63
	s_cselect_b32 s23, s25, s24
	s_xor_b32 s23, s23, s22
	s_sub_i32 s29, s23, s22
	v_readlane_b32 s22, v186, 2
	s_mul_i32 s22, s28, s22
	s_add_i32 s26, s22, s29
	v_readlane_b32 s22, v186, 29
	v_readlane_b32 s23, v186, 30
	s_andn2_b64 vcc, exec, s[22:23]
	v_mov_b32_e32 v84, 1.0
	s_cbranch_vccnz .LBB14_18
; %bb.17:                               ;   in Loop: Header=BB14_14 Depth=1
	v_readlane_b32 s22, v186, 12
	v_readlane_b32 s72, v186, 25
	;; [unrolled: 1-line block ×3, first 2 shown]
	v_mov_b32_e32 v1, s22
	v_sub_co_u32_e32 v1, vcc, s26, v1
	s_add_i32 s22, s26, 1
	v_lshlrev_b32_e32 v1, 1, v1
	v_mov_b32_e32 v7, s22
	v_or_b32_e32 v1, 1, v1
	v_cndmask_b32_e32 v1, v1, v7, vcc
	v_readlane_b32 s75, v186, 28
	v_cvt_f32_i32_e32 v1, v1
	v_mov_b32_e32 v7, s74
	v_mov_b32_e32 v6, s75
	v_cndmask_b32_e32 v6, v6, v7, vcc
	v_cmp_neq_f32_e32 vcc, 1.0, v6
	s_mov_b32 s22, 0x3f2aaaab
	s_movk_i32 s24, 0x204
	v_cndmask_b32_e32 v1, 1.0, v1, vcc
	v_cmp_neq_f32_e32 vcc, 0, v1
	s_brev_b32 s60, -2
	v_readlane_b32 s73, v186, 26
	v_cndmask_b32_e32 v22, 1.0, v6, vcc
	v_frexp_mant_f32_e64 v6, |v22|
	v_cmp_gt_f32_e32 vcc, s22, v6
	s_mov_b32 s22, 0x3f317218
	v_cmp_class_f32_e64 s[30:31], v22, s24
	v_cndmask_b32_e64 v7, 1.0, 2.0, vcc
	v_mul_f32_e32 v6, v6, v7
	v_add_f32_e32 v9, 1.0, v6
	v_rcp_f32_e32 v14, v9
	v_add_f32_e32 v7, -1.0, v9
	v_sub_f32_e32 v11, v6, v7
	v_add_f32_e32 v7, -1.0, v6
	v_mul_f32_e32 v15, v7, v14
	v_mul_f32_e32 v8, v9, v15
	v_fma_f32 v10, v15, v9, -v8
	v_fmac_f32_e32 v10, v15, v11
	v_add_f32_e32 v6, v8, v10
	v_sub_f32_e32 v9, v7, v6
	v_pk_add_f32 v[12:13], v[6:7], v[8:9] neg_lo:[0,1] neg_hi:[0,1]
	v_mov_b32_e32 v11, v6
	v_pk_add_f32 v[6:7], v[12:13], v[10:11] neg_lo:[0,1] neg_hi:[0,1]
	s_nop 0
	v_add_f32_e32 v6, v6, v7
	v_add_f32_e32 v6, v9, v6
	v_mul_f32_e32 v7, v14, v6
	v_add_f32_e32 v6, v15, v7
	v_sub_f32_e32 v8, v6, v15
	v_sub_f32_e32 v16, v7, v8
	v_mul_f32_e32 v7, v6, v6
	v_fma_f32 v9, v6, v6, -v7
	v_add_f32_e32 v8, v16, v16
	v_fmac_f32_e32 v9, v6, v8
	v_add_f32_e32 v8, v7, v9
	v_fmamk_f32 v10, v8, 0x3e76c4e1, v157
	v_fmaak_f32 v10, v8, v10, 0x3ecccdef
	v_sub_f32_e32 v7, v8, v7
	v_sub_f32_e32 v17, v9, v7
	v_mul_f32_e32 v7, v8, v10
	v_fma_f32 v9, v8, v10, -v7
	v_fmac_f32_e32 v9, v17, v10
	v_add_f32_e32 v10, v7, v9
	v_add_f32_e32 v11, 0x3f2aaaaa, v10
	v_sub_f32_e32 v7, v10, v7
	v_sub_f32_e32 v7, v9, v7
	v_add_f32_e32 v9, 0xbf2aaaaa, v11
	v_add_f32_e32 v7, 0x31739010, v7
	v_sub_f32_e32 v9, v10, v9
	v_pk_mul_f32 v[12:13], v[6:7], v[8:9]
	v_pk_add_f32 v[14:15], v[6:7], v[8:9]
	v_fma_f32 v10, v8, v6, -v12
	v_fmac_f32_e32 v10, v8, v16
	v_mov_b32_e32 v13, v15
	v_fmac_f32_e32 v10, v17, v6
	v_pk_add_f32 v[8:9], v[12:13], v[10:11]
	v_ldexp_f32 v18, v16, 1
	v_sub_f32_e32 v7, v8, v12
	v_sub_f32_e32 v7, v10, v7
	;; [unrolled: 1-line block ×3, first 2 shown]
	v_add_f32_e32 v14, v15, v10
	v_pk_mul_f32 v[10:11], v[8:9], v[8:9] op_sel:[0,1] op_sel_hi:[1,0]
	v_cvt_f64_f32_e64 v[12:13], |v22|
	v_frexp_exp_i32_f64_e32 v11, v[12:13]
	v_subbrev_co_u32_e32 v11, vcc, 0, v11, vcc
	v_cvt_f32_i32_e32 v11, v11
	v_fma_f32 v12, v8, v9, -v10
	v_fmac_f32_e32 v12, v8, v14
	v_fmac_f32_e32 v12, v7, v9
	v_mul_f32_e32 v8, 0x3f317218, v11
	v_fma_f32 v14, v11, s22, -v8
	v_fmac_f32_e32 v14, 0xb102e308, v11
	v_ldexp_f32 v15, v6, 1
	v_add_f32_e32 v9, v10, v12
	v_pk_add_f32 v[6:7], v[8:9], v[14:15]
	v_mov_b32_e32 v16, v9
	v_mov_b32_e32 v17, v7
	;; [unrolled: 1-line block ×3, first 2 shown]
	v_pk_add_f32 v[10:11], v[16:17], v[10:11] neg_lo:[0,1] neg_hi:[0,1]
	v_mov_b32_e32 v13, v9
	v_pk_add_f32 v[10:11], v[12:13], v[10:11] neg_lo:[0,1] neg_hi:[0,1]
	v_mov_b32_e32 v15, v6
	v_add_f32_e32 v9, v18, v10
	v_add_f32_e32 v9, v9, v11
	v_pk_add_f32 v[10:11], v[6:7], v[8:9] neg_lo:[0,1] neg_hi:[0,1]
	v_pk_add_f32 v[12:13], v[6:7], v[8:9]
	v_mov_b32_e32 v20, v7
	v_mov_b32_e32 v11, v13
	v_pk_add_f32 v[16:17], v[14:15], v[10:11] neg_lo:[0,1] neg_hi:[0,1]
	v_pk_add_f32 v[10:11], v[14:15], v[10:11]
	v_mov_b32_e32 v8, v9
	v_pk_add_f32 v[14:15], v[10:11], v[6:7] op_sel:[1,0] op_sel_hi:[0,1] neg_lo:[0,1] neg_hi:[0,1]
	v_pk_add_f32 v[18:19], v[12:13], v[14:15] op_sel_hi:[1,0] neg_lo:[0,1] neg_hi:[0,1]
	v_mov_b32_e32 v12, v13
	v_mov_b32_e32 v13, v11
	;; [unrolled: 1-line block ×3, first 2 shown]
	v_pk_add_f32 v[12:13], v[12:13], v[20:21] neg_lo:[0,1] neg_hi:[0,1]
	v_mov_b32_e32 v9, v6
	v_pk_add_f32 v[6:7], v[8:9], v[12:13] neg_lo:[0,1] neg_hi:[0,1]
	v_mov_b32_e32 v18, v16
	v_pk_add_f32 v[8:9], v[18:19], v[6:7]
	v_mov_b32_e32 v17, v11
	v_pk_add_f32 v[12:13], v[8:9], v[8:9] op_sel:[0,1] op_sel_hi:[1,0]
	s_mov_b32 s22, 0x7f800000
	v_pk_add_f32 v[10:11], v[10:11], v[12:13] op_sel:[1,0] op_sel_hi:[0,1]
	v_mov_b32_e32 v9, v10
	v_pk_add_f32 v[14:15], v[8:9], v[16:17] neg_lo:[0,1] neg_hi:[0,1]
	v_mov_b32_e32 v7, v12
	v_sub_f32_e32 v8, v8, v14
	v_pk_add_f32 v[6:7], v[6:7], v[14:15] neg_lo:[0,1] neg_hi:[0,1]
	v_sub_f32_e32 v8, v16, v8
	v_add_f32_e32 v6, v6, v8
	v_add_f32_e32 v6, v6, v7
	;; [unrolled: 1-line block ×3, first 2 shown]
	v_sub_f32_e32 v8, v7, v10
	v_sub_f32_e32 v6, v6, v8
	v_mul_f32_e32 v8, v1, v7
	v_fma_f32 v7, v1, v7, -v8
	v_fmac_f32_e32 v7, v1, v6
	v_add_f32_e32 v6, v8, v7
	v_cmp_class_f32_e64 vcc, v8, s24
	v_sub_f32_e32 v9, v6, v8
	v_sub_f32_e32 v7, v7, v9
	v_cndmask_b32_e32 v6, v6, v8, vcc
	v_cmp_eq_f32_e32 vcc, s53, v6
	s_nop 1
	v_cndmask_b32_e32 v8, 0, v158, vcc
	v_sub_f32_e32 v9, v6, v8
	v_mul_f32_e32 v10, 0x3fb8aa3b, v9
	v_fma_f32 v11, v9, s4, -v10
	v_rndne_f32_e32 v12, v10
	v_fmac_f32_e32 v11, 0x32a5705f, v9
	v_sub_f32_e32 v10, v10, v12
	v_add_f32_e32 v10, v10, v11
	v_exp_f32_e32 v10, v10
	v_cvt_i32_f32_e32 v11, v12
	v_cmp_neq_f32_e64 vcc, |v6|, s22
	s_nop 1
	v_cndmask_b32_e32 v6, 0, v7, vcc
	v_ldexp_f32 v7, v10, v11
	v_cmp_ngt_f32_e32 vcc, s5, v9
	v_add_f32_e32 v6, v8, v6
	s_nop 0
	v_cndmask_b32_e32 v7, 0, v7, vcc
	v_cmp_nlt_f32_e32 vcc, s53, v9
	s_nop 1
	v_cndmask_b32_e32 v7, v159, v7, vcc
	v_fma_f32 v6, v7, v6, v7
	v_cmp_class_f32_e64 vcc, v7, s24
	v_cmp_gt_f32_e64 s[24:25], 0, v1
	s_nop 0
	v_cndmask_b32_e32 v6, v6, v7, vcc
	v_trunc_f32_e32 v7, v1
	v_cmp_eq_f32_e32 vcc, v7, v1
	v_mul_f32_e32 v7, 0.5, v1
	v_trunc_f32_e32 v8, v7
	v_cmp_neq_f32_e64 s[22:23], v8, v7
	s_and_b64 s[22:23], vcc, s[22:23]
	s_nop 0
	v_cndmask_b32_e64 v7, 1.0, v22, s[22:23]
	v_bfi_b32 v6, s60, v6, v7
	v_cndmask_b32_e32 v7, v160, v6, vcc
	v_cmp_gt_f32_e32 vcc, 0, v22
	s_nop 1
	v_cndmask_b32_e32 v6, v6, v7, vcc
	v_cmp_eq_f32_e32 vcc, 0, v22
	s_xor_b64 s[24:25], s[24:25], vcc
	v_cndmask_b32_e64 v1, v159, 0, s[24:25]
	v_cndmask_b32_e64 v7, 0, v22, s[22:23]
	v_bfi_b32 v1, s60, v1, v7
	s_or_b64 vcc, vcc, s[30:31]
	v_cndmask_b32_e32 v1, v6, v1, vcc
	v_cmp_o_f32_e32 vcc, v22, v22
	s_nop 1
	v_cndmask_b32_e32 v84, v160, v1, vcc
.LBB14_18:                              ;   in Loop: Header=BB14_14 Depth=1
	v_readlane_b32 s22, v186, 3
	s_mul_i32 s29, s29, s22
	s_sub_i32 s22, s27, s29
	s_ashr_i32 s23, s22, 31
	v_readlane_b32 s24, v186, 18
	s_abs_i32 s22, s22
	s_xor_b32 s23, s23, s24
	s_mul_hi_u32 s24, s22, s35
	s_mul_i32 s25, s24, s85
	s_sub_i32 s22, s22, s25
	s_add_i32 s25, s24, 1
	s_sub_i32 s27, s22, s85
	s_cmp_ge_u32 s22, s85
	s_cselect_b32 s24, s25, s24
	s_cselect_b32 s22, s27, s22
	s_add_i32 s25, s24, 1
	s_cmp_ge_u32 s22, s85
	s_cselect_b32 s22, s25, s24
	v_readlane_b32 s24, v186, 31
	s_xor_b32 s22, s22, s23
	v_readlane_b32 s25, v186, 32
	s_andn2_b64 vcc, exec, s[24:25]
	s_sub_i32 s72, s22, s23
	s_cbranch_vccnz .LBB14_20
; %bb.19:                               ;   in Loop: Header=BB14_14 Depth=1
	v_readlane_b32 s22, v186, 0
	s_mul_i32 s22, s20, s22
	s_add_i32 s22, s72, s22
	s_ashr_i32 s23, s22, 31
	s_lshl_b64 s[22:23], s[22:23], 2
	s_add_u32 s22, s46, s22
	s_addc_u32 s23, s47, s23
	global_load_dword v1, v53, s[22:23]
	s_waitcnt vmcnt(0)
	v_readfirstlane_b32 s22, v1
	s_ashr_i32 s23, s22, 31
	s_lshr_b32 s23, s23, 26
	s_add_i32 s22, s22, s23
	s_ashr_i32 s22, s22, 6
	s_min_i32 s79, s79, s22
.LBB14_20:                              ;   in Loop: Header=BB14_14 Depth=1
	v_readlane_b32 s22, v186, 22
	s_mul_i32 s22, s22, s20
	s_add_i32 s22, s26, s22
	s_mul_i32 s86, s22, 48
	s_lshl_b64 s[22:23], s[86:87], 3
	s_add_u32 s92, s48, s22
	s_addc_u32 s93, s49, s23
	s_mul_i32 s22, s76, s21
	s_mul_hi_u32 s23, s76, s20
	s_add_i32 s22, s23, s22
	s_mul_i32 s23, s77, s20
	s_add_i32 s73, s22, s23
	s_mul_i32 s86, s76, s20
	s_add_u32 s22, s40, s86
	s_mul_i32 s62, s28, s59
	s_addc_u32 s23, s41, s73
	s_ashr_i32 s84, s62, 31
	s_add_u32 s71, s22, s62
	s_addc_u32 s64, s23, s84
	s_ashr_i32 s27, s26, 31
	s_lshl_b64 s[22:23], s[26:27], 2
	s_add_u32 s24, s44, s22
	s_addc_u32 s25, s45, s23
	v_readlane_b32 s22, v186, 23
	v_readlane_b32 s23, v186, 24
	s_and_b64 s[22:23], s[22:23], exec
	s_cselect_b32 s95, 0, s25
	s_cselect_b32 s94, 0, s24
	v_readlane_b32 s24, v186, 8
	v_readlane_b32 s25, v186, 9
	s_mul_i32 s22, s20, s25
	s_ashr_i32 s23, s22, 31
	s_add_u32 s22, s36, s22
	s_mul_i32 s24, s26, s24
	s_addc_u32 s23, s37, s23
	s_ashr_i32 s25, s24, 31
	s_add_u32 s82, s22, s24
	s_mul_i32 s21, s56, s21
	s_mul_hi_u32 s22, s56, s20
	s_addc_u32 s83, s23, s25
	s_add_i32 s21, s22, s21
	s_mul_i32 s22, s57, s20
	s_add_i32 s30, s21, s22
	v_readlane_b32 s22, v186, 16
	s_mul_i32 s31, s56, s20
	v_readlane_b32 s23, v186, 17
	s_add_u32 s20, s38, s31
	s_mul_i32 s70, s28, s23
	s_addc_u32 s21, s39, s30
	s_ashr_i32 s80, s70, 31
	s_add_u32 s20, s20, s70
	s_addc_u32 s21, s21, s80
	s_cmp_lg_u32 s34, 0
	s_cbranch_scc0 .LBB14_43
; %bb.21:                               ;   in Loop: Header=BB14_14 Depth=1
	s_lshl_b32 s81, s72, 4
	v_add_u32_e32 v1, s81, v47
	v_cmp_le_i32_e32 vcc, s52, v1
	s_and_saveexec_b64 s[22:23], vcc
	s_xor_b64 s[22:23], exec, s[22:23]
; %bb.22:                               ;   in Loop: Header=BB14_14 Depth=1
	v_add_u32_e32 v1, v141, v155
	ds_write_b32 v1, v53
                                        ; implicit-def: $vgpr1
; %bb.23:                               ;   in Loop: Header=BB14_14 Depth=1
	s_andn2_saveexec_b64 s[22:23], s[22:23]
	s_cbranch_execz .LBB14_25
; %bb.24:                               ;   in Loop: Header=BB14_14 Depth=1
	v_readlane_b32 s24, v186, 15
	s_nop 1
	v_mad_u64_u32 v[6:7], s[24:25], v1, s24, v[42:43]
	v_ashrrev_i32_e32 v7, 31, v6
	v_lshl_add_u64 v[6:7], v[6:7], 3, s[82:83]
	global_load_dwordx2 v[6:7], v[6:7], off
	s_waitcnt vmcnt(0)
	v_cvt_pk_f16_f32 v1, v6, v7
	v_pk_mul_f16 v1, v1, v140
	v_add_u32_e32 v6, v141, v155
	ds_write_b32 v6, v1
.LBB14_25:                              ;   in Loop: Header=BB14_14 Depth=1
	s_or_b64 exec, exec, s[22:23]
	v_add_u32_e32 v1, s81, v156
	v_cmp_le_i32_e32 vcc, s52, v1
	s_and_saveexec_b64 s[22:23], vcc
	s_xor_b64 s[22:23], exec, s[22:23]
; %bb.26:                               ;   in Loop: Header=BB14_14 Depth=1
	v_add_u32_e32 v1, v141, v155
	ds_write_b32 v1, v53 offset:1664
                                        ; implicit-def: $vgpr1
; %bb.27:                               ;   in Loop: Header=BB14_14 Depth=1
	s_andn2_saveexec_b64 s[22:23], s[22:23]
	s_cbranch_execz .LBB14_29
; %bb.28:                               ;   in Loop: Header=BB14_14 Depth=1
	v_readlane_b32 s24, v186, 15
	s_nop 1
	v_mad_u64_u32 v[6:7], s[24:25], v1, s24, v[42:43]
	v_ashrrev_i32_e32 v7, 31, v6
	v_lshl_add_u64 v[6:7], v[6:7], 3, s[82:83]
	global_load_dwordx2 v[6:7], v[6:7], off
	s_waitcnt vmcnt(0)
	v_cvt_pk_f16_f32 v1, v6, v7
	v_pk_mul_f16 v1, v1, v140
	v_add_u32_e32 v6, v141, v155
	ds_write_b32 v6, v1 offset:1664
.LBB14_29:                              ;   in Loop: Header=BB14_14 Depth=1
	s_or_b64 exec, exec, s[22:23]
	v_add_u32_e32 v1, s81, v51
	v_cmp_le_i32_e32 vcc, s52, v1
	s_and_saveexec_b64 s[22:23], vcc
	s_xor_b64 s[22:23], exec, s[22:23]
; %bb.30:                               ;   in Loop: Header=BB14_14 Depth=1
	ds_write_b32 v143, v53 offset:128
                                        ; implicit-def: $vgpr1
; %bb.31:                               ;   in Loop: Header=BB14_14 Depth=1
	s_andn2_saveexec_b64 s[22:23], s[22:23]
	s_cbranch_execz .LBB14_33
; %bb.32:                               ;   in Loop: Header=BB14_14 Depth=1
	v_readlane_b32 s24, v186, 15
	s_nop 1
	v_mul_lo_u32 v6, v1, s24
	v_ashrrev_i32_e32 v7, 31, v6
	v_lshl_add_u64 v[6:7], v[6:7], 0, v[44:45]
	v_lshl_add_u64 v[6:7], v[6:7], 3, s[82:83]
	global_load_dwordx2 v[6:7], v[6:7], off offset:256
	s_waitcnt vmcnt(0)
	v_cvt_pk_f16_f32 v1, v6, v7
	v_pk_mul_f16 v1, v1, v140
	ds_write_b32 v143, v1 offset:128
.LBB14_33:                              ;   in Loop: Header=BB14_14 Depth=1
	s_or_b64 exec, exec, s[22:23]
	s_waitcnt lgkmcnt(0)
	s_barrier
	ds_read2_b64 v[14:17], v102 offset1:4
	ds_read2_b64 v[10:13], v102 offset0:8 offset1:12
	ds_read2_b64 v[6:9], v102 offset0:16 offset1:20
	s_add_i32 s35, s79, -1
	s_cmp_ge_i32 s34, s35
	s_waitcnt lgkmcnt(0)
	s_barrier
	s_cbranch_scc1 .LBB14_44
; %bb.34:                               ;   in Loop: Header=BB14_14 Depth=1
	v_add_u32_e32 v1, s81, v43
	v_mul_hi_u32 v18, s68, v1
	v_add_u32_e32 v18, v1, v18
	v_lshrrev_b32_e32 v18, s69, v18
	v_mul_lo_u32 v18, v18, s52
	v_readlane_b32 s22, v186, 50
	v_sub_u32_e32 v1, v1, v18
	v_readlane_b32 s23, v186, 51
	s_mov_b32 s26, s22
	v_mad_i64_i32 v[88:89], s[22:23], v1, s26, 0
	v_add_u32_e32 v1, s81, v144
	v_mul_hi_u32 v18, s68, v1
	v_add_u32_e32 v18, v1, v18
	v_lshrrev_b32_e32 v18, s69, v18
	v_mul_lo_u32 v18, v18, s52
	v_sub_u32_e32 v1, v1, v18
	v_mad_i64_i32 v[90:91], s[22:23], v1, s26, 0
	v_add_u32_e32 v1, s81, v146
	v_mul_hi_u32 v18, s68, v1
	v_add_u32_e32 v18, v1, v18
	v_lshrrev_b32_e32 v18, s69, v18
	v_mul_lo_u32 v18, v18, s52
	v_sub_u32_e32 v1, v1, v18
	;; [unrolled: 7-line block ×3, first 2 shown]
	v_mad_i64_i32 v[94:95], s[22:23], v1, s26, 0
	v_and_b32_e32 v1, 64, v161
	v_add_u32_e32 v1, 64, v1
	v_xor_b32_e32 v18, 32, v161
	v_cmp_lt_i32_e32 vcc, v18, v1
	s_cmp_lg_u64 s[96:97], 0
	v_lshlrev_b32_e32 v52, 1, v46
	v_cndmask_b32_e32 v18, v161, v18, vcc
	v_lshlrev_b32_e32 v164, 2, v18
	v_xor_b32_e32 v18, 16, v161
	v_cmp_lt_i32_e32 vcc, v18, v1
	s_cselect_b64 s[24:25], -1, 0
	v_lshl_add_u64 v[86:87], s[96:97], 0, v[52:53]
	v_cndmask_b32_e32 v1, v161, v18, vcc
	v_lshlrev_b32_e32 v165, 2, v1
	v_mov_b32_e32 v96, v84
	v_mov_b32_e32 v97, v84
	s_lshl_b32 s26, s34, 6
	v_mov_b32_e32 v31, 0
	v_mov_b32_e32 v27, 0xfeffffff
	;; [unrolled: 1-line block ×14, first 2 shown]
.LBB14_35:                              ;   Parent Loop BB14_14 Depth=1
                                        ; =>  This Inner Loop Header: Depth=2
	v_cndmask_b32_e64 v1, 0, 1, s[24:25]
	v_cmp_ne_u32_e64 s[22:23], 1, v1
	s_andn2_b64 vcc, exec, s[24:25]
	s_ashr_i32 s27, s26, 31
	s_cbranch_vccnz .LBB14_39
; %bb.36:                               ;   in Loop: Header=BB14_35 Depth=2
	v_mov_b32_e32 v1, 0
	v_mov_b32_e32 v18, 0
	;; [unrolled: 1-line block ×4, first 2 shown]
	s_and_saveexec_b64 s[28:29], s[0:1]
	s_cbranch_execz .LBB14_38
; %bb.37:                               ;   in Loop: Header=BB14_35 Depth=2
	v_lshl_add_u64 v[20:21], s[26:27], 1, v[86:87]
	v_lshl_add_u64 v[18:19], v[88:89], 1, v[20:21]
	global_load_ushort v1, v[18:19], off
	v_lshl_add_u64 v[18:19], v[90:91], 1, v[20:21]
	v_lshl_add_u64 v[22:23], v[92:93], 1, v[20:21]
	;; [unrolled: 1-line block ×3, first 2 shown]
	global_load_ushort v18, v[18:19], off
	s_nop 0
	global_load_ushort v20, v[20:21], off
	s_nop 0
	global_load_ushort v19, v[22:23], off
.LBB14_38:                              ;   in Loop: Header=BB14_35 Depth=2
	s_or_b64 exec, exec, s[28:29]
	s_waitcnt vmcnt(3)
	ds_write_b16 v126, v1 offset:13312
	s_waitcnt vmcnt(2)
	ds_write_b16 v145, v18 offset:13312
	;; [unrolled: 2-line block ×3, first 2 shown]
	ds_write_b16 v149, v20 offset:13312
.LBB14_39:                              ;   in Loop: Header=BB14_35 Depth=2
	s_mul_hi_i32 s29, s26, s66
	s_mul_i32 s28, s26, s66
	s_lshl_b64 s[28:29], s[28:29], 2
	s_add_u32 s28, s20, s28
	s_addc_u32 s29, s21, s29
	v_lshl_add_u64 v[18:19], v[58:59], 2, s[28:29]
	v_lshlrev_b32_e32 v52, 2, v48
	v_lshl_add_u64 v[18:19], v[18:19], 0, v[52:53]
	v_lshl_add_u64 v[18:19], v[18:19], 0, s[98:99]
	v_mov_b32_e32 v1, s89
	v_cndmask_b32_e64 v19, v1, v19, s[6:7]
	v_cndmask_b32_e64 v18, v162, v18, s[6:7]
	scratch_store_dwordx4 off, v[2:5], off
	flat_load_dwordx4 v[18:21], v[18:19]
	v_lshlrev_b32_e32 v22, 2, v50
	v_mov_b32_e32 v23, v53
	v_lshl_add_u64 v[34:35], v[60:61], 2, s[28:29]
	v_lshl_add_u64 v[34:35], v[34:35], 0, v[22:23]
	v_cndmask_b32_e64 v35, v1, v35, s[8:9]
	v_cndmask_b32_e64 v34, v162, v34, s[8:9]
	s_and_b64 vcc, exec, s[22:23]
	s_waitcnt vmcnt(0) lgkmcnt(0)
	ds_write_b128 v104, v[18:21]
	flat_load_dwordx4 v[18:21], v[34:35]
	v_lshl_add_u64 v[34:35], v[62:63], 2, s[28:29]
	v_lshl_add_u64 v[34:35], v[34:35], 0, v[22:23]
	v_cndmask_b32_e64 v35, v1, v35, s[10:11]
	v_cndmask_b32_e64 v34, v162, v34, s[10:11]
	s_waitcnt vmcnt(0) lgkmcnt(0)
	ds_write_b128 v106, v[18:21]
	flat_load_dwordx4 v[18:21], v[34:35]
	s_waitcnt vmcnt(0) lgkmcnt(0)
	ds_write_b128 v151, v[18:21]
	s_waitcnt lgkmcnt(0)
	s_barrier
	ds_read2_b64 v[18:21], v107 offset1:4
	s_waitcnt lgkmcnt(0)
	v_mfma_f32_16x16x16_f16 v[34:37], v[18:19], v[14:15], 0
	v_mfma_f32_16x16x16_f16 v[18:21], v[20:21], v[16:17], v[34:37]
	s_nop 6
	ds_read2_b64 v[34:37], v107 offset0:8 offset1:12
	s_waitcnt lgkmcnt(0)
	v_mfma_f32_16x16x16_f16 v[18:21], v[34:35], v[10:11], v[18:21]
	v_mfma_f32_16x16x16_f16 v[18:21], v[36:37], v[12:13], v[18:21]
	ds_read2_b64 v[34:37], v107 offset0:16 offset1:20
	s_waitcnt lgkmcnt(0)
	s_barrier
	v_mfma_f32_16x16x16_f16 v[18:21], v[34:35], v[6:7], v[18:21]
	v_mfma_f32_16x16x16_f16 v[18:21], v[36:37], v[8:9], v[18:21]
	s_cbranch_vccnz .LBB14_41
; %bb.40:                               ;   in Loop: Header=BB14_35 Depth=2
	v_add_u32_e32 v1, 0x3400, v109
	ds_read2_b32 v[34:35], v1 offset1:1
	v_mov_b32_e32 v85, v84
	s_waitcnt lgkmcnt(0)
	v_cvt_f32_f16_e32 v36, v34
	v_cvt_f32_f16_e32 v38, v35
	v_cvt_f32_f16_sdwa v39, v35 dst_sel:DWORD dst_unused:UNUSED_PAD src0_sel:WORD_1
	v_cvt_f32_f16_sdwa v37, v34 dst_sel:DWORD dst_unused:UNUSED_PAD src0_sel:WORD_1
	v_pk_fma_f32 v[20:21], v[84:85], v[38:39], v[20:21]
	v_pk_fma_f32 v[18:19], v[96:97], v[36:37], v[18:19]
.LBB14_41:                              ;   in Loop: Header=BB14_35 Depth=2
	s_nop 0
	v_add_f32_e32 v1, 0x40051340, v18
	v_max_f32_e32 v30, v27, v27
	v_max_f32_e32 v1, v30, v1
	v_cndmask_b32_e64 v1, v27, v1, s[12:13]
	v_add_f32_e32 v30, 0x40051340, v19
	v_max_f32_e32 v34, v1, v1
	v_max_f32_e32 v30, v34, v30
	v_cndmask_b32_e64 v1, v1, v30, s[14:15]
	v_add_f32_e32 v30, 0x40051340, v20
	v_max_f32_e32 v34, v1, v1
	v_max_f32_e32 v30, v34, v30
	v_cndmask_b32_e64 v1, v1, v30, s[16:17]
	v_add_f32_e32 v30, 0x40051340, v21
	v_max_f32_e32 v34, v1, v1
	v_max_f32_e32 v30, v34, v30
	v_cndmask_b32_e64 v1, v1, v30, s[18:19]
	ds_bpermute_b32 v30, v164, v1
	v_max_f32_e32 v1, v1, v1
	s_mul_hi_i32 s23, s26, s54
	s_mul_i32 s22, s26, s54
	s_lshl_b64 s[22:23], s[22:23], 2
	s_waitcnt lgkmcnt(0)
	v_max_f32_e32 v30, v30, v30
	v_max_f32_e32 v1, v1, v30
	ds_bpermute_b32 v30, v165, v1
	s_add_u32 s22, s71, s22
	s_addc_u32 s23, s64, s23
	scratch_store_dwordx4 off, v[2:5], off
	s_add_i32 s34, s34, 1
	s_waitcnt lgkmcnt(0)
	v_max_f32_e32 v30, v30, v30
	v_max_f32_e32 v163, v1, v30
	v_sub_f32_e32 v1, v18, v163
	v_mul_f32_e32 v18, 0x3fb8aa3b, v1
	v_fma_f32 v30, v1, s4, -v18
	v_rndne_f32_e32 v34, v18
	v_fmac_f32_e32 v30, 0x32a5705f, v1
	v_sub_f32_e32 v18, v18, v34
	v_add_f32_e32 v18, v18, v30
	v_exp_f32_e32 v18, v18
	v_cvt_i32_f32_e32 v30, v34
	v_cmp_ngt_f32_e32 vcc, s5, v1
	v_sub_f32_e32 v20, v20, v163
	s_add_i32 s26, s26, 64
	v_ldexp_f32 v18, v18, v30
	v_cndmask_b32_e32 v18, 0, v18, vcc
	v_cmp_nlt_f32_e32 vcc, s53, v1
	s_cmp_lt_i32 s34, s35
	s_nop 0
	v_cndmask_b32_e32 v1, v159, v18, vcc
	v_cndmask_b32_e64 v18, 0, v1, s[12:13]
	v_sub_f32_e32 v1, v19, v163
	v_mul_f32_e32 v19, 0x3fb8aa3b, v1
	v_fma_f32 v30, v1, s4, -v19
	v_rndne_f32_e32 v34, v19
	v_fmac_f32_e32 v30, 0x32a5705f, v1
	v_sub_f32_e32 v19, v19, v34
	v_add_f32_e32 v19, v19, v30
	v_exp_f32_e32 v19, v19
	v_cvt_i32_f32_e32 v30, v34
	v_cmp_ngt_f32_e32 vcc, s5, v1
	v_ldexp_f32 v19, v19, v30
	s_nop 0
	v_cndmask_b32_e32 v19, 0, v19, vcc
	v_cmp_nlt_f32_e32 vcc, s53, v1
	v_mov_b32_e32 v1, s87
	s_nop 0
	v_cndmask_b32_e32 v19, v159, v19, vcc
	v_add_f32_e32 v30, v19, v18
	v_cndmask_b32_e64 v1, v1, v19, s[14:15]
	v_cndmask_b32_e64 v19, v18, v30, s[14:15]
	v_mul_f32_e32 v30, 0x3fb8aa3b, v20
	v_fma_f32 v34, v20, s4, -v30
	v_rndne_f32_e32 v35, v30
	v_fmac_f32_e32 v34, 0x32a5705f, v20
	v_sub_f32_e32 v30, v30, v35
	v_add_f32_e32 v30, v30, v34
	v_exp_f32_e32 v30, v30
	v_cvt_i32_f32_e32 v34, v35
	v_cmp_ngt_f32_e32 vcc, s5, v20
	v_ldexp_f32 v30, v30, v34
	s_nop 0
	v_cndmask_b32_e32 v30, 0, v30, vcc
	v_cmp_nlt_f32_e32 vcc, s53, v20
	v_mov_b32_e32 v20, s87
	s_nop 0
	v_cndmask_b32_e32 v30, v159, v30, vcc
	v_add_f32_e32 v34, v19, v30
	v_cndmask_b32_e64 v20, v20, v30, s[16:17]
	v_cndmask_b32_e64 v30, v19, v34, s[16:17]
	v_sub_f32_e32 v19, v21, v163
	v_mul_f32_e32 v21, 0x3fb8aa3b, v19
	v_fma_f32 v34, v19, s4, -v21
	v_rndne_f32_e32 v35, v21
	v_fmac_f32_e32 v34, 0x32a5705f, v19
	v_sub_f32_e32 v21, v21, v35
	v_add_f32_e32 v21, v21, v34
	v_exp_f32_e32 v21, v21
	v_cvt_i32_f32_e32 v34, v35
	v_cmp_ngt_f32_e32 vcc, s5, v19
	v_ldexp_f32 v21, v21, v34
	s_nop 0
	v_cndmask_b32_e32 v21, 0, v21, vcc
	v_cmp_nlt_f32_e32 vcc, s53, v19
	v_mov_b32_e32 v19, s87
	s_nop 0
	v_cndmask_b32_e32 v21, v159, v21, vcc
	v_add_f32_e32 v34, v30, v21
	v_cndmask_b32_e64 v19, v19, v21, s[18:19]
	v_sub_f32_e32 v21, v27, v163
	v_mul_f32_e32 v27, 0x3fb8aa3b, v21
	v_cndmask_b32_e64 v85, v30, v34, s[18:19]
	v_fma_f32 v30, v21, s4, -v27
	v_rndne_f32_e32 v34, v27
	v_fmac_f32_e32 v30, 0x32a5705f, v21
	v_sub_f32_e32 v27, v27, v34
	v_add_f32_e32 v27, v27, v30
	v_exp_f32_e32 v27, v27
	v_cvt_i32_f32_e32 v30, v34
	v_cmp_ngt_f32_e32 vcc, s5, v21
	v_cvt_pk_f16_f32 v171, v20, v19
	v_ldexp_f32 v27, v27, v30
	v_cndmask_b32_e32 v27, 0, v27, vcc
	v_cmp_nlt_f32_e32 vcc, s53, v21
	s_nop 1
	v_cndmask_b32_e32 v27, v159, v27, vcc
	v_cmp_le_f32_e32 vcc, s33, v21
	s_nop 1
	v_cndmask_b32_e32 v21, 0, v27, vcc
	v_fmac_f32_e32 v85, v26, v21
	v_cvt_f16_f32_e32 v21, v21
	v_mul_u32_u24_e32 v38, 0x10001, v21
	v_pk_mul_f16 v40, v170, v38
	v_pk_mul_f16 v21, v169, v38
	;; [unrolled: 1-line block ×12, first 2 shown]
	v_lshl_add_u64 v[24:25], v[64:65], 2, s[22:23]
	v_lshl_add_u64 v[24:25], v[24:25], 0, v[52:53]
	;; [unrolled: 1-line block ×3, first 2 shown]
	v_mov_b32_e32 v28, s89
	v_cndmask_b32_e64 v25, v28, v25, s[6:7]
	v_cndmask_b32_e64 v24, v162, v24, s[6:7]
	flat_load_dwordx4 v[166:169], v[24:25]
	v_lshl_add_u64 v[24:25], v[66:67], 2, s[22:23]
	v_lshl_add_u64 v[24:25], v[24:25], 0, v[22:23]
	v_cndmask_b32_e64 v25, v28, v25, s[8:9]
	v_cndmask_b32_e64 v24, v162, v24, s[8:9]
	v_cvt_pk_f16_f32 v170, v18, v1
	v_cvt_f32_f16_e32 v20, v21
	v_cvt_f32_f16_sdwa v21, v21 dst_sel:DWORD dst_unused:UNUSED_PAD src0_sel:WORD_1
	s_waitcnt vmcnt(0) lgkmcnt(0)
	ds_write_b128 v104, v[166:169]
	flat_load_dwordx4 v[166:169], v[24:25]
	v_lshl_add_u64 v[24:25], v[68:69], 2, s[22:23]
	v_lshl_add_u64 v[22:23], v[24:25], 0, v[22:23]
	v_cndmask_b32_e64 v23, v28, v23, s[10:11]
	v_cndmask_b32_e64 v22, v162, v22, s[10:11]
	s_waitcnt vmcnt(0) lgkmcnt(0)
	ds_write_b128 v106, v[166:169]
	flat_load_dwordx4 v[22:25], v[22:23]
	v_cvt_f32_f16_e32 v166, v27
	v_cvt_f32_f16_sdwa v167, v27 dst_sel:DWORD dst_unused:UNUSED_PAD src0_sel:WORD_1
	v_cvt_f32_f16_e32 v168, v26
	v_cvt_f32_f16_sdwa v169, v26 dst_sel:DWORD dst_unused:UNUSED_PAD src0_sel:WORD_1
	s_waitcnt vmcnt(0) lgkmcnt(0)
	ds_write_b128 v151, v[22:25]
	s_waitcnt lgkmcnt(0)
	s_barrier
	ds_read_u16 v1, v110 offset:208
	ds_read_u16 v18, v111
	ds_read_u16 v24, v111 offset:32
	ds_read_u16 v19, v112
	ds_read_u16 v25, v112 offset:32
	s_waitcnt lgkmcnt(1)
	v_perm_b32 v23, v19, v18, s65
	ds_read_u16 v18, v110
	ds_read_u16 v28, v110 offset:32
	v_cvt_f32_f16_sdwa v19, v40 dst_sel:DWORD dst_unused:UNUSED_PAD src0_sel:WORD_1
	s_waitcnt lgkmcnt(2)
	v_perm_b32 v29, v25, v24, s65
	v_cvt_f32_f16_e32 v24, v36
	s_waitcnt lgkmcnt(1)
	v_perm_b32 v22, v1, v18, s65
	ds_read_u16 v1, v110 offset:240
	v_cvt_f32_f16_e32 v18, v40
	v_cvt_f32_f16_sdwa v25, v36 dst_sel:DWORD dst_unused:UNUSED_PAD src0_sel:WORD_1
	s_waitcnt lgkmcnt(0)
	v_perm_b32 v28, v1, v28, s65
	v_mfma_f32_16x16x16_f16 v[18:21], v[22:23], v[170:171], v[18:21]
	v_cvt_f32_f16_e32 v22, v37
	v_cvt_f32_f16_sdwa v23, v37 dst_sel:DWORD dst_unused:UNUSED_PAD src0_sel:WORD_1
	s_nop 1
	v_mfma_f32_16x16x16_f16 v[22:25], v[28:29], v[170:171], v[22:25]
	ds_read_u16 v1, v110 offset:64
	ds_read_u16 v28, v110 offset:272
	;; [unrolled: 1-line block ×4, first 2 shown]
	s_waitcnt lgkmcnt(2)
	v_perm_b32 v28, v28, v1, s65
	s_waitcnt lgkmcnt(0)
	v_perm_b32 v29, v32, v29, s65
	ds_read_u16 v1, v110 offset:96
	ds_read_u16 v32, v110 offset:304
	;; [unrolled: 1-line block ×4, first 2 shown]
	v_mfma_f32_16x16x16_f16 v[26:29], v[28:29], v[170:171], v[166:169]
	s_waitcnt lgkmcnt(0)
	v_perm_b32 v33, v36, v33, s65
	v_perm_b32 v32, v32, v1, s65
	ds_read_u16 v1, v110 offset:128
	ds_read_u16 v36, v110 offset:336
	;; [unrolled: 1-line block ×4, first 2 shown]
	v_cvt_f32_f16_e32 v166, v31
	v_cvt_f32_f16_sdwa v167, v31 dst_sel:DWORD dst_unused:UNUSED_PAD src0_sel:WORD_1
	v_cvt_f32_f16_e32 v168, v30
	v_cvt_f32_f16_sdwa v169, v30 dst_sel:DWORD dst_unused:UNUSED_PAD src0_sel:WORD_1
	s_waitcnt lgkmcnt(0)
	v_perm_b32 v37, v40, v37, s65
	v_perm_b32 v36, v36, v1, s65
	ds_read_u16 v1, v110 offset:160
	ds_read_u16 v40, v110 offset:368
	;; [unrolled: 1-line block ×4, first 2 shown]
	v_mfma_f32_16x16x16_f16 v[30:33], v[32:33], v[170:171], v[166:169]
	s_waitcnt lgkmcnt(0)
	v_perm_b32 v40, v40, v1, s65
	s_barrier
	v_cvt_f32_f16_e32 v166, v35
	v_cvt_f32_f16_sdwa v167, v35 dst_sel:DWORD dst_unused:UNUSED_PAD src0_sel:WORD_1
	v_cvt_f32_f16_e32 v168, v34
	v_cvt_f32_f16_sdwa v169, v34 dst_sel:DWORD dst_unused:UNUSED_PAD src0_sel:WORD_1
	v_perm_b32 v41, v52, v41, s65
	v_cvt_pk_f16_f32 v31, v30, v31
	v_mfma_f32_16x16x16_f16 v[34:37], v[36:37], v[170:171], v[166:169]
	v_cvt_pk_f16_f32 v32, v32, v33
	v_cvt_pk_f16_f32 v33, v28, v29
	s_nop 0
	v_cvt_f32_f16_e32 v166, v39
	v_cvt_f32_f16_sdwa v167, v39 dst_sel:DWORD dst_unused:UNUSED_PAD src0_sel:WORD_1
	v_cvt_f32_f16_e32 v168, v38
	v_cvt_f32_f16_sdwa v169, v38 dst_sel:DWORD dst_unused:UNUSED_PAD src0_sel:WORD_1
	s_nop 0
	v_cvt_pk_f16_f32 v29, v34, v35
	v_cvt_pk_f16_f32 v28, v36, v37
	v_mfma_f32_16x16x16_f16 v[38:41], v[40:41], v[170:171], v[166:169]
	v_cvt_pk_f16_f32 v170, v18, v19
	s_nop 1
	v_cvt_pk_f16_f32 v166, v26, v27
	v_cvt_pk_f16_f32 v168, v22, v23
	;; [unrolled: 1-line block ×4, first 2 shown]
	s_nop 0
	v_cvt_pk_f16_f32 v25, v38, v39
	v_cvt_pk_f16_f32 v24, v40, v41
	s_cbranch_scc0 .LBB14_45
; %bb.42:                               ;   in Loop: Header=BB14_35 Depth=2
	v_mov_b32_e32 v26, v85
	v_mov_b32_e32 v27, v163
	s_branch .LBB14_35
.LBB14_43:                              ;   in Loop: Header=BB14_14 Depth=1
	s_cbranch_execz .LBB14_13
	s_branch .LBB14_119
.LBB14_44:                              ;   in Loop: Header=BB14_14 Depth=1
	v_mov_b32_e32 v163, 0xfeffffff
	v_mov_b32_e32 v85, 0
	;; [unrolled: 1-line block ×14, first 2 shown]
.LBB14_45:                              ;   in Loop: Header=BB14_14 Depth=1
	s_lshl_b32 s28, s34, 6
	v_readlane_b32 s22, v186, 4
	s_sub_i32 s60, s22, s28
	s_cmp_lg_u64 s[96:97], 0
	s_cselect_b64 s[34:35], -1, 0
	s_ashr_i32 s29, s28, 31
	s_cmp_eq_u64 s[96:97], 0
	v_readlane_b32 s23, v186, 5
	s_cbranch_scc1 .LBB14_51
; %bb.46:                               ;   in Loop: Header=BB14_14 Depth=1
	v_cmp_le_i32_e32 vcc, s60, v46
	s_and_saveexec_b64 s[22:23], vcc
	s_xor_b64 s[22:23], exec, s[22:23]
	s_cbranch_execz .LBB14_48
; %bb.47:                               ;   in Loop: Header=BB14_14 Depth=1
	ds_write_b16 v126, v53 offset:13312
	ds_write_b16 v145, v53 offset:13312
.LBB14_48:                              ;   in Loop: Header=BB14_14 Depth=1
	s_or_saveexec_b64 s[22:23], s[22:23]
	v_mov_b32_e32 v1, 0
	v_mov_b32_e32 v18, 0
	s_xor_b64 exec, exec, s[22:23]
	s_cbranch_execz .LBB14_50
; %bb.49:                               ;   in Loop: Header=BB14_14 Depth=1
	v_add_u32_e32 v1, s81, v43
	s_lshl_b64 s[24:25], s[28:29], 1
	v_mul_hi_u32 v20, s68, v1
	s_add_u32 s24, s96, s24
	v_add_u32_e32 v20, v1, v20
	s_addc_u32 s25, s97, s25
	v_lshlrev_b32_e32 v52, 1, v46
	v_lshrrev_b32_e32 v20, s69, v20
	v_lshl_add_u64 v[18:19], s[24:25], 0, v[52:53]
	v_mul_lo_u32 v20, v20, s52
	v_readlane_b32 s24, v186, 50
	v_sub_u32_e32 v1, v1, v20
	v_readlane_b32 s25, v186, 51
	s_mov_b32 s26, s24
	v_mad_i64_i32 v[20:21], s[24:25], v1, s26, 0
	v_lshl_add_u64 v[20:21], v[20:21], 1, v[18:19]
	global_load_ushort v1, v[20:21], off
	v_add_u32_e32 v20, s81, v144
	v_mul_hi_u32 v21, s68, v20
	v_add_u32_e32 v21, v20, v21
	v_lshrrev_b32_e32 v21, s69, v21
	v_mul_lo_u32 v21, v21, s52
	v_sub_u32_e32 v20, v20, v21
	v_mad_i64_i32 v[20:21], s[24:25], v20, s26, 0
	v_lshl_add_u64 v[20:21], v[20:21], 1, v[18:19]
	global_load_ushort v20, v[20:21], off
	s_waitcnt vmcnt(1)
	ds_write_b16 v126, v1 offset:13312
	s_waitcnt vmcnt(0)
	ds_write_b16 v145, v20 offset:13312
	v_add_u32_e32 v1, s81, v146
	v_mul_hi_u32 v20, s68, v1
	v_add_u32_e32 v20, v1, v20
	v_lshrrev_b32_e32 v20, s69, v20
	v_mul_lo_u32 v20, v20, s52
	v_sub_u32_e32 v1, v1, v20
	v_mad_i64_i32 v[20:21], s[24:25], v1, s26, 0
	v_lshl_add_u64 v[20:21], v[20:21], 1, v[18:19]
	global_load_ushort v1, v[20:21], off
	v_add_u32_e32 v20, s81, v148
	v_mul_hi_u32 v21, s68, v20
	v_add_u32_e32 v21, v20, v21
	v_lshrrev_b32_e32 v21, s69, v21
	v_mul_lo_u32 v21, v21, s52
	v_sub_u32_e32 v20, v20, v21
	v_mad_i64_i32 v[20:21], s[24:25], v20, s26, 0
	v_lshl_add_u64 v[18:19], v[20:21], 1, v[18:19]
	global_load_ushort v18, v[18:19], off
.LBB14_50:                              ;   in Loop: Header=BB14_14 Depth=1
	s_or_b64 exec, exec, s[22:23]
	s_waitcnt vmcnt(1)
	ds_write_b16 v147, v1 offset:13312
	s_waitcnt vmcnt(0)
	ds_write_b16 v149, v18 offset:13312
.LBB14_51:                              ;   in Loop: Header=BB14_14 Depth=1
	s_mul_hi_i32 s23, s28, s66
	s_mul_i32 s22, s28, s66
	s_lshl_b64 s[22:23], s[22:23], 2
	s_add_u32 s22, s20, s22
	s_addc_u32 s23, s21, s23
	v_lshl_add_u64 v[18:19], v[58:59], 2, s[22:23]
	v_lshlrev_b32_e32 v52, 2, v48
	v_lshl_add_u64 v[18:19], v[18:19], 0, v[52:53]
	v_lshl_add_u64 v[18:19], v[18:19], 0, s[98:99]
	v_mov_b32_e32 v1, s89
	v_cmp_gt_i32_e64 s[24:25], s60, v103
	scratch_store_dwordx4 off, v[2:5], off
	v_lshl_add_u64 v[26:27], v[60:61], 2, s[22:23]
	v_cndmask_b32_e64 v19, v1, v19, s[24:25]
	v_cndmask_b32_e64 v18, v162, v18, s[24:25]
	flat_load_dwordx4 v[20:23], v[18:19]
	v_lshlrev_b32_e32 v18, 2, v50
	v_mov_b32_e32 v19, v53
	v_lshl_add_u64 v[26:27], v[26:27], 0, v[18:19]
	v_cmp_gt_i32_e64 s[26:27], s60, v105
	s_andn2_b64 vcc, exec, s[34:35]
	s_waitcnt vmcnt(0) lgkmcnt(0)
	ds_write_b128 v104, v[20:23]
	v_cndmask_b32_e64 v27, v1, v27, s[26:27]
	v_cndmask_b32_e64 v26, v162, v26, s[26:27]
	flat_load_dwordx4 v[20:23], v[26:27]
	v_lshl_add_u64 v[26:27], v[62:63], 2, s[22:23]
	v_lshl_add_u64 v[26:27], v[26:27], 0, v[18:19]
	v_cmp_gt_i32_e64 s[22:23], s60, v150
	s_waitcnt vmcnt(0) lgkmcnt(0)
	ds_write_b128 v106, v[20:23]
	v_cndmask_b32_e64 v27, v1, v27, s[22:23]
	v_cndmask_b32_e64 v26, v162, v26, s[22:23]
	flat_load_dwordx4 v[20:23], v[26:27]
	s_waitcnt vmcnt(0) lgkmcnt(0)
	ds_write_b128 v151, v[20:23]
	s_waitcnt lgkmcnt(0)
	s_barrier
	ds_read2_b64 v[20:23], v107 offset1:4
	s_waitcnt lgkmcnt(0)
	v_mfma_f32_16x16x16_f16 v[34:37], v[20:21], v[14:15], 0
	v_mfma_f32_16x16x16_f16 v[14:17], v[22:23], v[16:17], v[34:37]
	ds_read2_b64 v[20:23], v107 offset0:8 offset1:12
	s_waitcnt lgkmcnt(0)
	v_mfma_f32_16x16x16_f16 v[14:17], v[20:21], v[10:11], v[14:17]
	v_mfma_f32_16x16x16_f16 v[10:13], v[22:23], v[12:13], v[14:17]
	s_nop 6
	ds_read2_b64 v[14:17], v107 offset0:16 offset1:20
	s_waitcnt lgkmcnt(0)
	v_mfma_f32_16x16x16_f16 v[10:13], v[14:15], v[6:7], v[10:13]
	s_barrier
	v_mfma_f32_16x16x16_f16 v[6:9], v[16:17], v[8:9], v[10:13]
	s_cbranch_vccnz .LBB14_53
; %bb.52:                               ;   in Loop: Header=BB14_14 Depth=1
	v_add_u32_e32 v1, 0x3400, v109
	s_nop 3
	ds_read2_b32 v[10:11], v1 offset1:1
	s_waitcnt lgkmcnt(0)
	v_cvt_f32_f16_e32 v12, v10
	v_cvt_f32_f16_e32 v14, v11
	v_cvt_f32_f16_sdwa v15, v11 dst_sel:DWORD dst_unused:UNUSED_PAD src0_sel:WORD_1
	v_cvt_f32_f16_sdwa v13, v10 dst_sel:DWORD dst_unused:UNUSED_PAD src0_sel:WORD_1
	v_pk_fma_f32 v[8:9], v[84:85], v[14:15], v[8:9] op_sel_hi:[0,1,1]
	v_pk_fma_f32 v[6:7], v[84:85], v[12:13], v[6:7] op_sel_hi:[0,1,1]
.LBB14_53:                              ;   in Loop: Header=BB14_14 Depth=1
	s_mul_hi_i32 s29, s28, s54
	s_mul_i32 s28, s28, s54
	s_lshl_b64 s[28:29], s[28:29], 2
	s_add_u32 s74, s71, s28
	s_addc_u32 s75, s64, s29
	v_lshl_add_u64 v[10:11], v[64:65], 2, s[74:75]
	v_lshl_add_u64 v[10:11], v[10:11], 0, v[52:53]
	;; [unrolled: 1-line block ×3, first 2 shown]
	v_mov_b32_e32 v16, s89
	scratch_store_dwordx4 off, v[2:5], off
	v_cndmask_b32_e64 v11, v16, v11, s[24:25]
	v_cndmask_b32_e64 v10, v162, v10, s[24:25]
	flat_load_dwordx4 v[10:13], v[10:11]
	v_lshl_add_u64 v[14:15], v[66:67], 2, s[74:75]
	v_lshl_add_u64 v[14:15], v[14:15], 0, v[18:19]
	v_cndmask_b32_e64 v15, v16, v15, s[26:27]
	v_cndmask_b32_e64 v14, v162, v14, s[26:27]
	v_add_f32_e32 v1, 0x40051340, v6
	v_max_f32_e32 v20, v163, v163
	v_and_b32_e32 v26, 64, v161
	v_xor_b32_e32 v27, 32, v161
	v_max_f32_e32 v1, v20, v1
	v_add_u32_e32 v20, 64, v26
	v_cmp_gt_u32_e64 s[28:29], s60, v108
	v_cmp_lt_i32_e32 vcc, v27, v20
	v_add_f32_e32 v21, 0x40051340, v7
	v_cndmask_b32_e64 v26, v163, v1, s[28:29]
	v_cndmask_b32_e32 v1, v161, v27, vcc
	v_max_f32_e32 v27, v26, v26
	v_max_f32_e32 v21, v27, v21
	v_cmp_gt_u32_e32 vcc, s60, v152
	v_add_f32_e32 v22, 0x40051340, v8
	v_cmp_gt_u32_e64 s[24:25], s60, v153
	v_cndmask_b32_e32 v21, v26, v21, vcc
	v_max_f32_e32 v26, v21, v21
	v_max_f32_e32 v22, v26, v22
	v_cndmask_b32_e64 v21, v21, v22, s[24:25]
	v_add_f32_e32 v23, 0x40051340, v9
	v_max_f32_e32 v22, v21, v21
	v_max_f32_e32 v22, v22, v23
	v_cmp_gt_u32_e64 s[26:27], s60, v154
	v_lshlrev_b32_e32 v1, 2, v1
	v_xor_b32_e32 v30, 16, v161
	v_cndmask_b32_e64 v21, v21, v22, s[26:27]
	ds_bpermute_b32 v22, v1, v21
	v_cmp_lt_i32_e64 s[34:35], v30, v20
	v_mov_b32_e32 v17, s87
	s_cmp_lg_u64 s[94:95], 0
	v_cndmask_b32_e64 v20, v161, v30, s[34:35]
	v_lshlrev_b32_e32 v34, 2, v20
	v_max_f32_e32 v20, v21, v21
	s_waitcnt lgkmcnt(0)
	v_max_f32_e32 v21, v22, v22
	v_max_f32_e32 v22, v20, v21
	ds_bpermute_b32 v23, v34, v22
	v_lshl_add_u64 v[20:21], v[68:69], 2, s[74:75]
	v_lshl_add_u64 v[18:19], v[20:21], 0, v[18:19]
	v_cndmask_b32_e64 v19, v16, v19, s[22:23]
	v_cndmask_b32_e64 v18, v162, v18, s[22:23]
	s_waitcnt lgkmcnt(0)
	v_max_f32_e32 v16, v23, v23
	v_max_f32_e32 v30, v22, v16
	v_sub_f32_e32 v16, v6, v30
	v_sub_f32_e32 v20, v7, v30
	;; [unrolled: 1-line block ×4, first 2 shown]
	v_mul_f32_e32 v6, 0x3fb8aa3b, v16
	v_mul_f32_e32 v7, 0x3fb8aa3b, v20
	;; [unrolled: 1-line block ×4, first 2 shown]
	v_fma_f32 v27, v16, s4, -v6
	v_rndne_f32_e32 v35, v6
	v_fma_f32 v36, v20, s4, -v7
	v_rndne_f32_e32 v37, v7
	;; [unrolled: 2-line block ×4, first 2 shown]
	v_fmac_f32_e32 v27, 0x32a5705f, v16
	v_sub_f32_e32 v6, v6, v35
	v_fmac_f32_e32 v36, 0x32a5705f, v20
	v_sub_f32_e32 v7, v7, v37
	;; [unrolled: 2-line block ×4, first 2 shown]
	v_add_f32_e32 v27, v6, v27
	v_add_f32_e32 v36, v7, v36
	;; [unrolled: 1-line block ×4, first 2 shown]
	v_sub_f32_e32 v23, v163, v30
	v_mul_f32_e32 v26, 0x3fb8aa3b, v23
	v_cvt_i32_f32_e32 v35, v35
	v_fma_f32 v52, v23, s4, -v26
	s_waitcnt vmcnt(0)
	ds_write_b128 v104, v[10:13]
	flat_load_dwordx4 v[10:13], v[14:15]
	v_rndne_f32_e32 v86, v26
	v_cvt_i32_f32_e32 v37, v37
	v_cvt_i32_f32_e32 v39, v39
	v_fmac_f32_e32 v52, 0x32a5705f, v23
	v_sub_f32_e32 v26, v26, v86
	v_cvt_i32_f32_e32 v41, v41
	v_add_f32_e32 v26, v26, v52
	v_cvt_i32_f32_e32 v86, v86
	v_cmp_ngt_f32_e64 s[22:23], s5, v16
	v_mov_b32_e32 v15, s87
	v_mov_b32_e32 v14, s87
	s_waitcnt vmcnt(0) lgkmcnt(0)
	ds_write_b128 v106, v[10:13]
	flat_load_dwordx4 v[6:9], v[18:19]
	v_exp_f32_e32 v10, v27
	v_exp_f32_e32 v11, v36
	;; [unrolled: 1-line block ×5, first 2 shown]
	v_ldexp_f32 v10, v10, v35
	v_ldexp_f32 v11, v11, v37
	v_cndmask_b32_e64 v10, 0, v10, s[22:23]
	v_cmp_ngt_f32_e64 s[22:23], s5, v20
	v_ldexp_f32 v12, v12, v39
	v_ldexp_f32 v13, v13, v41
	v_cndmask_b32_e64 v11, 0, v11, s[22:23]
	v_cmp_ngt_f32_e64 s[22:23], s5, v21
	v_ldexp_f32 v18, v18, v86
	s_waitcnt vmcnt(0) lgkmcnt(0)
	ds_write_b128 v151, v[6:9]
	v_cndmask_b32_e64 v12, 0, v12, s[22:23]
	v_cmp_ngt_f32_e64 s[22:23], s5, v22
	s_waitcnt lgkmcnt(0)
	s_barrier
	v_cndmask_b32_e64 v13, 0, v13, s[22:23]
	v_cmp_ngt_f32_e64 s[22:23], s5, v23
	s_nop 1
	v_cndmask_b32_e64 v18, 0, v18, s[22:23]
	v_cmp_nlt_f32_e64 s[22:23], s53, v16
	s_nop 1
	v_cndmask_b32_e64 v10, v159, v10, s[22:23]
	v_cmp_nlt_f32_e64 s[22:23], s53, v20
	v_cndmask_b32_e64 v10, 0, v10, s[28:29]
	s_nop 0
	v_cndmask_b32_e64 v16, v159, v11, s[22:23]
	v_cmp_nlt_f32_e64 s[22:23], s53, v21
	v_cndmask_b32_e32 v11, v15, v16, vcc
	v_add_f32_e32 v16, v16, v10
	v_cndmask_b32_e64 v19, v159, v12, s[22:23]
	v_cmp_nlt_f32_e64 s[22:23], s53, v22
	v_cndmask_b32_e64 v12, v14, v19, s[24:25]
	v_cvt_pk_f16_f32 v26, v10, v11
	v_cndmask_b32_e64 v13, v159, v13, s[22:23]
	v_cmp_nlt_f32_e64 s[22:23], s53, v23
	v_cndmask_b32_e64 v14, v17, v13, s[26:27]
	v_cndmask_b32_e32 v10, v10, v16, vcc
	v_cndmask_b32_e64 v18, v159, v18, s[22:23]
	v_cmp_le_f32_e64 s[22:23], s33, v23
	v_add_f32_e32 v11, v10, v19
	v_cndmask_b32_e64 v10, v10, v11, s[24:25]
	v_cndmask_b32_e64 v15, 0, v18, s[22:23]
	v_cvt_f16_f32_e32 v17, v15
	v_cvt_pk_f16_f32 v27, v12, v14
	v_add_f32_e32 v11, v10, v13
	v_cndmask_b32_e64 v35, v10, v11, s[26:27]
	v_mul_u32_u24_e32 v12, 0x10001, v17
	v_pk_mul_f16 v23, v31, v12
	v_pk_mul_f16 v31, v32, v12
	;; [unrolled: 1-line block ×7, first 2 shown]
	v_fmac_f32_e32 v35, v85, v15
	v_cvt_f32_f16_e32 v24, v31
	v_cvt_f32_f16_sdwa v25, v31 dst_sel:DWORD dst_unused:UNUSED_PAD src0_sel:WORD_1
	v_cvt_f32_f16_e32 v36, v29
	v_cvt_f32_f16_sdwa v37, v29 dst_sel:DWORD dst_unused:UNUSED_PAD src0_sel:WORD_1
	;; [unrolled: 2-line block ×3, first 2 shown]
	ds_read_u16 v6, v110 offset:208
	ds_read_u16 v8, v110
	ds_read_u16 v9, v110 offset:32
	ds_read_u16 v28, v110 offset:240
	;; [unrolled: 1-line block ×6, first 2 shown]
	ds_read_u16 v7, v111
	ds_read_u16 v29, v111 offset:32
	ds_read_u16 v89, v110 offset:272
	;; [unrolled: 1-line block ×7, first 2 shown]
	ds_read_u16 v86, v112
	ds_read_u16 v88, v112 offset:32
	ds_read_u16 v94, v112 offset:64
	;; [unrolled: 1-line block ×7, first 2 shown]
	v_pk_mul_f16 v11, v170, v12
	v_pk_mul_f16 v13, v169, v12
	;; [unrolled: 1-line block ×4, first 2 shown]
	s_waitcnt lgkmcnt(7)
	v_perm_b32 v7, v86, v7, s65
	v_perm_b32 v6, v6, v8, s65
	s_waitcnt lgkmcnt(6)
	v_perm_b32 v29, v88, v29, s65
	v_perm_b32 v28, v28, v9, s65
	v_pk_mul_f16 v19, v166, v12
	v_cvt_f32_f16_e32 v10, v11
	v_cvt_f32_f16_sdwa v11, v11 dst_sel:DWORD dst_unused:UNUSED_PAD src0_sel:WORD_1
	v_cvt_f32_f16_e32 v12, v13
	v_cvt_f32_f16_sdwa v13, v13 dst_sel:DWORD dst_unused:UNUSED_PAD src0_sel:WORD_1
	;; [unrolled: 2-line block ×5, first 2 shown]
	v_mfma_f32_16x16x16_f16 v[6:9], v[6:7], v[26:27], v[10:13]
	s_waitcnt lgkmcnt(5)
	v_perm_b32 v33, v94, v33, s65
	v_perm_b32 v32, v89, v31, s65
	v_cvt_f32_f16_e32 v18, v19
	v_mfma_f32_16x16x16_f16 v[10:13], v[28:29], v[26:27], v[14:17]
	s_waitcnt lgkmcnt(4)
	v_perm_b32 v29, v95, v91, s65
	v_perm_b32 v28, v90, v41, s65
	v_cvt_f32_f16_sdwa v19, v19 dst_sel:DWORD dst_unused:UNUSED_PAD src0_sel:WORD_1
	v_cvt_f32_f16_e32 v20, v21
	v_cvt_f32_f16_sdwa v21, v21 dst_sel:DWORD dst_unused:UNUSED_PAD src0_sel:WORD_1
	v_cvt_f32_f16_e32 v22, v23
	v_cvt_f32_f16_sdwa v23, v23 dst_sel:DWORD dst_unused:UNUSED_PAD src0_sel:WORD_1
	v_mfma_f32_16x16x16_f16 v[14:17], v[32:33], v[26:27], v[18:21]
	s_waitcnt lgkmcnt(2)
	v_perm_b32 v33, v97, v96, s65
	v_perm_b32 v32, v92, v52, s65
	v_cvt_f32_f16_e32 v88, v40
	v_mfma_f32_16x16x16_f16 v[18:21], v[28:29], v[26:27], v[22:25]
	s_waitcnt lgkmcnt(0)
	v_perm_b32 v29, v163, v164, s65
	v_perm_b32 v28, v93, v85, s65
	v_cvt_f32_f16_sdwa v89, v40 dst_sel:DWORD dst_unused:UNUSED_PAD src0_sel:WORD_1
	ds_bpermute_b32 v31, v1, v35
	v_mfma_f32_16x16x16_f16 v[22:25], v[32:33], v[26:27], v[36:39]
	v_cvt_f16_f32_e32 v33, v6
	v_cvt_f16_f32_e32 v8, v8
	;; [unrolled: 1-line block ×3, first 2 shown]
	v_mfma_f32_16x16x16_f16 v[26:29], v[28:29], v[26:27], v[86:89]
	s_waitcnt lgkmcnt(0)
	v_add_f32_e32 v31, v35, v31
	ds_bpermute_b32 v32, v34, v31
	v_cvt_f16_f32_e32 v35, v7
	v_cvt_f16_f32_e32 v36, v10
	;; [unrolled: 1-line block ×21, first 2 shown]
	v_readlane_b32 s24, v186, 33
	s_cselect_b64 s[22:23], -1, 0
	v_readlane_b32 s25, v186, 34
	v_perm_b32 v17, v9, v8, s65
	v_perm_b32 v16, v13, v12, s65
	;; [unrolled: 1-line block ×6, first 2 shown]
	s_waitcnt lgkmcnt(0)
	v_add_f32_e32 v31, v31, v32
	s_and_b64 s[24:25], s[24:25], s[22:23]
	v_perm_b32 v24, v85, v52, s65
	v_perm_b32 v25, v39, v38, s65
	v_perm_b32 v28, v37, v36, s65
	v_perm_b32 v29, v35, v33, s65
	v_perm_b32 v32, v87, v86, s65
	v_perm_b32 v33, v89, v88, s65
	s_barrier
	s_and_saveexec_b64 s[22:23], s[24:25]
	s_cbranch_execz .LBB14_55
; %bb.54:                               ;   in Loop: Header=BB14_14 Depth=1
	v_cvt_pk_f16_f32 v9, v14, v15
	global_load_dword v15, v53, s[94:95]
	v_cvt_pk_f16_f32 v7, v6, v7
	v_cvt_pk_f16_f32 v8, v10, v11
	;; [unrolled: 1-line block ×3, first 2 shown]
	v_max_f32_e32 v18, v30, v30
	v_cvt_pk_f16_f32 v11, v22, v23
	v_cvt_pk_f16_f32 v14, v26, v27
	s_waitcnt vmcnt(0)
	v_max_f32_e32 v6, v15, v15
	v_max_f32_e32 v6, v18, v6
	v_sub_f32_e32 v18, v30, v6
	v_mul_f32_e32 v19, 0x3fb8aa3b, v18
	v_fma_f32 v22, v18, s4, -v19
	v_rndne_f32_e32 v23, v19
	v_fmac_f32_e32 v22, 0x32a5705f, v18
	v_sub_f32_e32 v19, v19, v23
	v_add_f32_e32 v19, v19, v22
	v_exp_f32_e32 v19, v19
	v_cvt_i32_f32_e32 v22, v23
	v_cmp_ngt_f32_e32 vcc, s5, v18
	v_sub_f32_e32 v15, v15, v6
	v_ldexp_f32 v19, v19, v22
	v_cndmask_b32_e32 v19, 0, v19, vcc
	v_cmp_nlt_f32_e32 vcc, s53, v18
	s_nop 1
	v_cndmask_b32_e32 v19, v159, v19, vcc
	v_cmp_le_f32_e32 vcc, s33, v18
	s_nop 1
	v_cndmask_b32_e32 v18, 0, v19, vcc
	v_cvt_f16_f32_e32 v19, v18
	v_cmp_ngt_f32_e32 vcc, s5, v15
	v_mul_u32_u24_e32 v19, 0x10001, v19
	v_pk_mul_f16 v29, v7, v19
	v_mul_f32_e32 v7, 0x3fb8aa3b, v15
	v_pk_mul_f16 v28, v8, v19
	v_pk_mul_f16 v25, v9, v19
	v_fma_f32 v8, v15, s4, -v7
	v_rndne_f32_e32 v9, v7
	v_fmac_f32_e32 v8, 0x32a5705f, v15
	v_sub_f32_e32 v7, v7, v9
	v_add_f32_e32 v7, v7, v8
	v_exp_f32_e32 v7, v7
	v_cvt_i32_f32_e32 v8, v9
	v_pk_mul_f16 v17, v17, v19
	v_pk_mul_f16 v16, v16, v19
	v_pk_mul_f16 v13, v13, v19
	v_ldexp_f32 v7, v7, v8
	v_cndmask_b32_e32 v7, 0, v7, vcc
	v_cmp_nlt_f32_e32 vcc, s53, v15
	v_pk_mul_f16 v24, v10, v19
	v_pk_mul_f16 v12, v12, v19
	v_cndmask_b32_e32 v7, v159, v7, vcc
	v_fmac_f32_e32 v7, v31, v18
	v_pk_mul_f16 v32, v11, v19
	v_pk_mul_f16 v20, v20, v19
	;; [unrolled: 1-line block ×4, first 2 shown]
	v_mov_b64_e32 v[30:31], v[6:7]
.LBB14_55:                              ;   in Loop: Header=BB14_14 Depth=1
	s_or_b64 exec, exec, s[22:23]
	s_mov_b64 s[22:23], exec
	v_readlane_b32 s24, v186, 48
	v_readlane_b32 s25, v186, 49
	s_and_b64 s[24:25], s[22:23], s[24:25]
	s_mov_b64 exec, s[24:25]
; %bb.56:                               ;   in Loop: Header=BB14_14 Depth=1
	v_add_u32_e32 v6, 0, v127
	ds_write2_b32 v6, v30, v31 offset0:48 offset1:49
; %bb.57:                               ;   in Loop: Header=BB14_14 Depth=1
	s_or_b64 exec, exec, s[22:23]
	s_waitcnt lgkmcnt(0)
	s_barrier
	s_mov_b64 s[22:23], exec
	v_readlane_b32 s24, v186, 35
	v_readlane_b32 s25, v186, 36
	s_and_b64 s[24:25], s[22:23], s[24:25]
	s_xor_b64 s[22:23], s[24:25], s[22:23]
	s_mov_b64 exec, s[24:25]
	s_cbranch_execz .LBB14_59
; %bb.58:                               ;   in Loop: Header=BB14_14 Depth=1
	s_barrier
                                        ; implicit-def: $vgpr1
                                        ; implicit-def: $vgpr34
.LBB14_59:                              ;   in Loop: Header=BB14_14 Depth=1
	s_andn2_saveexec_b64 s[22:23], s[22:23]
	s_cbranch_execz .LBB14_63
; %bb.60:                               ;   in Loop: Header=BB14_14 Depth=1
	v_add_u32_e32 v7, 0, v127
	ds_read_b64 v[8:9], v7 offset:192
	s_waitcnt lgkmcnt(0)
	s_barrier
	ds_bpermute_b32 v6, v1, v8
	v_max_f32_e32 v10, v8, v8
	s_waitcnt lgkmcnt(0)
	v_max_f32_e32 v6, v6, v6
	v_max_f32_e32 v6, v10, v6
	ds_bpermute_b32 v10, v34, v6
	s_waitcnt lgkmcnt(0)
	v_max_f32_e32 v10, v10, v10
	v_max_f32_e32 v6, v6, v10
	v_sub_f32_e32 v8, v8, v6
	v_mul_f32_e32 v10, 0x3fb8aa3b, v8
	v_fma_f32 v11, v8, s4, -v10
	v_rndne_f32_e32 v14, v10
	v_fmac_f32_e32 v11, 0x32a5705f, v8
	v_sub_f32_e32 v10, v10, v14
	v_add_f32_e32 v10, v10, v11
	v_cvt_i32_f32_e32 v14, v14
	v_exp_f32_e32 v10, v10
	v_cmp_ngt_f32_e32 vcc, s5, v8
	v_ldexp_f32 v10, v10, v14
	s_nop 0
	v_cndmask_b32_e32 v10, 0, v10, vcc
	v_cmp_nlt_f32_e32 vcc, s53, v8
	s_nop 1
	v_cndmask_b32_e32 v8, v159, v10, vcc
	v_mul_f32_e32 v10, v9, v8
	ds_bpermute_b32 v1, v1, v10
	s_waitcnt lgkmcnt(0)
	v_fmac_f32_e32 v1, v9, v8
	ds_bpermute_b32 v9, v34, v1
	s_waitcnt lgkmcnt(0)
	v_add_f32_e32 v9, v1, v9
	ds_write_b64 v7, v[8:9] offset:192
	s_mov_b64 s[24:25], exec
	v_readlane_b32 s26, v186, 48
	v_readlane_b32 s27, v186, 49
	s_and_b64 s[26:27], s[24:25], s[26:27]
	s_mov_b64 exec, s[26:27]
	s_cbranch_execz .LBB14_62
; %bb.61:                               ;   in Loop: Header=BB14_14 Depth=1
	v_mov_b32_e32 v7, v9
	global_store_dwordx2 v[54:55], v[6:7], off
.LBB14_62:                              ;   in Loop: Header=BB14_14 Depth=1
	s_or_b64 exec, exec, s[24:25]
.LBB14_63:                              ;   in Loop: Header=BB14_14 Depth=1
	s_or_b64 exec, exec, s[22:23]
	ds_write2_b32 v113, v29, v17 offset1:1
	ds_write2_b32 v113, v28, v16 offset0:8 offset1:9
	ds_write2_b32 v113, v25, v13 offset0:16 offset1:17
	ds_write2_b32 v113, v24, v12 offset0:24 offset1:25
	ds_write2_b32 v113, v32, v20 offset0:32 offset1:33
	ds_write2_b32 v113, v33, v21 offset0:40 offset1:41
	s_waitcnt lgkmcnt(0)
	s_barrier
	s_mov_b64 s[22:23], exec
	v_readlane_b32 s24, v186, 33
	v_readlane_b32 s25, v186, 34
	s_and_b64 s[24:25], s[22:23], s[24:25]
	s_mov_b64 exec, s[24:25]
	s_cbranch_execz .LBB14_118
; %bb.64:                               ;   in Loop: Header=BB14_14 Depth=1
	v_add_u32_e32 v1, s81, v114
	v_cmp_gt_i32_e32 vcc, s52, v1
	v_mov_b32_e32 v6, 0x47
	s_and_saveexec_b64 s[24:25], vcc
	s_cbranch_execz .LBB14_66
; %bb.65:                               ;   in Loop: Header=BB14_14 Depth=1
	v_add_u32_e32 v6, 0, v128
	v_add_u32_e32 v10, 0xc0, v6
	v_add_u32_e32 v12, v141, v128
	ds_read2st64_b32 v[6:7], v10 offset1:13
	ds_read2st64_b32 v[8:9], v12 offset1:13
	ds_read2st64_b32 v[10:11], v10 offset0:26 offset1:39
	ds_read2st64_b32 v[12:13], v12 offset0:26 offset1:39
	v_readlane_b32 s26, v186, 40
	s_waitcnt lgkmcnt(2)
	v_cvt_f32_f16_e32 v16, v8
	v_cvt_f32_f16_sdwa v17, v8 dst_sel:DWORD dst_unused:UNUSED_PAD src0_sel:WORD_1
	v_cvt_f32_f16_e32 v8, v9
	v_cvt_f32_f16_sdwa v9, v9 dst_sel:DWORD dst_unused:UNUSED_PAD src0_sel:WORD_1
	v_mad_u64_u32 v[14:15], s[26:27], v1, s26, v[42:43]
	v_pk_fma_f32 v[16:17], v[6:7], v[16:17], 0 op_sel_hi:[0,1,0]
	v_mov_b32_e32 v6, v7
	v_pk_fma_f32 v[6:7], v[6:7], v[8:9], v[16:17] op_sel_hi:[0,1,1]
	s_waitcnt lgkmcnt(0)
	v_cvt_f32_f16_e32 v8, v12
	v_cvt_f32_f16_sdwa v9, v12 dst_sel:DWORD dst_unused:UNUSED_PAD src0_sel:WORD_1
	v_ashrrev_i32_e32 v15, 31, v14
	v_lshl_add_u64 v[14:15], v[14:15], 3, s[92:93]
	v_pk_fma_f32 v[6:7], v[10:11], v[8:9], v[6:7] op_sel_hi:[0,1,1]
	v_cvt_f32_f16_e32 v8, v13
	v_cvt_f32_f16_sdwa v9, v13 dst_sel:DWORD dst_unused:UNUSED_PAD src0_sel:WORD_1
	v_mov_b32_e32 v10, v11
	v_pk_fma_f32 v[6:7], v[10:11], v[8:9], v[6:7] op_sel_hi:[0,1,1]
	global_store_dwordx2 v[14:15], v[6:7], off
	v_mov_b32_e32 v6, 0
.LBB14_66:                              ;   in Loop: Header=BB14_14 Depth=1
	s_or_b64 exec, exec, s[24:25]
	s_movk_i32 s24, 0x47
	v_cmp_gt_i32_e32 vcc, s24, v6
	s_mov_b64 s[26:27], -1
	s_and_saveexec_b64 s[24:25], vcc
; %bb.67:                               ;   in Loop: Header=BB14_14 Depth=1
	v_cmp_eq_u32_e32 vcc, 0, v6
	s_orn2_b64 s[26:27], vcc, exec
; %bb.68:                               ;   in Loop: Header=BB14_14 Depth=1
	s_or_b64 exec, exec, s[24:25]
	s_and_saveexec_b64 s[24:25], s[26:27]
	s_cbranch_execz .LBB14_101
; %bb.69:                               ;   in Loop: Header=BB14_14 Depth=1
	v_add_u32_e32 v1, s81, v116
	v_cmp_gt_i32_e32 vcc, s52, v1
	v_mov_b32_e32 v6, 0x47
	s_and_saveexec_b64 s[26:27], vcc
	s_cbranch_execz .LBB14_71
; %bb.70:                               ;   in Loop: Header=BB14_14 Depth=1
	v_add_u32_e32 v6, 0, v129
	v_add_u32_e32 v10, 0xc0, v6
	v_add_u32_e32 v12, v141, v129
	ds_read2st64_b32 v[6:7], v10 offset1:13
	ds_read2st64_b32 v[8:9], v12 offset1:13
	ds_read2st64_b32 v[10:11], v10 offset0:26 offset1:39
	ds_read2st64_b32 v[12:13], v12 offset0:26 offset1:39
	v_readlane_b32 s28, v186, 40
	s_waitcnt lgkmcnt(2)
	v_cvt_f32_f16_e32 v16, v8
	v_cvt_f32_f16_sdwa v17, v8 dst_sel:DWORD dst_unused:UNUSED_PAD src0_sel:WORD_1
	v_cvt_f32_f16_e32 v8, v9
	v_cvt_f32_f16_sdwa v9, v9 dst_sel:DWORD dst_unused:UNUSED_PAD src0_sel:WORD_1
	v_mad_u64_u32 v[14:15], s[28:29], v1, s28, v[42:43]
	v_pk_fma_f32 v[16:17], v[6:7], v[16:17], 0 op_sel_hi:[0,1,0]
	v_mov_b32_e32 v6, v7
	v_pk_fma_f32 v[6:7], v[6:7], v[8:9], v[16:17] op_sel_hi:[0,1,1]
	s_waitcnt lgkmcnt(0)
	v_cvt_f32_f16_e32 v8, v12
	v_cvt_f32_f16_sdwa v9, v12 dst_sel:DWORD dst_unused:UNUSED_PAD src0_sel:WORD_1
	v_ashrrev_i32_e32 v15, 31, v14
	v_lshl_add_u64 v[14:15], v[14:15], 3, s[92:93]
	v_pk_fma_f32 v[6:7], v[10:11], v[8:9], v[6:7] op_sel_hi:[0,1,1]
	v_cvt_f32_f16_e32 v8, v13
	v_cvt_f32_f16_sdwa v9, v13 dst_sel:DWORD dst_unused:UNUSED_PAD src0_sel:WORD_1
	v_mov_b32_e32 v10, v11
	v_pk_fma_f32 v[6:7], v[10:11], v[8:9], v[6:7] op_sel_hi:[0,1,1]
	global_store_dwordx2 v[14:15], v[6:7], off
	v_mov_b32_e32 v6, 0
.LBB14_71:                              ;   in Loop: Header=BB14_14 Depth=1
	s_or_b64 exec, exec, s[26:27]
	s_movk_i32 s26, 0x47
	v_cmp_gt_i32_e32 vcc, s26, v6
	s_mov_b64 s[26:27], -1
	s_and_saveexec_b64 s[28:29], vcc
; %bb.72:                               ;   in Loop: Header=BB14_14 Depth=1
	v_cmp_eq_u32_e32 vcc, 0, v6
	s_orn2_b64 s[26:27], vcc, exec
; %bb.73:                               ;   in Loop: Header=BB14_14 Depth=1
	s_or_b64 exec, exec, s[28:29]
	s_and_b64 exec, exec, s[26:27]
	s_cbranch_execz .LBB14_101
; %bb.74:                               ;   in Loop: Header=BB14_14 Depth=1
	v_add_u32_e32 v1, s81, v117
	v_cmp_gt_i32_e32 vcc, s52, v1
	v_mov_b32_e32 v6, 0x47
	s_and_saveexec_b64 s[26:27], vcc
	s_cbranch_execz .LBB14_76
; %bb.75:                               ;   in Loop: Header=BB14_14 Depth=1
	v_add_u32_e32 v6, 0, v130
	v_add_u32_e32 v10, 0xc0, v6
	v_add_u32_e32 v12, v141, v130
	ds_read2st64_b32 v[6:7], v10 offset1:13
	ds_read2st64_b32 v[8:9], v12 offset1:13
	ds_read2st64_b32 v[10:11], v10 offset0:26 offset1:39
	ds_read2st64_b32 v[12:13], v12 offset0:26 offset1:39
	v_readlane_b32 s28, v186, 40
	s_waitcnt lgkmcnt(2)
	v_cvt_f32_f16_e32 v16, v8
	v_cvt_f32_f16_sdwa v17, v8 dst_sel:DWORD dst_unused:UNUSED_PAD src0_sel:WORD_1
	v_cvt_f32_f16_e32 v8, v9
	v_cvt_f32_f16_sdwa v9, v9 dst_sel:DWORD dst_unused:UNUSED_PAD src0_sel:WORD_1
	v_mad_u64_u32 v[14:15], s[28:29], v1, s28, v[42:43]
	v_pk_fma_f32 v[16:17], v[6:7], v[16:17], 0 op_sel_hi:[0,1,0]
	v_mov_b32_e32 v6, v7
	v_pk_fma_f32 v[6:7], v[6:7], v[8:9], v[16:17] op_sel_hi:[0,1,1]
	s_waitcnt lgkmcnt(0)
	v_cvt_f32_f16_e32 v8, v12
	v_cvt_f32_f16_sdwa v9, v12 dst_sel:DWORD dst_unused:UNUSED_PAD src0_sel:WORD_1
	v_ashrrev_i32_e32 v15, 31, v14
	v_lshl_add_u64 v[14:15], v[14:15], 3, s[92:93]
	v_pk_fma_f32 v[6:7], v[10:11], v[8:9], v[6:7] op_sel_hi:[0,1,1]
	v_cvt_f32_f16_e32 v8, v13
	v_cvt_f32_f16_sdwa v9, v13 dst_sel:DWORD dst_unused:UNUSED_PAD src0_sel:WORD_1
	v_mov_b32_e32 v10, v11
	v_pk_fma_f32 v[6:7], v[10:11], v[8:9], v[6:7] op_sel_hi:[0,1,1]
	global_store_dwordx2 v[14:15], v[6:7], off
	v_mov_b32_e32 v6, 0
.LBB14_76:                              ;   in Loop: Header=BB14_14 Depth=1
	s_or_b64 exec, exec, s[26:27]
	s_movk_i32 s26, 0x47
	v_cmp_gt_i32_e32 vcc, s26, v6
	s_mov_b64 s[26:27], -1
	s_and_saveexec_b64 s[28:29], vcc
; %bb.77:                               ;   in Loop: Header=BB14_14 Depth=1
	v_cmp_eq_u32_e32 vcc, 0, v6
	s_orn2_b64 s[26:27], vcc, exec
; %bb.78:                               ;   in Loop: Header=BB14_14 Depth=1
	s_or_b64 exec, exec, s[28:29]
	s_and_b64 exec, exec, s[26:27]
	;; [unrolled: 49-line block ×6, first 2 shown]
	s_cbranch_execz .LBB14_101
; %bb.99:                               ;   in Loop: Header=BB14_14 Depth=1
	v_add_u32_e32 v1, s81, v122
	v_cmp_gt_i32_e32 vcc, s52, v1
	s_and_b64 exec, exec, vcc
	s_cbranch_execz .LBB14_101
; %bb.100:                              ;   in Loop: Header=BB14_14 Depth=1
	v_add_u32_e32 v6, 0, v135
	v_add_u32_e32 v10, 0xc0, v6
	v_add_u32_e32 v12, v141, v135
	ds_read2st64_b32 v[6:7], v10 offset1:13
	ds_read2st64_b32 v[8:9], v12 offset1:13
	ds_read2st64_b32 v[10:11], v10 offset0:26 offset1:39
	ds_read2st64_b32 v[12:13], v12 offset0:26 offset1:39
	v_readlane_b32 s26, v186, 40
	s_waitcnt lgkmcnt(2)
	v_cvt_f32_f16_e32 v16, v8
	v_cvt_f32_f16_sdwa v17, v8 dst_sel:DWORD dst_unused:UNUSED_PAD src0_sel:WORD_1
	v_cvt_f32_f16_e32 v8, v9
	v_cvt_f32_f16_sdwa v9, v9 dst_sel:DWORD dst_unused:UNUSED_PAD src0_sel:WORD_1
	v_mad_u64_u32 v[14:15], s[26:27], v1, s26, v[42:43]
	v_pk_fma_f32 v[16:17], v[6:7], v[16:17], 0 op_sel_hi:[0,1,0]
	v_mov_b32_e32 v6, v7
	v_pk_fma_f32 v[6:7], v[6:7], v[8:9], v[16:17] op_sel_hi:[0,1,1]
	s_waitcnt lgkmcnt(0)
	v_cvt_f32_f16_e32 v8, v12
	v_cvt_f32_f16_sdwa v9, v12 dst_sel:DWORD dst_unused:UNUSED_PAD src0_sel:WORD_1
	v_ashrrev_i32_e32 v15, 31, v14
	v_lshl_add_u64 v[14:15], v[14:15], 3, s[92:93]
	v_pk_fma_f32 v[6:7], v[10:11], v[8:9], v[6:7] op_sel_hi:[0,1,1]
	v_cvt_f32_f16_e32 v8, v13
	v_cvt_f32_f16_sdwa v9, v13 dst_sel:DWORD dst_unused:UNUSED_PAD src0_sel:WORD_1
	v_mov_b32_e32 v10, v11
	v_pk_fma_f32 v[6:7], v[10:11], v[8:9], v[6:7] op_sel_hi:[0,1,1]
	global_store_dwordx2 v[14:15], v[6:7], off
.LBB14_101:                             ;   in Loop: Header=BB14_14 Depth=1
	s_or_b64 exec, exec, s[24:25]
	v_add_u32_e32 v6, s81, v115
	v_cmp_gt_i32_e32 vcc, s52, v6
	v_mov_b32_e32 v1, 0x47
	s_and_saveexec_b64 s[24:25], vcc
	s_cbranch_execz .LBB14_103
; %bb.102:                              ;   in Loop: Header=BB14_14 Depth=1
	v_add_u32_e32 v1, 0, v136
	v_add_u32_e32 v7, v142, v136
	v_add_u32_e32 v1, 0xc0, v1
	v_add_u32_e32 v7, 0x80, v7
	ds_read2st64_b32 v[8:9], v1 offset1:13
	ds_read2st64_b32 v[10:11], v7 offset1:13
	ds_read2st64_b32 v[12:13], v1 offset0:26 offset1:39
	ds_read2st64_b32 v[14:15], v7 offset0:26 offset1:39
	v_readlane_b32 s26, v186, 40
	v_mov_b32_e32 v1, 0
	s_waitcnt lgkmcnt(2)
	v_cvt_f32_f16_e32 v16, v10
	v_cvt_f32_f16_sdwa v17, v10 dst_sel:DWORD dst_unused:UNUSED_PAD src0_sel:WORD_1
	v_cvt_f32_f16_e32 v10, v11
	v_cvt_f32_f16_sdwa v11, v11 dst_sel:DWORD dst_unused:UNUSED_PAD src0_sel:WORD_1
	v_mul_lo_u32 v6, v6, s26
	v_pk_fma_f32 v[16:17], v[8:9], v[16:17], 0 op_sel_hi:[0,1,0]
	v_mov_b32_e32 v8, v9
	v_pk_fma_f32 v[8:9], v[8:9], v[10:11], v[16:17] op_sel_hi:[0,1,1]
	s_waitcnt lgkmcnt(0)
	v_cvt_f32_f16_e32 v10, v14
	v_cvt_f32_f16_sdwa v11, v14 dst_sel:DWORD dst_unused:UNUSED_PAD src0_sel:WORD_1
	v_ashrrev_i32_e32 v7, 31, v6
	v_lshl_add_u64 v[6:7], v[6:7], 0, v[44:45]
	v_lshl_add_u64 v[6:7], v[6:7], 3, s[92:93]
	v_pk_fma_f32 v[8:9], v[12:13], v[10:11], v[8:9] op_sel_hi:[0,1,1]
	v_cvt_f32_f16_e32 v10, v15
	v_cvt_f32_f16_sdwa v11, v15 dst_sel:DWORD dst_unused:UNUSED_PAD src0_sel:WORD_1
	v_mov_b32_e32 v12, v13
	v_pk_fma_f32 v[8:9], v[12:13], v[10:11], v[8:9] op_sel_hi:[0,1,1]
	global_store_dwordx2 v[6:7], v[8:9], off offset:256
.LBB14_103:                             ;   in Loop: Header=BB14_14 Depth=1
	s_or_b64 exec, exec, s[24:25]
	s_movk_i32 s24, 0x47
	v_cmp_gt_i32_e32 vcc, s24, v1
	s_mov_b64 s[24:25], -1
	s_and_saveexec_b64 s[26:27], vcc
; %bb.104:                              ;   in Loop: Header=BB14_14 Depth=1
	v_cmp_eq_u32_e32 vcc, 0, v1
	s_orn2_b64 s[24:25], vcc, exec
; %bb.105:                              ;   in Loop: Header=BB14_14 Depth=1
	s_or_b64 exec, exec, s[26:27]
	s_and_b64 exec, exec, s[24:25]
	s_cbranch_execz .LBB14_118
; %bb.106:                              ;   in Loop: Header=BB14_14 Depth=1
	v_add_u32_e32 v6, s81, v123
	v_cmp_gt_i32_e32 vcc, s52, v6
	v_mov_b32_e32 v1, 0x47
	s_and_saveexec_b64 s[24:25], vcc
	s_cbranch_execz .LBB14_108
; %bb.107:                              ;   in Loop: Header=BB14_14 Depth=1
	v_add_u32_e32 v1, 0, v137
	v_add_u32_e32 v7, v142, v137
	v_add_u32_e32 v1, 0xc0, v1
	v_add_u32_e32 v7, 0x80, v7
	ds_read2st64_b32 v[8:9], v1 offset1:13
	ds_read2st64_b32 v[10:11], v7 offset1:13
	ds_read2st64_b32 v[12:13], v1 offset0:26 offset1:39
	ds_read2st64_b32 v[14:15], v7 offset0:26 offset1:39
	v_readlane_b32 s26, v186, 40
	v_mov_b32_e32 v1, 0
	s_waitcnt lgkmcnt(2)
	v_cvt_f32_f16_e32 v16, v10
	v_cvt_f32_f16_sdwa v17, v10 dst_sel:DWORD dst_unused:UNUSED_PAD src0_sel:WORD_1
	v_cvt_f32_f16_e32 v10, v11
	v_cvt_f32_f16_sdwa v11, v11 dst_sel:DWORD dst_unused:UNUSED_PAD src0_sel:WORD_1
	v_mul_lo_u32 v6, v6, s26
	v_pk_fma_f32 v[16:17], v[8:9], v[16:17], 0 op_sel_hi:[0,1,0]
	v_mov_b32_e32 v8, v9
	v_pk_fma_f32 v[8:9], v[8:9], v[10:11], v[16:17] op_sel_hi:[0,1,1]
	s_waitcnt lgkmcnt(0)
	v_cvt_f32_f16_e32 v10, v14
	v_cvt_f32_f16_sdwa v11, v14 dst_sel:DWORD dst_unused:UNUSED_PAD src0_sel:WORD_1
	v_ashrrev_i32_e32 v7, 31, v6
	v_lshl_add_u64 v[6:7], v[6:7], 0, v[44:45]
	v_lshl_add_u64 v[6:7], v[6:7], 3, s[92:93]
	v_pk_fma_f32 v[8:9], v[12:13], v[10:11], v[8:9] op_sel_hi:[0,1,1]
	v_cvt_f32_f16_e32 v10, v15
	v_cvt_f32_f16_sdwa v11, v15 dst_sel:DWORD dst_unused:UNUSED_PAD src0_sel:WORD_1
	v_mov_b32_e32 v12, v13
	v_pk_fma_f32 v[8:9], v[12:13], v[10:11], v[8:9] op_sel_hi:[0,1,1]
	global_store_dwordx2 v[6:7], v[8:9], off offset:256
.LBB14_108:                             ;   in Loop: Header=BB14_14 Depth=1
	s_or_b64 exec, exec, s[24:25]
	s_movk_i32 s24, 0x47
	v_cmp_gt_i32_e32 vcc, s24, v1
	s_mov_b64 s[24:25], -1
	s_and_saveexec_b64 s[26:27], vcc
; %bb.109:                              ;   in Loop: Header=BB14_14 Depth=1
	v_cmp_eq_u32_e32 vcc, 0, v1
	s_orn2_b64 s[24:25], vcc, exec
; %bb.110:                              ;   in Loop: Header=BB14_14 Depth=1
	s_or_b64 exec, exec, s[26:27]
	s_and_b64 exec, exec, s[24:25]
	s_cbranch_execz .LBB14_118
; %bb.111:                              ;   in Loop: Header=BB14_14 Depth=1
	;; [unrolled: 51-line block ×3, first 2 shown]
	v_add_u32_e32 v1, s81, v125
	v_cmp_gt_i32_e32 vcc, s52, v1
	s_and_b64 exec, exec, vcc
	s_cbranch_execz .LBB14_118
; %bb.117:                              ;   in Loop: Header=BB14_14 Depth=1
	v_readlane_b32 s24, v186, 40
	v_add_u32_e32 v7, v142, v139
	v_add_u32_e32 v7, 0x80, v7
	v_mul_lo_u32 v6, v1, s24
	v_add_u32_e32 v1, 0, v139
	v_add_u32_e32 v1, 0xc0, v1
	ds_read2st64_b32 v[8:9], v1 offset1:13
	ds_read2st64_b32 v[10:11], v7 offset1:13
	ds_read2st64_b32 v[12:13], v1 offset0:26 offset1:39
	ds_read2st64_b32 v[14:15], v7 offset0:26 offset1:39
	v_ashrrev_i32_e32 v7, 31, v6
	v_lshl_add_u64 v[6:7], v[6:7], 0, v[44:45]
	s_waitcnt lgkmcnt(2)
	v_cvt_f32_f16_e32 v16, v10
	v_cvt_f32_f16_sdwa v17, v10 dst_sel:DWORD dst_unused:UNUSED_PAD src0_sel:WORD_1
	v_cvt_f32_f16_e32 v10, v11
	v_cvt_f32_f16_sdwa v11, v11 dst_sel:DWORD dst_unused:UNUSED_PAD src0_sel:WORD_1
	v_lshl_add_u64 v[6:7], v[6:7], 3, s[92:93]
	v_pk_fma_f32 v[16:17], v[8:9], v[16:17], 0 op_sel_hi:[0,1,0]
	v_mov_b32_e32 v8, v9
	v_pk_fma_f32 v[8:9], v[8:9], v[10:11], v[16:17] op_sel_hi:[0,1,1]
	s_waitcnt lgkmcnt(0)
	v_cvt_f32_f16_e32 v10, v14
	v_cvt_f32_f16_sdwa v11, v14 dst_sel:DWORD dst_unused:UNUSED_PAD src0_sel:WORD_1
	v_pk_fma_f32 v[8:9], v[12:13], v[10:11], v[8:9] op_sel_hi:[0,1,1]
	v_cvt_f32_f16_e32 v10, v15
	v_cvt_f32_f16_sdwa v11, v15 dst_sel:DWORD dst_unused:UNUSED_PAD src0_sel:WORD_1
	v_mov_b32_e32 v12, v13
	v_pk_fma_f32 v[8:9], v[12:13], v[10:11], v[8:9] op_sel_hi:[0,1,1]
	global_store_dwordx2 v[6:7], v[8:9], off offset:256
.LBB14_118:                             ;   in Loop: Header=BB14_14 Depth=1
	s_or_b64 exec, exec, s[22:23]
	s_barrier
	s_branch .LBB14_13
.LBB14_119:                             ;   in Loop: Header=BB14_14 Depth=1
	s_lshl_b32 s72, s72, 4
	v_add_u32_e32 v1, s72, v47
	v_cmp_le_i32_e32 vcc, s52, v1
	s_and_saveexec_b64 s[22:23], vcc
	s_xor_b64 s[22:23], exec, s[22:23]
; %bb.120:                              ;   in Loop: Header=BB14_14 Depth=1
	v_add_u32_e32 v1, v141, v155
	ds_write_b32 v1, v53
                                        ; implicit-def: $vgpr1
; %bb.121:                              ;   in Loop: Header=BB14_14 Depth=1
	s_andn2_saveexec_b64 s[22:23], s[22:23]
	s_cbranch_execz .LBB14_123
; %bb.122:                              ;   in Loop: Header=BB14_14 Depth=1
	v_readlane_b32 s24, v186, 15
	s_nop 1
	v_mad_u64_u32 v[6:7], s[24:25], v1, s24, v[42:43]
	v_ashrrev_i32_e32 v7, 31, v6
	v_lshl_add_u64 v[6:7], v[6:7], 3, s[82:83]
	global_load_dwordx2 v[6:7], v[6:7], off
	s_waitcnt vmcnt(0)
	v_cvt_pk_f16_f32 v1, v6, v7
	v_pk_mul_f16 v1, v1, v140
	v_add_u32_e32 v6, v141, v155
	ds_write_b32 v6, v1
.LBB14_123:                             ;   in Loop: Header=BB14_14 Depth=1
	s_or_b64 exec, exec, s[22:23]
	v_add_u32_e32 v1, s72, v156
	v_cmp_le_i32_e32 vcc, s52, v1
	s_and_saveexec_b64 s[22:23], vcc
	s_xor_b64 s[22:23], exec, s[22:23]
; %bb.124:                              ;   in Loop: Header=BB14_14 Depth=1
	v_add_u32_e32 v1, v141, v155
	ds_write_b32 v1, v53 offset:1664
                                        ; implicit-def: $vgpr1
; %bb.125:                              ;   in Loop: Header=BB14_14 Depth=1
	s_andn2_saveexec_b64 s[22:23], s[22:23]
	s_cbranch_execz .LBB14_127
; %bb.126:                              ;   in Loop: Header=BB14_14 Depth=1
	v_readlane_b32 s24, v186, 15
	s_nop 1
	v_mad_u64_u32 v[6:7], s[24:25], v1, s24, v[42:43]
	v_ashrrev_i32_e32 v7, 31, v6
	v_lshl_add_u64 v[6:7], v[6:7], 3, s[82:83]
	global_load_dwordx2 v[6:7], v[6:7], off
	s_waitcnt vmcnt(0)
	v_cvt_pk_f16_f32 v1, v6, v7
	v_pk_mul_f16 v1, v1, v140
	v_add_u32_e32 v6, v141, v155
	ds_write_b32 v6, v1 offset:1664
.LBB14_127:                             ;   in Loop: Header=BB14_14 Depth=1
	s_or_b64 exec, exec, s[22:23]
	v_add_u32_e32 v1, s72, v51
	v_cmp_le_i32_e32 vcc, s52, v1
	s_and_saveexec_b64 s[22:23], vcc
	s_xor_b64 s[22:23], exec, s[22:23]
; %bb.128:                              ;   in Loop: Header=BB14_14 Depth=1
	ds_write_b32 v143, v53 offset:128
                                        ; implicit-def: $vgpr1
; %bb.129:                              ;   in Loop: Header=BB14_14 Depth=1
	s_andn2_saveexec_b64 s[22:23], s[22:23]
	s_cbranch_execz .LBB14_131
; %bb.130:                              ;   in Loop: Header=BB14_14 Depth=1
	v_readlane_b32 s24, v186, 15
	s_nop 1
	v_mul_lo_u32 v6, v1, s24
	v_ashrrev_i32_e32 v7, 31, v6
	v_lshl_add_u64 v[6:7], v[6:7], 0, v[44:45]
	v_lshl_add_u64 v[6:7], v[6:7], 3, s[82:83]
	global_load_dwordx2 v[6:7], v[6:7], off offset:256
	s_waitcnt vmcnt(0)
	v_cvt_pk_f16_f32 v1, v6, v7
	v_pk_mul_f16 v1, v1, v140
	ds_write_b32 v143, v1 offset:128
.LBB14_131:                             ;   in Loop: Header=BB14_14 Depth=1
	s_or_b64 exec, exec, s[22:23]
	s_waitcnt lgkmcnt(0)
	s_barrier
	ds_read2_b64 v[14:17], v102 offset1:4
	ds_read2_b64 v[10:13], v102 offset0:8 offset1:12
	ds_read2_b64 v[6:9], v102 offset0:16 offset1:20
	s_cmp_lt_i32 s79, 2
	s_waitcnt lgkmcnt(0)
	s_barrier
	s_cbranch_scc1 .LBB14_140
; %bb.132:                              ;   in Loop: Header=BB14_14 Depth=1
	v_add_u32_e32 v1, s72, v43
	v_mul_hi_u32 v18, s68, v1
	v_add_u32_e32 v18, v1, v18
	v_lshrrev_b32_e32 v18, s69, v18
	v_mul_lo_u32 v18, v18, s52
	v_sub_u32_e32 v1, v1, v18
	v_add_u32_e32 v18, s72, v144
	v_mul_hi_u32 v19, s68, v18
	v_add_u32_e32 v19, v18, v19
	v_lshrrev_b32_e32 v19, s69, v19
	v_mul_lo_u32 v19, v19, s52
	v_sub_u32_e32 v20, v18, v19
	;; [unrolled: 6-line block ×4, first 2 shown]
	v_and_b32_e32 v18, 64, v161
	v_add_u32_e32 v18, 64, v18
	v_xor_b32_e32 v19, 32, v161
	v_cmp_lt_i32_e32 vcc, v19, v18
	v_readlane_b32 s22, v186, 52
	s_add_i32 s28, s79, -1
	v_cndmask_b32_e32 v19, v161, v19, vcc
	v_lshlrev_b32_e32 v52, 2, v19
	v_xor_b32_e32 v19, 16, v161
	v_cmp_lt_i32_e32 vcc, v19, v18
	v_readlane_b32 s23, v186, 53
	s_mov_b32 s26, s22
	v_cndmask_b32_e32 v18, v161, v19, vcc
	v_lshlrev_b32_e32 v165, 2, v18
	v_mov_b64_e32 v[18:19], s[96:97]
	s_cmp_lg_u64 s[96:97], 0
	v_mad_i64_i32 v[24:25], s[22:23], s26, v1, v[18:19]
	v_mad_i64_i32 v[26:27], s[22:23], s26, v20, v[18:19]
	;; [unrolled: 1-line block ×4, first 2 shown]
	s_cselect_b64 s[24:25], -1, 0
	s_add_u32 s22, s86, s62
	s_addc_u32 s23, s73, s84
	v_lshl_add_u64 v[32:33], v[70:71], 0, s[22:23]
	v_lshl_add_u64 v[34:35], v[76:77], 0, s[22:23]
	;; [unrolled: 1-line block ×3, first 2 shown]
	s_add_u32 s22, s31, s70
	s_addc_u32 s23, s30, s80
	v_mov_b32_e32 v22, v84
	v_mov_b32_e32 v23, v84
	v_lshl_add_u64 v[38:39], v[74:75], 0, s[22:23]
	v_lshl_add_u64 v[40:41], v[80:81], 0, s[22:23]
	;; [unrolled: 1-line block ×3, first 2 shown]
	v_mov_b32_e32 v88, 0
	v_mov_b32_e32 v168, 0xfeffffff
	;; [unrolled: 1-line block ×3, first 2 shown]
	s_mov_b32 s29, s28
	v_mov_b32_e32 v89, 0
	v_mov_b32_e32 v95, 0
	;; [unrolled: 1-line block ×11, first 2 shown]
	v_cndmask_b32_e64 v1, 0, 1, s[24:25]
	v_cmp_ne_u32_e64 s[22:23], 1, v1
	s_andn2_b64 vcc, exec, s[24:25]
	s_cbranch_vccnz .LBB14_136
.LBB14_133:                             ;   in Loop: Header=BB14_14 Depth=1
	v_mov_b32_e32 v1, 0
	v_mov_b32_e32 v18, 0
	;; [unrolled: 1-line block ×4, first 2 shown]
	s_and_saveexec_b64 s[26:27], s[0:1]
	s_cbranch_execz .LBB14_135
; %bb.134:                              ;   in Loop: Header=BB14_14 Depth=1
	v_lshl_add_u64 v[18:19], v[24:25], 0, v[56:57]
	global_load_ushort v1, v[18:19], off
	v_lshl_add_u64 v[18:19], v[26:27], 0, v[56:57]
	v_lshl_add_u64 v[20:21], v[28:29], 0, v[56:57]
	global_load_ushort v18, v[18:19], off
	s_nop 0
	global_load_ushort v19, v[20:21], off
	v_lshl_add_u64 v[20:21], v[30:31], 0, v[56:57]
	global_load_ushort v20, v[20:21], off
.LBB14_135:                             ;   in Loop: Header=BB14_14 Depth=1
	s_or_b64 exec, exec, s[26:27]
	s_waitcnt vmcnt(3)
	ds_write_b16 v126, v1 offset:13312
	s_waitcnt vmcnt(2)
	ds_write_b16 v145, v18 offset:13312
	;; [unrolled: 2-line block ×4, first 2 shown]
.LBB14_136:                             ;   Parent Loop BB14_14 Depth=1
                                        ; =>  This Inner Loop Header: Depth=2
	v_mov_b32_e32 v1, s89
	v_cndmask_b32_e64 v19, v1, v39, s[6:7]
	v_cndmask_b32_e64 v18, v162, v38, s[6:7]
	scratch_store_dwordx4 off, v[2:5], off
	flat_load_dwordx4 v[18:21], v[18:19]
	v_lshl_add_u64 v[170:171], v[40:41], 0, v[72:73]
	v_cndmask_b32_e64 v171, v1, v171, s[8:9]
	v_cndmask_b32_e64 v170, v162, v170, s[8:9]
	s_and_b64 vcc, exec, s[22:23]
	s_waitcnt vmcnt(0) lgkmcnt(0)
	ds_write_b128 v104, v[18:21]
	flat_load_dwordx4 v[18:21], v[170:171]
	v_lshl_add_u64 v[170:171], v[86:87], 0, v[72:73]
	v_cndmask_b32_e64 v171, v1, v171, s[10:11]
	v_cndmask_b32_e64 v170, v162, v170, s[10:11]
	s_waitcnt vmcnt(0) lgkmcnt(0)
	ds_write_b128 v106, v[18:21]
	flat_load_dwordx4 v[18:21], v[170:171]
	s_waitcnt vmcnt(0) lgkmcnt(0)
	ds_write_b128 v151, v[18:21]
	s_waitcnt lgkmcnt(0)
	s_barrier
	ds_read2_b64 v[18:21], v107 offset1:4
	s_waitcnt lgkmcnt(0)
	v_mfma_f32_16x16x16_f16 v[170:173], v[18:19], v[14:15], 0
	v_mfma_f32_16x16x16_f16 v[18:21], v[20:21], v[16:17], v[170:173]
	s_nop 6
	ds_read2_b64 v[170:173], v107 offset0:8 offset1:12
	s_waitcnt lgkmcnt(0)
	v_mfma_f32_16x16x16_f16 v[18:21], v[170:171], v[10:11], v[18:21]
	v_mfma_f32_16x16x16_f16 v[18:21], v[172:173], v[12:13], v[18:21]
	ds_read2_b64 v[170:173], v107 offset0:16 offset1:20
	s_waitcnt lgkmcnt(0)
	s_barrier
	v_mfma_f32_16x16x16_f16 v[18:21], v[170:171], v[6:7], v[18:21]
	v_mfma_f32_16x16x16_f16 v[18:21], v[172:173], v[8:9], v[18:21]
	s_cbranch_vccnz .LBB14_138
; %bb.137:                              ;   in Loop: Header=BB14_136 Depth=2
	v_add_u32_e32 v1, 0x3400, v109
	ds_read2_b32 v[170:171], v1 offset1:1
	v_mov_b32_e32 v85, v84
	s_waitcnt lgkmcnt(0)
	v_cvt_f32_f16_e32 v172, v170
	v_cvt_f32_f16_e32 v174, v171
	v_cvt_f32_f16_sdwa v175, v171 dst_sel:DWORD dst_unused:UNUSED_PAD src0_sel:WORD_1
	v_cvt_f32_f16_sdwa v173, v170 dst_sel:DWORD dst_unused:UNUSED_PAD src0_sel:WORD_1
	v_pk_fma_f32 v[20:21], v[84:85], v[174:175], v[20:21]
	v_pk_fma_f32 v[18:19], v[22:23], v[172:173], v[18:19]
.LBB14_138:                             ;   in Loop: Header=BB14_136 Depth=2
	s_nop 0
	v_add_f32_e32 v1, 0x40051340, v18
	v_max_f32_e32 v85, v168, v168
	v_max_f32_e32 v1, v85, v1
	v_cndmask_b32_e64 v1, v168, v1, s[12:13]
	v_add_f32_e32 v85, 0x40051340, v19
	v_max_f32_e32 v166, v1, v1
	v_max_f32_e32 v85, v166, v85
	v_cndmask_b32_e64 v1, v1, v85, s[14:15]
	;; [unrolled: 4-line block ×4, first 2 shown]
	ds_bpermute_b32 v85, v52, v1
	v_max_f32_e32 v1, v1, v1
	scratch_store_dwordx4 off, v[2:5], off
	s_add_i32 s29, s29, -1
	v_lshl_add_u64 v[24:25], v[24:25], 0, s[98:99]
	s_waitcnt lgkmcnt(0)
	v_max_f32_e32 v85, v85, v85
	v_max_f32_e32 v1, v1, v85
	ds_bpermute_b32 v85, v165, v1
	v_lshl_add_u64 v[26:27], v[26:27], 0, s[98:99]
	v_lshl_add_u64 v[28:29], v[28:29], 0, s[98:99]
	;; [unrolled: 1-line block ×4, first 2 shown]
	s_waitcnt lgkmcnt(0)
	v_max_f32_e32 v85, v85, v85
	v_max_f32_e32 v85, v1, v85
	v_sub_f32_e32 v1, v18, v85
	v_mul_f32_e32 v18, 0x3fb8aa3b, v1
	v_fma_f32 v166, v1, s4, -v18
	v_rndne_f32_e32 v169, v18
	v_fmac_f32_e32 v166, 0x32a5705f, v1
	v_sub_f32_e32 v18, v18, v169
	v_add_f32_e32 v18, v18, v166
	v_exp_f32_e32 v18, v18
	v_cvt_i32_f32_e32 v166, v169
	v_cmp_ngt_f32_e32 vcc, s5, v1
	v_sub_f32_e32 v20, v20, v85
	v_lshl_add_u64 v[40:41], v[40:41], 0, s[2:3]
	v_ldexp_f32 v18, v18, v166
	v_cndmask_b32_e32 v18, 0, v18, vcc
	v_cmp_nlt_f32_e32 vcc, s53, v1
	v_lshl_add_u64 v[86:87], v[86:87], 0, s[2:3]
	s_cmp_lg_u32 s29, 0
	v_cndmask_b32_e32 v1, v159, v18, vcc
	v_cndmask_b32_e64 v18, 0, v1, s[12:13]
	v_sub_f32_e32 v1, v19, v85
	v_mul_f32_e32 v19, 0x3fb8aa3b, v1
	v_fma_f32 v166, v1, s4, -v19
	v_rndne_f32_e32 v169, v19
	v_fmac_f32_e32 v166, 0x32a5705f, v1
	v_sub_f32_e32 v19, v19, v169
	v_add_f32_e32 v19, v19, v166
	v_exp_f32_e32 v19, v19
	v_cvt_i32_f32_e32 v166, v169
	v_cmp_ngt_f32_e32 vcc, s5, v1
	v_ldexp_f32 v19, v19, v166
	s_nop 0
	v_cndmask_b32_e32 v19, 0, v19, vcc
	v_cmp_nlt_f32_e32 vcc, s53, v1
	v_mov_b32_e32 v1, s87
	s_nop 0
	v_cndmask_b32_e32 v19, v159, v19, vcc
	v_add_f32_e32 v166, v19, v18
	v_cndmask_b32_e64 v1, v1, v19, s[14:15]
	v_cndmask_b32_e64 v19, v18, v166, s[14:15]
	v_mul_f32_e32 v166, 0x3fb8aa3b, v20
	v_fma_f32 v169, v20, s4, -v166
	v_rndne_f32_e32 v170, v166
	v_fmac_f32_e32 v169, 0x32a5705f, v20
	v_sub_f32_e32 v166, v166, v170
	v_add_f32_e32 v166, v166, v169
	v_exp_f32_e32 v166, v166
	v_cvt_i32_f32_e32 v169, v170
	v_cmp_ngt_f32_e32 vcc, s5, v20
	v_cvt_pk_f16_f32 v182, v18, v1
	v_ldexp_f32 v166, v166, v169
	v_cndmask_b32_e32 v166, 0, v166, vcc
	v_cmp_nlt_f32_e32 vcc, s53, v20
	v_mov_b32_e32 v20, s87
	s_nop 0
	v_cndmask_b32_e32 v166, v159, v166, vcc
	v_add_f32_e32 v169, v19, v166
	v_cndmask_b32_e64 v169, v19, v169, s[16:17]
	v_sub_f32_e32 v19, v21, v85
	v_mul_f32_e32 v21, 0x3fb8aa3b, v19
	v_cndmask_b32_e64 v20, v20, v166, s[16:17]
	v_fma_f32 v166, v19, s4, -v21
	v_rndne_f32_e32 v170, v21
	v_fmac_f32_e32 v166, 0x32a5705f, v19
	v_sub_f32_e32 v21, v21, v170
	v_add_f32_e32 v21, v21, v166
	v_exp_f32_e32 v21, v21
	v_cvt_i32_f32_e32 v166, v170
	v_cmp_ngt_f32_e32 vcc, s5, v19
	v_ldexp_f32 v21, v21, v166
	s_nop 0
	v_cndmask_b32_e32 v21, 0, v21, vcc
	v_cmp_nlt_f32_e32 vcc, s53, v19
	v_mov_b32_e32 v19, s87
	s_nop 0
	v_cndmask_b32_e32 v21, v159, v21, vcc
	v_cndmask_b32_e64 v166, v19, v21, s[18:19]
	v_sub_f32_e32 v19, v168, v85
	v_add_f32_e32 v170, v169, v21
	v_mul_f32_e32 v168, 0x3fb8aa3b, v19
	v_cndmask_b32_e64 v21, v169, v170, s[18:19]
	v_fma_f32 v169, v19, s4, -v168
	v_rndne_f32_e32 v170, v168
	v_fmac_f32_e32 v169, 0x32a5705f, v19
	v_sub_f32_e32 v168, v168, v170
	v_add_f32_e32 v168, v168, v169
	v_exp_f32_e32 v168, v168
	v_cvt_i32_f32_e32 v169, v170
	v_cmp_ngt_f32_e32 vcc, s5, v19
	v_cvt_pk_f16_f32 v183, v20, v166
	v_ldexp_f32 v168, v168, v169
	v_cndmask_b32_e32 v168, 0, v168, vcc
	v_cmp_nlt_f32_e32 vcc, s53, v19
	s_nop 1
	v_cndmask_b32_e32 v168, v159, v168, vcc
	v_cmp_le_f32_e32 vcc, s33, v19
	s_nop 1
	v_cndmask_b32_e32 v19, 0, v168, vcc
	v_fmac_f32_e32 v21, v167, v19
	v_cvt_f16_f32_e32 v19, v19
	v_mul_u32_u24_e32 v19, 0x10001, v19
	v_pk_mul_f16 v167, v163, v19
	v_pk_mul_f16 v163, v96, v19
	;; [unrolled: 1-line block ×5, first 2 shown]
	v_mov_b32_e32 v92, s89
	v_pk_mul_f16 v168, v164, v19
	v_pk_mul_f16 v164, v97, v19
	;; [unrolled: 1-line block ×7, first 2 shown]
	v_cndmask_b32_e64 v91, v92, v33, s[6:7]
	v_cndmask_b32_e64 v90, v162, v32, s[6:7]
	flat_load_dwordx4 v[170:173], v[90:91]
	v_lshl_add_u64 v[90:91], v[34:35], 0, v[72:73]
	v_cndmask_b32_e64 v91, v92, v91, s[8:9]
	v_cndmask_b32_e64 v90, v162, v90, s[8:9]
	v_cvt_f32_f16_sdwa v175, v97 dst_sel:DWORD dst_unused:UNUSED_PAD src0_sel:WORD_1
	v_cvt_f32_f16_e32 v176, v96
	v_cvt_f32_f16_sdwa v177, v96 dst_sel:DWORD dst_unused:UNUSED_PAD src0_sel:WORD_1
	v_cvt_f32_f16_e32 v178, v95
	;; [unrolled: 2-line block ×3, first 2 shown]
	v_cvt_f32_f16_sdwa v181, v94 dst_sel:DWORD dst_unused:UNUSED_PAD src0_sel:WORD_1
	v_lshl_add_u64 v[32:33], v[32:33], 0, s[90:91]
	v_lshl_add_u64 v[34:35], v[34:35], 0, s[90:91]
	s_waitcnt vmcnt(0) lgkmcnt(0)
	ds_write_b128 v104, v[170:173]
	flat_load_dwordx4 v[170:173], v[90:91]
	v_lshl_add_u64 v[90:91], v[36:37], 0, v[72:73]
	v_cndmask_b32_e64 v91, v92, v91, s[10:11]
	v_cndmask_b32_e64 v90, v162, v90, s[10:11]
	v_lshl_add_u64 v[36:37], v[36:37], 0, s[90:91]
	s_waitcnt vmcnt(0) lgkmcnt(0)
	ds_write_b128 v106, v[170:173]
	flat_load_dwordx4 v[170:173], v[90:91]
	s_waitcnt vmcnt(0) lgkmcnt(0)
	ds_write_b128 v151, v[170:173]
	s_waitcnt lgkmcnt(0)
	s_barrier
	ds_read_u16 v1, v110 offset:208
	ds_read_u16 v18, v111
	ds_read_u16 v20, v111 offset:32
	ds_read_u16 v90, v112
	ds_read_u16 v92, v112 offset:32
	v_cvt_f32_f16_e32 v170, v168
	v_cvt_f32_f16_sdwa v171, v168 dst_sel:DWORD dst_unused:UNUSED_PAD src0_sel:WORD_1
	v_cvt_f32_f16_e32 v172, v167
	s_waitcnt lgkmcnt(1)
	v_perm_b32 v91, v90, v18, s65
	ds_read_u16 v18, v110
	ds_read_u16 v174, v110 offset:32
	v_cvt_f32_f16_sdwa v173, v167 dst_sel:DWORD dst_unused:UNUSED_PAD src0_sel:WORD_1
	s_waitcnt lgkmcnt(1)
	v_perm_b32 v90, v1, v18, s65
	ds_read_u16 v1, v110 offset:240
	s_nop 0
	v_mfma_f32_16x16x16_f16 v[166:169], v[90:91], v[182:183], v[170:173]
	v_perm_b32 v91, v92, v20, s65
	s_waitcnt lgkmcnt(0)
	v_perm_b32 v90, v1, v174, s65
	v_cvt_f32_f16_e32 v170, v164
	v_cvt_f32_f16_sdwa v171, v164 dst_sel:DWORD dst_unused:UNUSED_PAD src0_sel:WORD_1
	v_cvt_f32_f16_e32 v172, v163
	v_cvt_f32_f16_sdwa v173, v163 dst_sel:DWORD dst_unused:UNUSED_PAD src0_sel:WORD_1
	v_cvt_f32_f16_e32 v174, v97
	v_cvt_f32_f16_e32 v92, v89
	v_mfma_f32_16x16x16_f16 v[170:173], v[90:91], v[182:183], v[170:173]
	ds_read_u16 v1, v110 offset:64
	ds_read_u16 v18, v110 offset:272
	ds_read_u16 v20, v111 offset:64
	ds_read_u16 v90, v112 offset:64
	v_cvt_pk_f16_f32 v164, v166, v167
	v_cvt_pk_f16_f32 v163, v168, v169
	s_waitcnt lgkmcnt(0)
	v_perm_b32 v91, v90, v20, s65
	v_perm_b32 v90, v18, v1, s65
	s_nop 1
	v_mfma_f32_16x16x16_f16 v[174:177], v[90:91], v[182:183], v[174:177]
	ds_read_u16 v1, v110 offset:96
	ds_read_u16 v18, v110 offset:304
	;; [unrolled: 1-line block ×4, first 2 shown]
	s_waitcnt lgkmcnt(0)
	v_perm_b32 v91, v90, v20, s65
	v_perm_b32 v90, v18, v1, s65
	s_nop 1
	v_mfma_f32_16x16x16_f16 v[94:97], v[90:91], v[182:183], v[178:181]
	ds_read_u16 v1, v110 offset:128
	ds_read_u16 v18, v110 offset:336
	;; [unrolled: 1-line block ×4, first 2 shown]
	v_cvt_f32_f16_sdwa v91, v93 dst_sel:DWORD dst_unused:UNUSED_PAD src0_sel:WORD_1
	s_waitcnt lgkmcnt(2)
	v_perm_b32 v178, v18, v1, s65
	s_waitcnt lgkmcnt(0)
	v_perm_b32 v179, v90, v20, s65
	v_cvt_f32_f16_e32 v90, v93
	v_cvt_f32_f16_sdwa v93, v89 dst_sel:DWORD dst_unused:UNUSED_PAD src0_sel:WORD_1
	ds_read_u16 v1, v110 offset:160
	ds_read_u16 v18, v110 offset:368
	;; [unrolled: 1-line block ×4, first 2 shown]
	v_mfma_f32_16x16x16_f16 v[178:181], v[178:179], v[182:183], v[90:93]
	s_waitcnt lgkmcnt(2)
	v_perm_b32 v184, v18, v1, s65
	s_waitcnt lgkmcnt(0)
	v_perm_b32 v185, v89, v20, s65
	v_cvt_f32_f16_e32 v90, v88
	v_cvt_f32_f16_sdwa v91, v88 dst_sel:DWORD dst_unused:UNUSED_PAD src0_sel:WORD_1
	v_cvt_f32_f16_e32 v92, v19
	v_cvt_f32_f16_sdwa v93, v19 dst_sel:DWORD dst_unused:UNUSED_PAD src0_sel:WORD_1
	v_cvt_pk_f16_f32 v88, v94, v95
	v_cvt_pk_f16_f32 v89, v96, v97
	v_mfma_f32_16x16x16_f16 v[182:185], v[184:185], v[182:183], v[90:93]
	v_cvt_pk_f16_f32 v95, v174, v175
	v_cvt_pk_f16_f32 v94, v176, v177
	;; [unrolled: 1-line block ×6, first 2 shown]
	s_nop 1
	v_cvt_pk_f16_f32 v91, v182, v183
	v_cvt_pk_f16_f32 v90, v184, v185
	s_barrier
	s_cbranch_scc0 .LBB14_141
; %bb.139:                              ;   in Loop: Header=BB14_136 Depth=2
	v_mov_b32_e32 v167, v21
	v_mov_b32_e32 v168, v85
	v_cndmask_b32_e64 v1, 0, 1, s[24:25]
	v_cmp_ne_u32_e64 s[22:23], 1, v1
	s_andn2_b64 vcc, exec, s[24:25]
	s_cbranch_vccz .LBB14_133
	s_branch .LBB14_136
.LBB14_140:                             ;   in Loop: Header=BB14_14 Depth=1
	v_mov_b32_e32 v85, 0xfeffffff
	s_mov_b32 s86, 0
	v_mov_b32_e32 v21, 0
	v_mov_b32_e32 v90, 0
	v_mov_b32_e32 v91, 0
	v_mov_b32_e32 v92, 0
	v_mov_b32_e32 v93, 0
	v_mov_b32_e32 v163, 0
	v_mov_b32_e32 v164, 0
	v_mov_b32_e32 v96, 0
	v_mov_b32_e32 v97, 0
	v_mov_b32_e32 v94, 0
	v_mov_b32_e32 v95, 0
	v_mov_b32_e32 v89, 0
	v_mov_b32_e32 v88, 0
	s_branch .LBB14_142
.LBB14_141:                             ;   in Loop: Header=BB14_14 Depth=1
	s_lshl_b32 s86, s28, 6
.LBB14_142:                             ;   in Loop: Header=BB14_14 Depth=1
	v_readlane_b32 s22, v186, 4
	s_sub_i32 s30, s22, s86
	s_cmp_lg_u64 s[96:97], 0
	s_cselect_b64 s[28:29], -1, 0
	s_cmp_eq_u64 s[96:97], 0
	v_readlane_b32 s23, v186, 5
	s_cbranch_scc1 .LBB14_148
; %bb.143:                              ;   in Loop: Header=BB14_14 Depth=1
	v_cmp_le_i32_e32 vcc, s30, v46
	s_and_saveexec_b64 s[22:23], vcc
	s_xor_b64 s[22:23], exec, s[22:23]
	s_cbranch_execz .LBB14_145
; %bb.144:                              ;   in Loop: Header=BB14_14 Depth=1
	ds_write_b16 v126, v53 offset:13312
	ds_write_b16 v145, v53 offset:13312
.LBB14_145:                             ;   in Loop: Header=BB14_14 Depth=1
	s_or_saveexec_b64 s[22:23], s[22:23]
	v_mov_b32_e32 v1, 0
	v_mov_b32_e32 v18, 0
	s_xor_b64 exec, exec, s[22:23]
	s_cbranch_execz .LBB14_147
; %bb.146:                              ;   in Loop: Header=BB14_14 Depth=1
	v_add_u32_e32 v1, s72, v43
	s_lshl_b64 s[24:25], s[86:87], 1
	v_mul_hi_u32 v20, s68, v1
	s_add_u32 s24, s96, s24
	v_add_u32_e32 v20, v1, v20
	s_addc_u32 s25, s97, s25
	v_lshlrev_b32_e32 v52, 1, v46
	v_lshrrev_b32_e32 v20, s69, v20
	v_lshl_add_u64 v[18:19], s[24:25], 0, v[52:53]
	v_mul_lo_u32 v20, v20, s52
	v_readlane_b32 s24, v186, 50
	v_sub_u32_e32 v1, v1, v20
	v_readlane_b32 s25, v186, 51
	s_mov_b32 s26, s24
	v_mad_i64_i32 v[22:23], s[24:25], v1, s26, 0
	v_lshl_add_u64 v[22:23], v[22:23], 1, v[18:19]
	v_add_u32_e32 v20, s72, v144
	global_load_ushort v1, v[22:23], off
	v_mul_hi_u32 v22, s68, v20
	v_add_u32_e32 v22, v20, v22
	v_lshrrev_b32_e32 v22, s69, v22
	v_mul_lo_u32 v22, v22, s52
	v_sub_u32_e32 v20, v20, v22
	v_mad_i64_i32 v[22:23], s[24:25], v20, s26, 0
	v_lshl_add_u64 v[22:23], v[22:23], 1, v[18:19]
	global_load_ushort v20, v[22:23], off
	s_waitcnt vmcnt(1)
	ds_write_b16 v126, v1 offset:13312
	s_waitcnt vmcnt(0)
	ds_write_b16 v145, v20 offset:13312
	v_add_u32_e32 v1, s72, v146
	v_mul_hi_u32 v20, s68, v1
	v_add_u32_e32 v20, v1, v20
	v_lshrrev_b32_e32 v20, s69, v20
	v_mul_lo_u32 v20, v20, s52
	v_sub_u32_e32 v1, v1, v20
	v_mad_i64_i32 v[22:23], s[24:25], v1, s26, 0
	v_lshl_add_u64 v[22:23], v[22:23], 1, v[18:19]
	v_add_u32_e32 v20, s72, v148
	global_load_ushort v1, v[22:23], off
	v_mul_hi_u32 v22, s68, v20
	v_add_u32_e32 v22, v20, v22
	v_lshrrev_b32_e32 v22, s69, v22
	v_mul_lo_u32 v22, v22, s52
	v_sub_u32_e32 v20, v20, v22
	v_mad_i64_i32 v[22:23], s[24:25], v20, s26, 0
	v_lshl_add_u64 v[18:19], v[22:23], 1, v[18:19]
	global_load_ushort v18, v[18:19], off
.LBB14_147:                             ;   in Loop: Header=BB14_14 Depth=1
	s_or_b64 exec, exec, s[22:23]
	s_waitcnt vmcnt(1)
	ds_write_b16 v147, v1 offset:13312
	s_waitcnt vmcnt(0)
	ds_write_b16 v149, v18 offset:13312
.LBB14_148:                             ;   in Loop: Header=BB14_14 Depth=1
	s_mul_i32 s22, s86, s67
	s_mul_hi_u32 s23, s86, s66
	s_add_i32 s23, s23, s22
	s_mul_i32 s22, s86, s66
	s_lshl_b64 s[22:23], s[22:23], 2
	s_add_u32 s20, s20, s22
	s_addc_u32 s21, s21, s23
	v_lshl_add_u64 v[18:19], v[58:59], 2, s[20:21]
	v_lshlrev_b32_e32 v52, 2, v48
	v_lshl_add_u64 v[18:19], v[18:19], 0, v[52:53]
	v_lshl_add_u64 v[18:19], v[18:19], 0, s[98:99]
	v_mov_b32_e32 v1, s89
	v_cmp_gt_i32_e64 s[24:25], s30, v103
	scratch_store_dwordx4 off, v[2:5], off
	v_lshl_add_u64 v[26:27], v[60:61], 2, s[20:21]
	v_cndmask_b32_e64 v19, v1, v19, s[24:25]
	v_cndmask_b32_e64 v18, v162, v18, s[24:25]
	flat_load_dwordx4 v[22:25], v[18:19]
	v_lshlrev_b32_e32 v18, 2, v50
	v_mov_b32_e32 v19, v53
	v_lshl_add_u64 v[26:27], v[26:27], 0, v[18:19]
	v_cmp_gt_i32_e64 s[26:27], s30, v105
	v_cmp_gt_i32_e64 s[22:23], s30, v150
	s_andn2_b64 vcc, exec, s[28:29]
	v_cndmask_b32_e64 v27, v1, v27, s[26:27]
	v_cndmask_b32_e64 v26, v162, v26, s[26:27]
	s_waitcnt vmcnt(0) lgkmcnt(0)
	ds_write_b128 v104, v[22:25]
	flat_load_dwordx4 v[22:25], v[26:27]
	v_lshl_add_u64 v[26:27], v[62:63], 2, s[20:21]
	v_lshl_add_u64 v[26:27], v[26:27], 0, v[18:19]
	v_cndmask_b32_e64 v27, v1, v27, s[22:23]
	v_cndmask_b32_e64 v26, v162, v26, s[22:23]
	s_waitcnt vmcnt(0) lgkmcnt(0)
	ds_write_b128 v106, v[22:25]
	flat_load_dwordx4 v[22:25], v[26:27]
	s_waitcnt vmcnt(0) lgkmcnt(0)
	ds_write_b128 v151, v[22:25]
	s_waitcnt lgkmcnt(0)
	s_barrier
	ds_read2_b64 v[22:25], v107 offset1:4
	s_waitcnt lgkmcnt(0)
	v_mfma_f32_16x16x16_f16 v[26:29], v[22:23], v[14:15], 0
	v_mfma_f32_16x16x16_f16 v[14:17], v[24:25], v[16:17], v[26:29]
	ds_read2_b64 v[22:25], v107 offset0:8 offset1:12
	s_waitcnt lgkmcnt(0)
	v_mfma_f32_16x16x16_f16 v[14:17], v[22:23], v[10:11], v[14:17]
	v_mfma_f32_16x16x16_f16 v[10:13], v[24:25], v[12:13], v[14:17]
	s_nop 6
	ds_read2_b64 v[14:17], v107 offset0:16 offset1:20
	s_waitcnt lgkmcnt(0)
	v_mfma_f32_16x16x16_f16 v[10:13], v[14:15], v[6:7], v[10:13]
	s_barrier
	v_mfma_f32_16x16x16_f16 v[6:9], v[16:17], v[8:9], v[10:13]
	s_cbranch_vccnz .LBB14_150
; %bb.149:                              ;   in Loop: Header=BB14_14 Depth=1
	v_add_u32_e32 v1, 0x3400, v109
	s_nop 3
	ds_read2_b32 v[10:11], v1 offset1:1
	s_waitcnt lgkmcnt(0)
	v_cvt_f32_f16_e32 v12, v10
	v_cvt_f32_f16_e32 v14, v11
	v_cvt_f32_f16_sdwa v15, v11 dst_sel:DWORD dst_unused:UNUSED_PAD src0_sel:WORD_1
	v_cvt_f32_f16_sdwa v13, v10 dst_sel:DWORD dst_unused:UNUSED_PAD src0_sel:WORD_1
	v_pk_fma_f32 v[8:9], v[84:85], v[14:15], v[8:9] op_sel_hi:[0,1,1]
	v_pk_fma_f32 v[6:7], v[84:85], v[12:13], v[6:7] op_sel_hi:[0,1,1]
.LBB14_150:                             ;   in Loop: Header=BB14_14 Depth=1
	s_mul_i32 s20, s86, s55
	s_mul_hi_u32 s21, s86, s54
	s_add_i32 s21, s21, s20
	s_mul_i32 s20, s86, s54
	s_lshl_b64 s[20:21], s[20:21], 2
	s_add_u32 s74, s71, s20
	s_addc_u32 s75, s64, s21
	v_lshl_add_u64 v[10:11], v[64:65], 2, s[74:75]
	v_lshl_add_u64 v[10:11], v[10:11], 0, v[52:53]
	;; [unrolled: 1-line block ×3, first 2 shown]
	v_mov_b32_e32 v16, s89
	scratch_store_dwordx4 off, v[2:5], off
	v_cndmask_b32_e64 v11, v16, v11, s[24:25]
	v_cndmask_b32_e64 v10, v162, v10, s[24:25]
	flat_load_dwordx4 v[10:13], v[10:11]
	v_lshl_add_u64 v[14:15], v[66:67], 2, s[74:75]
	v_lshl_add_u64 v[14:15], v[14:15], 0, v[18:19]
	v_cndmask_b32_e64 v15, v16, v15, s[26:27]
	v_cndmask_b32_e64 v14, v162, v14, s[26:27]
	v_add_f32_e32 v1, 0x40051340, v6
	v_max_f32_e32 v20, v85, v85
	v_and_b32_e32 v25, 64, v161
	v_xor_b32_e32 v26, 32, v161
	v_max_f32_e32 v1, v20, v1
	v_add_u32_e32 v20, 64, v25
	v_cmp_gt_u32_e64 s[28:29], s30, v108
	v_cmp_lt_i32_e32 vcc, v26, v20
	v_add_f32_e32 v22, 0x40051340, v7
	v_cndmask_b32_e64 v25, v85, v1, s[28:29]
	v_cndmask_b32_e32 v1, v161, v26, vcc
	v_max_f32_e32 v26, v25, v25
	v_max_f32_e32 v22, v26, v22
	v_cmp_gt_u32_e32 vcc, s30, v152
	v_add_f32_e32 v23, 0x40051340, v8
	v_cmp_gt_u32_e64 s[24:25], s30, v153
	v_cndmask_b32_e32 v22, v25, v22, vcc
	v_max_f32_e32 v25, v22, v22
	v_max_f32_e32 v23, v25, v23
	v_cndmask_b32_e64 v22, v22, v23, s[24:25]
	v_add_f32_e32 v24, 0x40051340, v9
	v_max_f32_e32 v23, v22, v22
	v_max_f32_e32 v23, v23, v24
	v_cmp_gt_u32_e64 s[26:27], s30, v154
	v_lshlrev_b32_e32 v1, 2, v1
	v_xor_b32_e32 v27, 16, v161
	v_cndmask_b32_e64 v22, v22, v23, s[26:27]
	ds_bpermute_b32 v23, v1, v22
	v_cmp_lt_i32_e64 s[34:35], v27, v20
	v_mov_b32_e32 v17, s87
	s_cmp_lg_u64 s[94:95], 0
	v_cndmask_b32_e64 v20, v161, v27, s[34:35]
	v_lshlrev_b32_e32 v32, 2, v20
	v_max_f32_e32 v20, v22, v22
	s_waitcnt lgkmcnt(0)
	v_max_f32_e32 v22, v23, v23
	v_max_f32_e32 v20, v20, v22
	ds_bpermute_b32 v24, v32, v20
	v_lshl_add_u64 v[22:23], v[68:69], 2, s[74:75]
	v_lshl_add_u64 v[18:19], v[22:23], 0, v[18:19]
	v_cndmask_b32_e64 v19, v16, v19, s[22:23]
	v_cndmask_b32_e64 v18, v162, v18, s[22:23]
	s_waitcnt lgkmcnt(0)
	v_max_f32_e32 v16, v24, v24
	v_max_f32_e32 v30, v20, v16
	v_sub_f32_e32 v16, v6, v30
	v_sub_f32_e32 v20, v7, v30
	;; [unrolled: 1-line block ×4, first 2 shown]
	v_mul_f32_e32 v6, 0x3fb8aa3b, v16
	v_mul_f32_e32 v7, 0x3fb8aa3b, v20
	;; [unrolled: 1-line block ×4, first 2 shown]
	v_fma_f32 v26, v16, s4, -v6
	v_rndne_f32_e32 v27, v6
	v_fma_f32 v28, v20, s4, -v7
	v_rndne_f32_e32 v29, v7
	;; [unrolled: 2-line block ×4, first 2 shown]
	v_fmac_f32_e32 v26, 0x32a5705f, v16
	v_sub_f32_e32 v6, v6, v27
	v_fmac_f32_e32 v28, 0x32a5705f, v20
	v_sub_f32_e32 v7, v7, v29
	;; [unrolled: 2-line block ×4, first 2 shown]
	v_add_f32_e32 v26, v6, v26
	v_add_f32_e32 v28, v7, v28
	;; [unrolled: 1-line block ×4, first 2 shown]
	v_sub_f32_e32 v24, v85, v30
	v_mul_f32_e32 v25, 0x3fb8aa3b, v24
	v_cvt_i32_f32_e32 v27, v27
	v_fma_f32 v36, v24, s4, -v25
	s_waitcnt vmcnt(0)
	ds_write_b128 v104, v[10:13]
	flat_load_dwordx4 v[10:13], v[14:15]
	v_rndne_f32_e32 v37, v25
	v_cvt_i32_f32_e32 v29, v29
	v_cvt_i32_f32_e32 v33, v33
	v_fmac_f32_e32 v36, 0x32a5705f, v24
	v_sub_f32_e32 v25, v25, v37
	v_cvt_i32_f32_e32 v35, v35
	v_cvt_i32_f32_e32 v37, v37
	v_cmp_ngt_f32_e64 s[22:23], s5, v16
	v_mov_b32_e32 v15, s87
	v_mov_b32_e32 v14, s87
	s_cselect_b64 s[20:21], -1, 0
	s_waitcnt vmcnt(0) lgkmcnt(0)
	ds_write_b128 v106, v[10:13]
	flat_load_dwordx4 v[6:9], v[18:19]
	v_exp_f32_e32 v11, v26
	v_exp_f32_e32 v12, v28
	;; [unrolled: 1-line block ×3, first 2 shown]
	v_add_f32_e32 v10, v25, v36
	v_exp_f32_e32 v18, v34
	v_exp_f32_e32 v10, v10
	v_ldexp_f32 v11, v11, v27
	v_ldexp_f32 v12, v12, v29
	v_cndmask_b32_e64 v11, 0, v11, s[22:23]
	v_cmp_ngt_f32_e64 s[22:23], s5, v20
	v_ldexp_f32 v13, v13, v33
	v_ldexp_f32 v18, v18, v35
	v_cndmask_b32_e64 v12, 0, v12, s[22:23]
	v_cmp_ngt_f32_e64 s[22:23], s5, v22
	v_ldexp_f32 v10, v10, v37
	s_waitcnt vmcnt(0) lgkmcnt(0)
	ds_write_b128 v151, v[6:9]
	v_cndmask_b32_e64 v13, 0, v13, s[22:23]
	v_cmp_ngt_f32_e64 s[22:23], s5, v23
	s_waitcnt lgkmcnt(0)
	s_barrier
	v_cndmask_b32_e64 v18, 0, v18, s[22:23]
	v_cmp_ngt_f32_e64 s[22:23], s5, v24
	s_nop 1
	v_cndmask_b32_e64 v10, 0, v10, s[22:23]
	v_cmp_nlt_f32_e64 s[22:23], s53, v16
	s_nop 1
	v_cndmask_b32_e64 v11, v159, v11, s[22:23]
	v_cmp_nlt_f32_e64 s[22:23], s53, v20
	;; [unrolled: 3-line block ×4, first 2 shown]
	v_cndmask_b32_e64 v12, v14, v13, s[24:25]
	s_nop 0
	v_cndmask_b32_e64 v18, v159, v18, s[22:23]
	v_cmp_nlt_f32_e64 s[22:23], s53, v24
	v_cndmask_b32_e64 v14, v17, v18, s[26:27]
	v_cvt_pk_f16_f32 v27, v12, v14
	v_cndmask_b32_e64 v19, v159, v10, s[22:23]
	v_cmp_le_f32_e64 s[22:23], s33, v24
	v_cndmask_b32_e64 v10, 0, v11, s[28:29]
	v_cndmask_b32_e32 v11, v15, v16, vcc
	v_cndmask_b32_e64 v15, 0, v19, s[22:23]
	v_cvt_f16_f32_e32 v17, v15
	v_add_f32_e32 v16, v16, v10
	v_cvt_pk_f16_f32 v26, v10, v11
	v_cndmask_b32_e32 v10, v10, v16, vcc
	v_add_f32_e32 v11, v10, v13
	v_mul_u32_u24_e32 v12, 0x10001, v17
	v_cndmask_b32_e64 v10, v10, v11, s[24:25]
	v_pk_mul_f16 v28, v93, v12
	v_add_f32_e32 v11, v10, v18
	v_pk_mul_f16 v13, v163, v12
	v_pk_mul_f16 v16, v97, v12
	;; [unrolled: 1-line block ×10, first 2 shown]
	v_cvt_f32_f16_e32 v34, v28
	v_cvt_f32_f16_sdwa v35, v28 dst_sel:DWORD dst_unused:UNUSED_PAD src0_sel:WORD_1
	ds_read_u16 v6, v110 offset:208
	ds_read_u16 v8, v110
	ds_read_u16 v9, v110 offset:32
	ds_read_u16 v28, v110 offset:240
	;; [unrolled: 1-line block ×6, first 2 shown]
	ds_read_u16 v7, v111
	ds_read_u16 v39, v111 offset:32
	ds_read_u16 v84, v110 offset:272
	;; [unrolled: 1-line block ×7, first 2 shown]
	ds_read_u16 v37, v112
	ds_read_u16 v92, v112 offset:32
	ds_read_u16 v93, v112 offset:64
	;; [unrolled: 1-line block ×7, first 2 shown]
	v_cndmask_b32_e64 v31, v10, v11, s[26:27]
	v_pk_mul_f16 v11, v164, v12
	v_cvt_f32_f16_e32 v36, v29
	s_waitcnt lgkmcnt(7)
	v_perm_b32 v7, v37, v7, s65
	v_perm_b32 v6, v6, v8, s65
	v_cvt_f32_f16_sdwa v37, v29 dst_sel:DWORD dst_unused:UNUSED_PAD src0_sel:WORD_1
	s_waitcnt lgkmcnt(6)
	v_perm_b32 v29, v92, v39, s65
	v_perm_b32 v28, v28, v9, s65
	v_fmac_f32_e32 v31, v21, v15
	v_cvt_f32_f16_e32 v10, v11
	v_cvt_f32_f16_sdwa v11, v11 dst_sel:DWORD dst_unused:UNUSED_PAD src0_sel:WORD_1
	v_cvt_f32_f16_e32 v12, v13
	v_cvt_f32_f16_sdwa v13, v13 dst_sel:DWORD dst_unused:UNUSED_PAD src0_sel:WORD_1
	;; [unrolled: 2-line block ×4, first 2 shown]
	v_mfma_f32_16x16x16_f16 v[6:9], v[6:7], v[26:27], v[10:13]
	s_waitcnt lgkmcnt(5)
	v_perm_b32 v85, v93, v85, s65
	v_perm_b32 v84, v84, v40, s65
	v_cvt_f32_f16_e32 v18, v19
	v_mfma_f32_16x16x16_f16 v[10:13], v[28:29], v[26:27], v[14:17]
	s_waitcnt lgkmcnt(4)
	v_perm_b32 v29, v94, v89, s65
	v_perm_b32 v28, v88, v52, s65
	v_cvt_f32_f16_sdwa v19, v19 dst_sel:DWORD dst_unused:UNUSED_PAD src0_sel:WORD_1
	v_cvt_f32_f16_e32 v20, v22
	v_cvt_f32_f16_sdwa v21, v22 dst_sel:DWORD dst_unused:UNUSED_PAD src0_sel:WORD_1
	v_cvt_f32_f16_e32 v22, v23
	;; [unrolled: 2-line block ×3, first 2 shown]
	v_cvt_f32_f16_sdwa v25, v25 dst_sel:DWORD dst_unused:UNUSED_PAD src0_sel:WORD_1
	v_mfma_f32_16x16x16_f16 v[14:17], v[84:85], v[26:27], v[18:21]
	s_waitcnt lgkmcnt(2)
	v_perm_b32 v85, v96, v95, s65
	v_perm_b32 v84, v90, v86, s65
	v_cvt_f32_f16_e32 v38, v33
	v_mfma_f32_16x16x16_f16 v[18:21], v[28:29], v[26:27], v[22:25]
	s_waitcnt lgkmcnt(0)
	v_perm_b32 v29, v97, v163, s65
	v_perm_b32 v28, v91, v87, s65
	v_cvt_f32_f16_sdwa v39, v33 dst_sel:DWORD dst_unused:UNUSED_PAD src0_sel:WORD_1
	v_cvt_f32_f16_e32 v40, v41
	v_cvt_f32_f16_sdwa v41, v41 dst_sel:DWORD dst_unused:UNUSED_PAD src0_sel:WORD_1
	ds_bpermute_b32 v33, v1, v31
	v_mfma_f32_16x16x16_f16 v[22:25], v[84:85], v[26:27], v[34:37]
	v_cvt_f16_f32_e32 v8, v8
	v_cvt_f16_f32_e32 v9, v9
	;; [unrolled: 1-line block ×3, first 2 shown]
	v_mfma_f32_16x16x16_f16 v[26:29], v[28:29], v[26:27], v[38:41]
	s_waitcnt lgkmcnt(0)
	v_add_f32_e32 v31, v31, v33
	ds_bpermute_b32 v33, v32, v31
	v_cvt_f16_f32_e32 v34, v6
	v_cvt_f16_f32_e32 v35, v7
	;; [unrolled: 1-line block ×21, first 2 shown]
	v_readlane_b32 s22, v186, 33
	v_readlane_b32 s23, v186, 34
	v_perm_b32 v13, v9, v8, s65
	v_perm_b32 v12, v38, v12, s65
	;; [unrolled: 1-line block ×6, first 2 shown]
	s_waitcnt lgkmcnt(0)
	v_add_f32_e32 v31, v31, v33
	s_and_b64 s[20:21], s[22:23], s[20:21]
	v_perm_b32 v20, v52, v41, s65
	v_perm_b32 v21, v40, v39, s65
	;; [unrolled: 1-line block ×6, first 2 shown]
	s_barrier
	s_and_saveexec_b64 s[22:23], s[20:21]
	s_cbranch_execz .LBB14_152
; %bb.151:                              ;   in Loop: Header=BB14_14 Depth=1
	v_cvt_pk_f16_f32 v10, v10, v11
	v_cvt_pk_f16_f32 v11, v14, v15
	;; [unrolled: 1-line block ×3, first 2 shown]
	global_load_dword v19, v53, s[94:95]
	v_cvt_pk_f16_f32 v7, v6, v7
	v_max_f32_e32 v20, v30, v30
	v_cvt_pk_f16_f32 v15, v22, v23
	v_cvt_pk_f16_f32 v18, v26, v27
	s_waitcnt vmcnt(0)
	v_max_f32_e32 v6, v19, v19
	v_max_f32_e32 v6, v20, v6
	v_sub_f32_e32 v20, v30, v6
	v_mul_f32_e32 v21, 0x3fb8aa3b, v20
	v_fma_f32 v22, v20, s4, -v21
	v_rndne_f32_e32 v23, v21
	v_fmac_f32_e32 v22, 0x32a5705f, v20
	v_sub_f32_e32 v21, v21, v23
	v_add_f32_e32 v21, v21, v22
	v_exp_f32_e32 v21, v21
	v_cvt_i32_f32_e32 v22, v23
	v_cmp_ngt_f32_e32 vcc, s5, v20
	v_sub_f32_e32 v19, v19, v6
	v_ldexp_f32 v21, v21, v22
	v_cndmask_b32_e32 v21, 0, v21, vcc
	v_cmp_nlt_f32_e32 vcc, s53, v20
	s_nop 1
	v_cndmask_b32_e32 v21, v159, v21, vcc
	v_cmp_le_f32_e32 vcc, s33, v20
	s_nop 1
	v_cndmask_b32_e32 v22, 0, v21, vcc
	v_cvt_f16_f32_e32 v20, v22
	v_cmp_ngt_f32_e32 vcc, s5, v19
	v_mul_u32_u24_e32 v23, 0x10001, v20
	v_pk_mul_f16 v25, v7, v23
	v_mul_f32_e32 v7, 0x3fb8aa3b, v19
	v_pk_mul_f16 v24, v10, v23
	v_pk_mul_f16 v21, v11, v23
	v_fma_f32 v10, v19, s4, -v7
	v_rndne_f32_e32 v11, v7
	v_fmac_f32_e32 v10, 0x32a5705f, v19
	v_sub_f32_e32 v7, v7, v11
	v_add_f32_e32 v7, v7, v10
	v_exp_f32_e32 v7, v7
	v_cvt_i32_f32_e32 v10, v11
	v_pk_mul_f16 v13, v13, v23
	v_pk_mul_f16 v12, v12, v23
	v_pk_mul_f16 v9, v9, v23
	v_ldexp_f32 v7, v7, v10
	v_cndmask_b32_e32 v7, 0, v7, vcc
	v_cmp_nlt_f32_e32 vcc, s53, v19
	v_pk_mul_f16 v20, v14, v23
	v_pk_mul_f16 v8, v8, v23
	v_cndmask_b32_e32 v7, v159, v7, vcc
	v_fmac_f32_e32 v7, v31, v22
	v_pk_mul_f16 v28, v15, v23
	v_pk_mul_f16 v16, v16, v23
	;; [unrolled: 1-line block ×4, first 2 shown]
	v_mov_b64_e32 v[30:31], v[6:7]
.LBB14_152:                             ;   in Loop: Header=BB14_14 Depth=1
	s_or_b64 exec, exec, s[22:23]
	s_mov_b64 s[22:23], exec
	v_readlane_b32 s20, v186, 48
	v_readlane_b32 s21, v186, 49
	s_and_b64 s[20:21], s[22:23], s[20:21]
	s_mov_b64 exec, s[20:21]
; %bb.153:                              ;   in Loop: Header=BB14_14 Depth=1
	v_add_u32_e32 v6, 0, v127
	ds_write2_b32 v6, v30, v31 offset0:48 offset1:49
; %bb.154:                              ;   in Loop: Header=BB14_14 Depth=1
	s_or_b64 exec, exec, s[22:23]
	v_readlane_b32 s22, v186, 35
	v_readlane_b32 s23, v186, 36
	s_waitcnt lgkmcnt(0)
	s_barrier
	s_and_saveexec_b64 s[20:21], s[22:23]
	s_xor_b64 s[22:23], exec, s[20:21]
	s_cbranch_execz .LBB14_156
; %bb.155:                              ;   in Loop: Header=BB14_14 Depth=1
	s_barrier
                                        ; implicit-def: $vgpr1
                                        ; implicit-def: $vgpr32
.LBB14_156:                             ;   in Loop: Header=BB14_14 Depth=1
	s_andn2_saveexec_b64 s[22:23], s[22:23]
	s_cbranch_execz .LBB14_158
; %bb.157:                              ;   in Loop: Header=BB14_14 Depth=1
	v_add_u32_e32 v10, 0, v127
	ds_read_b64 v[6:7], v10 offset:192
	s_waitcnt lgkmcnt(0)
	s_barrier
	ds_bpermute_b32 v11, v1, v6
	v_max_f32_e32 v14, v6, v6
	s_waitcnt lgkmcnt(0)
	v_max_f32_e32 v11, v11, v11
	v_max_f32_e32 v11, v14, v11
	ds_bpermute_b32 v14, v32, v11
	s_waitcnt lgkmcnt(0)
	v_max_f32_e32 v14, v14, v14
	v_max_f32_e32 v11, v11, v14
	v_sub_f32_e32 v6, v6, v11
	v_mul_f32_e32 v11, 0x3fb8aa3b, v6
	v_fma_f32 v14, v6, s4, -v11
	v_rndne_f32_e32 v15, v11
	v_fmac_f32_e32 v14, 0x32a5705f, v6
	v_sub_f32_e32 v11, v11, v15
	v_add_f32_e32 v11, v11, v14
	v_cvt_i32_f32_e32 v15, v15
	v_exp_f32_e32 v11, v11
	v_cmp_ngt_f32_e32 vcc, s5, v6
	v_ldexp_f32 v11, v11, v15
	s_nop 0
	v_cndmask_b32_e32 v11, 0, v11, vcc
	v_cmp_nlt_f32_e32 vcc, s53, v6
	s_nop 1
	v_cndmask_b32_e32 v6, v159, v11, vcc
	v_mul_f32_e32 v11, v7, v6
	ds_bpermute_b32 v1, v1, v11
	s_waitcnt lgkmcnt(0)
	v_fmac_f32_e32 v1, v7, v6
	ds_bpermute_b32 v7, v32, v1
	s_waitcnt lgkmcnt(0)
	v_add_f32_e32 v7, v1, v7
	ds_write_b64 v10, v[6:7] offset:192
.LBB14_158:                             ;   in Loop: Header=BB14_14 Depth=1
	s_or_b64 exec, exec, s[22:23]
	ds_write2_b32 v113, v25, v13 offset1:1
	ds_write2_b32 v113, v24, v12 offset0:8 offset1:9
	ds_write2_b32 v113, v21, v9 offset0:16 offset1:17
	;; [unrolled: 1-line block ×5, first 2 shown]
	s_waitcnt lgkmcnt(0)
	s_barrier
	s_mov_b64 s[22:23], exec
	v_readlane_b32 s20, v186, 33
	v_readlane_b32 s21, v186, 34
	s_and_b64 s[20:21], s[22:23], s[20:21]
	s_mov_b64 exec, s[20:21]
	s_cbranch_execz .LBB14_12
; %bb.159:                              ;   in Loop: Header=BB14_14 Depth=1
	v_add_u32_e32 v1, s72, v114
	v_cmp_gt_i32_e32 vcc, s52, v1
	v_mov_b32_e32 v6, 0x47
	s_and_saveexec_b64 s[24:25], vcc
	s_cbranch_execz .LBB14_161
; %bb.160:                              ;   in Loop: Header=BB14_14 Depth=1
	v_add_u32_e32 v12, v141, v128
	ds_read2st64_b32 v[8:9], v12 offset1:13
	v_add_u32_e32 v14, 0, v128
	ds_read2_b32 v[6:7], v14 offset0:48 offset1:49
	v_add_u32_e32 v10, 0xc0, v14
	ds_read2st64_b32 v[10:11], v10 offset0:13 offset1:26
	ds_read2st64_b32 v[12:13], v12 offset0:26 offset1:39
	ds_read_b32 v14, v14 offset:10176
	s_waitcnt lgkmcnt(4)
	v_cvt_f32_f16_e32 v18, v8
	v_cvt_f32_f16_sdwa v19, v8 dst_sel:DWORD dst_unused:UNUSED_PAD src0_sel:WORD_1
	v_cvt_f32_f16_e32 v8, v9
	v_cvt_f32_f16_sdwa v9, v9 dst_sel:DWORD dst_unused:UNUSED_PAD src0_sel:WORD_1
	v_readlane_b32 s20, v186, 40
	s_waitcnt lgkmcnt(3)
	v_pk_fma_f32 v[18:19], v[6:7], v[18:19], 0 op_sel_hi:[0,1,0]
	s_waitcnt lgkmcnt(2)
	v_mov_b32_e32 v6, v11
	v_pk_fma_f32 v[8:9], v[10:11], v[8:9], v[18:19] op_sel_hi:[0,1,1]
	s_waitcnt lgkmcnt(1)
	v_cvt_f32_f16_e32 v18, v12
	v_cvt_f32_f16_sdwa v19, v12 dst_sel:DWORD dst_unused:UNUSED_PAD src0_sel:WORD_1
	v_cvt_f32_f16_e32 v10, v13
	v_cvt_f32_f16_sdwa v11, v13 dst_sel:DWORD dst_unused:UNUSED_PAD src0_sel:WORD_1
	v_mad_u64_u32 v[16:17], s[20:21], v1, s20, v[42:43]
	v_pk_fma_f32 v[8:9], v[6:7], v[18:19], v[8:9] op_sel_hi:[0,1,1]
	s_waitcnt lgkmcnt(0)
	v_pk_fma_f32 v[8:9], v[14:15], v[10:11], v[8:9] op_sel_hi:[0,1,1]
	v_div_scale_f32 v1, s[20:21], v7, v7, v9
	v_rcp_f32_e32 v6, v1
	v_ashrrev_i32_e32 v17, 31, v16
	v_lshl_add_u64 v[16:17], v[16:17], 3, s[92:93]
	v_fma_f32 v10, -v1, v6, 1.0
	v_fmac_f32_e32 v6, v10, v6
	v_div_scale_f32 v10, vcc, v9, v7, v9
	v_mul_f32_e32 v11, v10, v6
	v_fma_f32 v12, -v1, v11, v10
	v_fmac_f32_e32 v11, v12, v6
	v_fma_f32 v1, -v1, v11, v10
	v_div_fmas_f32 v1, v1, v6, v11
	v_div_fixup_f32 v9, v1, v7, v9
	v_div_scale_f32 v1, s[20:21], v7, v7, v8
	v_rcp_f32_e32 v6, v1
	s_nop 0
	v_fma_f32 v10, -v1, v6, 1.0
	v_fmac_f32_e32 v6, v10, v6
	v_div_scale_f32 v10, vcc, v8, v7, v8
	v_mul_f32_e32 v11, v10, v6
	v_fma_f32 v12, -v1, v11, v10
	v_fmac_f32_e32 v11, v12, v6
	v_fma_f32 v1, -v1, v11, v10
	v_div_fmas_f32 v1, v1, v6, v11
	v_div_fixup_f32 v8, v1, v7, v8
	v_mov_b32_e32 v6, 0
	global_store_dwordx2 v[16:17], v[8:9], off
.LBB14_161:                             ;   in Loop: Header=BB14_14 Depth=1
	s_or_b64 exec, exec, s[24:25]
	s_movk_i32 s20, 0x47
	v_cmp_gt_i32_e32 vcc, s20, v6
	s_mov_b64 s[26:27], -1
	s_and_saveexec_b64 s[24:25], vcc
; %bb.162:                              ;   in Loop: Header=BB14_14 Depth=1
	v_cmp_eq_u32_e32 vcc, 0, v6
	s_orn2_b64 s[26:27], vcc, exec
; %bb.163:                              ;   in Loop: Header=BB14_14 Depth=1
	s_or_b64 exec, exec, s[24:25]
	s_and_saveexec_b64 s[24:25], s[26:27]
	s_cbranch_execz .LBB14_196
; %bb.164:                              ;   in Loop: Header=BB14_14 Depth=1
	v_add_u32_e32 v1, s72, v116
	v_cmp_gt_i32_e32 vcc, s52, v1
	v_mov_b32_e32 v6, 0x47
	s_and_saveexec_b64 s[26:27], vcc
	s_cbranch_execz .LBB14_166
; %bb.165:                              ;   in Loop: Header=BB14_14 Depth=1
	v_add_u32_e32 v12, v141, v129
	ds_read2st64_b32 v[8:9], v12 offset1:13
	v_add_u32_e32 v14, 0, v129
	ds_read2_b32 v[6:7], v14 offset0:48 offset1:49
	v_add_u32_e32 v10, 0xc0, v14
	ds_read2st64_b32 v[10:11], v10 offset0:13 offset1:26
	ds_read2st64_b32 v[12:13], v12 offset0:26 offset1:39
	ds_read_b32 v14, v14 offset:10176
	s_waitcnt lgkmcnt(4)
	v_cvt_f32_f16_e32 v18, v8
	v_cvt_f32_f16_sdwa v19, v8 dst_sel:DWORD dst_unused:UNUSED_PAD src0_sel:WORD_1
	v_cvt_f32_f16_e32 v8, v9
	v_cvt_f32_f16_sdwa v9, v9 dst_sel:DWORD dst_unused:UNUSED_PAD src0_sel:WORD_1
	v_readlane_b32 s20, v186, 40
	s_waitcnt lgkmcnt(3)
	v_pk_fma_f32 v[18:19], v[6:7], v[18:19], 0 op_sel_hi:[0,1,0]
	s_waitcnt lgkmcnt(2)
	v_mov_b32_e32 v6, v11
	v_pk_fma_f32 v[8:9], v[10:11], v[8:9], v[18:19] op_sel_hi:[0,1,1]
	s_waitcnt lgkmcnt(1)
	v_cvt_f32_f16_e32 v18, v12
	v_cvt_f32_f16_sdwa v19, v12 dst_sel:DWORD dst_unused:UNUSED_PAD src0_sel:WORD_1
	v_cvt_f32_f16_e32 v10, v13
	v_cvt_f32_f16_sdwa v11, v13 dst_sel:DWORD dst_unused:UNUSED_PAD src0_sel:WORD_1
	v_mad_u64_u32 v[16:17], s[20:21], v1, s20, v[42:43]
	v_pk_fma_f32 v[8:9], v[6:7], v[18:19], v[8:9] op_sel_hi:[0,1,1]
	s_waitcnt lgkmcnt(0)
	v_pk_fma_f32 v[8:9], v[14:15], v[10:11], v[8:9] op_sel_hi:[0,1,1]
	v_div_scale_f32 v1, s[20:21], v7, v7, v9
	v_rcp_f32_e32 v6, v1
	v_ashrrev_i32_e32 v17, 31, v16
	v_lshl_add_u64 v[16:17], v[16:17], 3, s[92:93]
	v_fma_f32 v10, -v1, v6, 1.0
	v_fmac_f32_e32 v6, v10, v6
	v_div_scale_f32 v10, vcc, v9, v7, v9
	v_mul_f32_e32 v11, v10, v6
	v_fma_f32 v12, -v1, v11, v10
	v_fmac_f32_e32 v11, v12, v6
	v_fma_f32 v1, -v1, v11, v10
	v_div_fmas_f32 v1, v1, v6, v11
	v_div_fixup_f32 v9, v1, v7, v9
	v_div_scale_f32 v1, s[20:21], v7, v7, v8
	v_rcp_f32_e32 v6, v1
	s_nop 0
	v_fma_f32 v10, -v1, v6, 1.0
	v_fmac_f32_e32 v6, v10, v6
	v_div_scale_f32 v10, vcc, v8, v7, v8
	v_mul_f32_e32 v11, v10, v6
	v_fma_f32 v12, -v1, v11, v10
	v_fmac_f32_e32 v11, v12, v6
	v_fma_f32 v1, -v1, v11, v10
	v_div_fmas_f32 v1, v1, v6, v11
	v_div_fixup_f32 v8, v1, v7, v8
	v_mov_b32_e32 v6, 0
	global_store_dwordx2 v[16:17], v[8:9], off
.LBB14_166:                             ;   in Loop: Header=BB14_14 Depth=1
	s_or_b64 exec, exec, s[26:27]
	s_movk_i32 s20, 0x47
	v_cmp_gt_i32_e32 vcc, s20, v6
	s_mov_b64 s[26:27], -1
	s_and_saveexec_b64 s[28:29], vcc
; %bb.167:                              ;   in Loop: Header=BB14_14 Depth=1
	v_cmp_eq_u32_e32 vcc, 0, v6
	s_orn2_b64 s[26:27], vcc, exec
; %bb.168:                              ;   in Loop: Header=BB14_14 Depth=1
	s_or_b64 exec, exec, s[28:29]
	s_and_b64 exec, exec, s[26:27]
	s_cbranch_execz .LBB14_196
; %bb.169:                              ;   in Loop: Header=BB14_14 Depth=1
	v_add_u32_e32 v1, s72, v117
	v_cmp_gt_i32_e32 vcc, s52, v1
	v_mov_b32_e32 v6, 0x47
	s_and_saveexec_b64 s[26:27], vcc
	s_cbranch_execz .LBB14_171
; %bb.170:                              ;   in Loop: Header=BB14_14 Depth=1
	v_add_u32_e32 v12, v141, v130
	ds_read2st64_b32 v[8:9], v12 offset1:13
	v_add_u32_e32 v14, 0, v130
	ds_read2_b32 v[6:7], v14 offset0:48 offset1:49
	v_add_u32_e32 v10, 0xc0, v14
	ds_read2st64_b32 v[10:11], v10 offset0:13 offset1:26
	ds_read2st64_b32 v[12:13], v12 offset0:26 offset1:39
	ds_read_b32 v14, v14 offset:10176
	s_waitcnt lgkmcnt(4)
	v_cvt_f32_f16_e32 v18, v8
	v_cvt_f32_f16_sdwa v19, v8 dst_sel:DWORD dst_unused:UNUSED_PAD src0_sel:WORD_1
	v_cvt_f32_f16_e32 v8, v9
	v_cvt_f32_f16_sdwa v9, v9 dst_sel:DWORD dst_unused:UNUSED_PAD src0_sel:WORD_1
	v_readlane_b32 s20, v186, 40
	s_waitcnt lgkmcnt(3)
	v_pk_fma_f32 v[18:19], v[6:7], v[18:19], 0 op_sel_hi:[0,1,0]
	s_waitcnt lgkmcnt(2)
	v_mov_b32_e32 v6, v11
	v_pk_fma_f32 v[8:9], v[10:11], v[8:9], v[18:19] op_sel_hi:[0,1,1]
	s_waitcnt lgkmcnt(1)
	v_cvt_f32_f16_e32 v18, v12
	v_cvt_f32_f16_sdwa v19, v12 dst_sel:DWORD dst_unused:UNUSED_PAD src0_sel:WORD_1
	v_cvt_f32_f16_e32 v10, v13
	v_cvt_f32_f16_sdwa v11, v13 dst_sel:DWORD dst_unused:UNUSED_PAD src0_sel:WORD_1
	v_mad_u64_u32 v[16:17], s[20:21], v1, s20, v[42:43]
	v_pk_fma_f32 v[8:9], v[6:7], v[18:19], v[8:9] op_sel_hi:[0,1,1]
	s_waitcnt lgkmcnt(0)
	v_pk_fma_f32 v[8:9], v[14:15], v[10:11], v[8:9] op_sel_hi:[0,1,1]
	v_div_scale_f32 v1, s[20:21], v7, v7, v9
	v_rcp_f32_e32 v6, v1
	v_ashrrev_i32_e32 v17, 31, v16
	v_lshl_add_u64 v[16:17], v[16:17], 3, s[92:93]
	v_fma_f32 v10, -v1, v6, 1.0
	v_fmac_f32_e32 v6, v10, v6
	v_div_scale_f32 v10, vcc, v9, v7, v9
	v_mul_f32_e32 v11, v10, v6
	v_fma_f32 v12, -v1, v11, v10
	v_fmac_f32_e32 v11, v12, v6
	v_fma_f32 v1, -v1, v11, v10
	v_div_fmas_f32 v1, v1, v6, v11
	v_div_fixup_f32 v9, v1, v7, v9
	v_div_scale_f32 v1, s[20:21], v7, v7, v8
	v_rcp_f32_e32 v6, v1
	s_nop 0
	v_fma_f32 v10, -v1, v6, 1.0
	v_fmac_f32_e32 v6, v10, v6
	v_div_scale_f32 v10, vcc, v8, v7, v8
	v_mul_f32_e32 v11, v10, v6
	v_fma_f32 v12, -v1, v11, v10
	v_fmac_f32_e32 v11, v12, v6
	v_fma_f32 v1, -v1, v11, v10
	v_div_fmas_f32 v1, v1, v6, v11
	v_div_fixup_f32 v8, v1, v7, v8
	v_mov_b32_e32 v6, 0
	global_store_dwordx2 v[16:17], v[8:9], off
.LBB14_171:                             ;   in Loop: Header=BB14_14 Depth=1
	s_or_b64 exec, exec, s[26:27]
	s_movk_i32 s20, 0x47
	v_cmp_gt_i32_e32 vcc, s20, v6
	s_mov_b64 s[26:27], -1
	s_and_saveexec_b64 s[28:29], vcc
; %bb.172:                              ;   in Loop: Header=BB14_14 Depth=1
	v_cmp_eq_u32_e32 vcc, 0, v6
	s_orn2_b64 s[26:27], vcc, exec
; %bb.173:                              ;   in Loop: Header=BB14_14 Depth=1
	s_or_b64 exec, exec, s[28:29]
	s_and_b64 exec, exec, s[26:27]
	s_cbranch_execz .LBB14_196
; %bb.174:                              ;   in Loop: Header=BB14_14 Depth=1
	v_add_u32_e32 v1, s72, v118
	v_cmp_gt_i32_e32 vcc, s52, v1
	v_mov_b32_e32 v6, 0x47
	s_and_saveexec_b64 s[26:27], vcc
	s_cbranch_execz .LBB14_176
; %bb.175:                              ;   in Loop: Header=BB14_14 Depth=1
	v_add_u32_e32 v12, v141, v131
	ds_read2st64_b32 v[8:9], v12 offset1:13
	v_add_u32_e32 v14, 0, v131
	ds_read2_b32 v[6:7], v14 offset0:48 offset1:49
	v_add_u32_e32 v10, 0xc0, v14
	ds_read2st64_b32 v[10:11], v10 offset0:13 offset1:26
	ds_read2st64_b32 v[12:13], v12 offset0:26 offset1:39
	ds_read_b32 v14, v14 offset:10176
	s_waitcnt lgkmcnt(4)
	v_cvt_f32_f16_e32 v18, v8
	v_cvt_f32_f16_sdwa v19, v8 dst_sel:DWORD dst_unused:UNUSED_PAD src0_sel:WORD_1
	v_cvt_f32_f16_e32 v8, v9
	v_cvt_f32_f16_sdwa v9, v9 dst_sel:DWORD dst_unused:UNUSED_PAD src0_sel:WORD_1
	v_readlane_b32 s20, v186, 40
	s_waitcnt lgkmcnt(3)
	v_pk_fma_f32 v[18:19], v[6:7], v[18:19], 0 op_sel_hi:[0,1,0]
	s_waitcnt lgkmcnt(2)
	v_mov_b32_e32 v6, v11
	v_pk_fma_f32 v[8:9], v[10:11], v[8:9], v[18:19] op_sel_hi:[0,1,1]
	s_waitcnt lgkmcnt(1)
	v_cvt_f32_f16_e32 v18, v12
	v_cvt_f32_f16_sdwa v19, v12 dst_sel:DWORD dst_unused:UNUSED_PAD src0_sel:WORD_1
	v_cvt_f32_f16_e32 v10, v13
	v_cvt_f32_f16_sdwa v11, v13 dst_sel:DWORD dst_unused:UNUSED_PAD src0_sel:WORD_1
	v_mad_u64_u32 v[16:17], s[20:21], v1, s20, v[42:43]
	v_pk_fma_f32 v[8:9], v[6:7], v[18:19], v[8:9] op_sel_hi:[0,1,1]
	s_waitcnt lgkmcnt(0)
	v_pk_fma_f32 v[8:9], v[14:15], v[10:11], v[8:9] op_sel_hi:[0,1,1]
	v_div_scale_f32 v1, s[20:21], v7, v7, v9
	v_rcp_f32_e32 v6, v1
	v_ashrrev_i32_e32 v17, 31, v16
	v_lshl_add_u64 v[16:17], v[16:17], 3, s[92:93]
	v_fma_f32 v10, -v1, v6, 1.0
	v_fmac_f32_e32 v6, v10, v6
	v_div_scale_f32 v10, vcc, v9, v7, v9
	v_mul_f32_e32 v11, v10, v6
	v_fma_f32 v12, -v1, v11, v10
	v_fmac_f32_e32 v11, v12, v6
	v_fma_f32 v1, -v1, v11, v10
	v_div_fmas_f32 v1, v1, v6, v11
	v_div_fixup_f32 v9, v1, v7, v9
	v_div_scale_f32 v1, s[20:21], v7, v7, v8
	v_rcp_f32_e32 v6, v1
	s_nop 0
	v_fma_f32 v10, -v1, v6, 1.0
	v_fmac_f32_e32 v6, v10, v6
	v_div_scale_f32 v10, vcc, v8, v7, v8
	v_mul_f32_e32 v11, v10, v6
	v_fma_f32 v12, -v1, v11, v10
	v_fmac_f32_e32 v11, v12, v6
	v_fma_f32 v1, -v1, v11, v10
	v_div_fmas_f32 v1, v1, v6, v11
	v_div_fixup_f32 v8, v1, v7, v8
	v_mov_b32_e32 v6, 0
	global_store_dwordx2 v[16:17], v[8:9], off
.LBB14_176:                             ;   in Loop: Header=BB14_14 Depth=1
	s_or_b64 exec, exec, s[26:27]
	s_movk_i32 s20, 0x47
	v_cmp_gt_i32_e32 vcc, s20, v6
	s_mov_b64 s[26:27], -1
	s_and_saveexec_b64 s[28:29], vcc
; %bb.177:                              ;   in Loop: Header=BB14_14 Depth=1
	v_cmp_eq_u32_e32 vcc, 0, v6
	s_orn2_b64 s[26:27], vcc, exec
; %bb.178:                              ;   in Loop: Header=BB14_14 Depth=1
	s_or_b64 exec, exec, s[28:29]
	s_and_b64 exec, exec, s[26:27]
	s_cbranch_execz .LBB14_196
; %bb.179:                              ;   in Loop: Header=BB14_14 Depth=1
	v_add_u32_e32 v1, s72, v119
	v_cmp_gt_i32_e32 vcc, s52, v1
	v_mov_b32_e32 v6, 0x47
	s_and_saveexec_b64 s[26:27], vcc
	s_cbranch_execz .LBB14_181
; %bb.180:                              ;   in Loop: Header=BB14_14 Depth=1
	v_add_u32_e32 v12, v141, v132
	ds_read2st64_b32 v[8:9], v12 offset1:13
	v_add_u32_e32 v14, 0, v132
	ds_read2_b32 v[6:7], v14 offset0:48 offset1:49
	v_add_u32_e32 v10, 0xc0, v14
	ds_read2st64_b32 v[10:11], v10 offset0:13 offset1:26
	ds_read2st64_b32 v[12:13], v12 offset0:26 offset1:39
	ds_read_b32 v14, v14 offset:10176
	s_waitcnt lgkmcnt(4)
	v_cvt_f32_f16_e32 v18, v8
	v_cvt_f32_f16_sdwa v19, v8 dst_sel:DWORD dst_unused:UNUSED_PAD src0_sel:WORD_1
	v_cvt_f32_f16_e32 v8, v9
	v_cvt_f32_f16_sdwa v9, v9 dst_sel:DWORD dst_unused:UNUSED_PAD src0_sel:WORD_1
	v_readlane_b32 s20, v186, 40
	s_waitcnt lgkmcnt(3)
	v_pk_fma_f32 v[18:19], v[6:7], v[18:19], 0 op_sel_hi:[0,1,0]
	s_waitcnt lgkmcnt(2)
	v_mov_b32_e32 v6, v11
	v_pk_fma_f32 v[8:9], v[10:11], v[8:9], v[18:19] op_sel_hi:[0,1,1]
	s_waitcnt lgkmcnt(1)
	v_cvt_f32_f16_e32 v18, v12
	v_cvt_f32_f16_sdwa v19, v12 dst_sel:DWORD dst_unused:UNUSED_PAD src0_sel:WORD_1
	v_cvt_f32_f16_e32 v10, v13
	v_cvt_f32_f16_sdwa v11, v13 dst_sel:DWORD dst_unused:UNUSED_PAD src0_sel:WORD_1
	v_mad_u64_u32 v[16:17], s[20:21], v1, s20, v[42:43]
	v_pk_fma_f32 v[8:9], v[6:7], v[18:19], v[8:9] op_sel_hi:[0,1,1]
	s_waitcnt lgkmcnt(0)
	v_pk_fma_f32 v[8:9], v[14:15], v[10:11], v[8:9] op_sel_hi:[0,1,1]
	v_div_scale_f32 v1, s[20:21], v7, v7, v9
	v_rcp_f32_e32 v6, v1
	v_ashrrev_i32_e32 v17, 31, v16
	v_lshl_add_u64 v[16:17], v[16:17], 3, s[92:93]
	v_fma_f32 v10, -v1, v6, 1.0
	v_fmac_f32_e32 v6, v10, v6
	v_div_scale_f32 v10, vcc, v9, v7, v9
	v_mul_f32_e32 v11, v10, v6
	v_fma_f32 v12, -v1, v11, v10
	v_fmac_f32_e32 v11, v12, v6
	v_fma_f32 v1, -v1, v11, v10
	v_div_fmas_f32 v1, v1, v6, v11
	v_div_fixup_f32 v9, v1, v7, v9
	v_div_scale_f32 v1, s[20:21], v7, v7, v8
	v_rcp_f32_e32 v6, v1
	s_nop 0
	v_fma_f32 v10, -v1, v6, 1.0
	v_fmac_f32_e32 v6, v10, v6
	v_div_scale_f32 v10, vcc, v8, v7, v8
	v_mul_f32_e32 v11, v10, v6
	v_fma_f32 v12, -v1, v11, v10
	v_fmac_f32_e32 v11, v12, v6
	v_fma_f32 v1, -v1, v11, v10
	v_div_fmas_f32 v1, v1, v6, v11
	v_div_fixup_f32 v8, v1, v7, v8
	v_mov_b32_e32 v6, 0
	global_store_dwordx2 v[16:17], v[8:9], off
.LBB14_181:                             ;   in Loop: Header=BB14_14 Depth=1
	s_or_b64 exec, exec, s[26:27]
	s_movk_i32 s20, 0x47
	v_cmp_gt_i32_e32 vcc, s20, v6
	s_mov_b64 s[26:27], -1
	s_and_saveexec_b64 s[28:29], vcc
; %bb.182:                              ;   in Loop: Header=BB14_14 Depth=1
	v_cmp_eq_u32_e32 vcc, 0, v6
	s_orn2_b64 s[26:27], vcc, exec
; %bb.183:                              ;   in Loop: Header=BB14_14 Depth=1
	s_or_b64 exec, exec, s[28:29]
	s_and_b64 exec, exec, s[26:27]
	s_cbranch_execz .LBB14_196
; %bb.184:                              ;   in Loop: Header=BB14_14 Depth=1
	v_add_u32_e32 v1, s72, v120
	v_cmp_gt_i32_e32 vcc, s52, v1
	v_mov_b32_e32 v6, 0x47
	s_and_saveexec_b64 s[26:27], vcc
	s_cbranch_execz .LBB14_186
; %bb.185:                              ;   in Loop: Header=BB14_14 Depth=1
	v_add_u32_e32 v12, v141, v133
	ds_read2st64_b32 v[8:9], v12 offset1:13
	v_add_u32_e32 v14, 0, v133
	ds_read2_b32 v[6:7], v14 offset0:48 offset1:49
	v_add_u32_e32 v10, 0xc0, v14
	ds_read2st64_b32 v[10:11], v10 offset0:13 offset1:26
	ds_read2st64_b32 v[12:13], v12 offset0:26 offset1:39
	ds_read_b32 v14, v14 offset:10176
	s_waitcnt lgkmcnt(4)
	v_cvt_f32_f16_e32 v18, v8
	v_cvt_f32_f16_sdwa v19, v8 dst_sel:DWORD dst_unused:UNUSED_PAD src0_sel:WORD_1
	v_cvt_f32_f16_e32 v8, v9
	v_cvt_f32_f16_sdwa v9, v9 dst_sel:DWORD dst_unused:UNUSED_PAD src0_sel:WORD_1
	v_readlane_b32 s20, v186, 40
	s_waitcnt lgkmcnt(3)
	v_pk_fma_f32 v[18:19], v[6:7], v[18:19], 0 op_sel_hi:[0,1,0]
	s_waitcnt lgkmcnt(2)
	v_mov_b32_e32 v6, v11
	v_pk_fma_f32 v[8:9], v[10:11], v[8:9], v[18:19] op_sel_hi:[0,1,1]
	s_waitcnt lgkmcnt(1)
	v_cvt_f32_f16_e32 v18, v12
	v_cvt_f32_f16_sdwa v19, v12 dst_sel:DWORD dst_unused:UNUSED_PAD src0_sel:WORD_1
	v_cvt_f32_f16_e32 v10, v13
	v_cvt_f32_f16_sdwa v11, v13 dst_sel:DWORD dst_unused:UNUSED_PAD src0_sel:WORD_1
	v_mad_u64_u32 v[16:17], s[20:21], v1, s20, v[42:43]
	v_pk_fma_f32 v[8:9], v[6:7], v[18:19], v[8:9] op_sel_hi:[0,1,1]
	s_waitcnt lgkmcnt(0)
	v_pk_fma_f32 v[8:9], v[14:15], v[10:11], v[8:9] op_sel_hi:[0,1,1]
	v_div_scale_f32 v1, s[20:21], v7, v7, v9
	v_rcp_f32_e32 v6, v1
	v_ashrrev_i32_e32 v17, 31, v16
	v_lshl_add_u64 v[16:17], v[16:17], 3, s[92:93]
	v_fma_f32 v10, -v1, v6, 1.0
	v_fmac_f32_e32 v6, v10, v6
	v_div_scale_f32 v10, vcc, v9, v7, v9
	v_mul_f32_e32 v11, v10, v6
	v_fma_f32 v12, -v1, v11, v10
	v_fmac_f32_e32 v11, v12, v6
	v_fma_f32 v1, -v1, v11, v10
	v_div_fmas_f32 v1, v1, v6, v11
	v_div_fixup_f32 v9, v1, v7, v9
	v_div_scale_f32 v1, s[20:21], v7, v7, v8
	v_rcp_f32_e32 v6, v1
	s_nop 0
	v_fma_f32 v10, -v1, v6, 1.0
	v_fmac_f32_e32 v6, v10, v6
	v_div_scale_f32 v10, vcc, v8, v7, v8
	v_mul_f32_e32 v11, v10, v6
	v_fma_f32 v12, -v1, v11, v10
	v_fmac_f32_e32 v11, v12, v6
	v_fma_f32 v1, -v1, v11, v10
	v_div_fmas_f32 v1, v1, v6, v11
	v_div_fixup_f32 v8, v1, v7, v8
	v_mov_b32_e32 v6, 0
	global_store_dwordx2 v[16:17], v[8:9], off
.LBB14_186:                             ;   in Loop: Header=BB14_14 Depth=1
	s_or_b64 exec, exec, s[26:27]
	s_movk_i32 s20, 0x47
	v_cmp_gt_i32_e32 vcc, s20, v6
	s_mov_b64 s[26:27], -1
	s_and_saveexec_b64 s[28:29], vcc
; %bb.187:                              ;   in Loop: Header=BB14_14 Depth=1
	v_cmp_eq_u32_e32 vcc, 0, v6
	s_orn2_b64 s[26:27], vcc, exec
; %bb.188:                              ;   in Loop: Header=BB14_14 Depth=1
	s_or_b64 exec, exec, s[28:29]
	s_and_b64 exec, exec, s[26:27]
	s_cbranch_execz .LBB14_196
; %bb.189:                              ;   in Loop: Header=BB14_14 Depth=1
	v_add_u32_e32 v1, s72, v121
	v_cmp_gt_i32_e32 vcc, s52, v1
	v_mov_b32_e32 v6, 0x47
	s_and_saveexec_b64 s[26:27], vcc
	s_cbranch_execz .LBB14_191
; %bb.190:                              ;   in Loop: Header=BB14_14 Depth=1
	v_add_u32_e32 v12, v141, v134
	ds_read2st64_b32 v[8:9], v12 offset1:13
	v_add_u32_e32 v14, 0, v134
	ds_read2_b32 v[6:7], v14 offset0:48 offset1:49
	v_add_u32_e32 v10, 0xc0, v14
	ds_read2st64_b32 v[10:11], v10 offset0:13 offset1:26
	ds_read2st64_b32 v[12:13], v12 offset0:26 offset1:39
	ds_read_b32 v14, v14 offset:10176
	s_waitcnt lgkmcnt(4)
	v_cvt_f32_f16_e32 v18, v8
	v_cvt_f32_f16_sdwa v19, v8 dst_sel:DWORD dst_unused:UNUSED_PAD src0_sel:WORD_1
	v_cvt_f32_f16_e32 v8, v9
	v_cvt_f32_f16_sdwa v9, v9 dst_sel:DWORD dst_unused:UNUSED_PAD src0_sel:WORD_1
	v_readlane_b32 s20, v186, 40
	s_waitcnt lgkmcnt(3)
	v_pk_fma_f32 v[18:19], v[6:7], v[18:19], 0 op_sel_hi:[0,1,0]
	s_waitcnt lgkmcnt(2)
	v_mov_b32_e32 v6, v11
	v_pk_fma_f32 v[8:9], v[10:11], v[8:9], v[18:19] op_sel_hi:[0,1,1]
	s_waitcnt lgkmcnt(1)
	v_cvt_f32_f16_e32 v18, v12
	v_cvt_f32_f16_sdwa v19, v12 dst_sel:DWORD dst_unused:UNUSED_PAD src0_sel:WORD_1
	v_cvt_f32_f16_e32 v10, v13
	v_cvt_f32_f16_sdwa v11, v13 dst_sel:DWORD dst_unused:UNUSED_PAD src0_sel:WORD_1
	v_mad_u64_u32 v[16:17], s[20:21], v1, s20, v[42:43]
	v_pk_fma_f32 v[8:9], v[6:7], v[18:19], v[8:9] op_sel_hi:[0,1,1]
	s_waitcnt lgkmcnt(0)
	v_pk_fma_f32 v[8:9], v[14:15], v[10:11], v[8:9] op_sel_hi:[0,1,1]
	v_div_scale_f32 v1, s[20:21], v7, v7, v9
	v_rcp_f32_e32 v6, v1
	v_ashrrev_i32_e32 v17, 31, v16
	v_lshl_add_u64 v[16:17], v[16:17], 3, s[92:93]
	v_fma_f32 v10, -v1, v6, 1.0
	v_fmac_f32_e32 v6, v10, v6
	v_div_scale_f32 v10, vcc, v9, v7, v9
	v_mul_f32_e32 v11, v10, v6
	v_fma_f32 v12, -v1, v11, v10
	v_fmac_f32_e32 v11, v12, v6
	v_fma_f32 v1, -v1, v11, v10
	v_div_fmas_f32 v1, v1, v6, v11
	v_div_fixup_f32 v9, v1, v7, v9
	v_div_scale_f32 v1, s[20:21], v7, v7, v8
	v_rcp_f32_e32 v6, v1
	s_nop 0
	v_fma_f32 v10, -v1, v6, 1.0
	v_fmac_f32_e32 v6, v10, v6
	v_div_scale_f32 v10, vcc, v8, v7, v8
	v_mul_f32_e32 v11, v10, v6
	v_fma_f32 v12, -v1, v11, v10
	v_fmac_f32_e32 v11, v12, v6
	v_fma_f32 v1, -v1, v11, v10
	v_div_fmas_f32 v1, v1, v6, v11
	v_div_fixup_f32 v8, v1, v7, v8
	v_mov_b32_e32 v6, 0
	global_store_dwordx2 v[16:17], v[8:9], off
.LBB14_191:                             ;   in Loop: Header=BB14_14 Depth=1
	s_or_b64 exec, exec, s[26:27]
	s_movk_i32 s20, 0x47
	v_cmp_gt_i32_e32 vcc, s20, v6
	s_mov_b64 s[26:27], -1
	s_and_saveexec_b64 s[28:29], vcc
; %bb.192:                              ;   in Loop: Header=BB14_14 Depth=1
	v_cmp_eq_u32_e32 vcc, 0, v6
	s_orn2_b64 s[26:27], vcc, exec
; %bb.193:                              ;   in Loop: Header=BB14_14 Depth=1
	s_or_b64 exec, exec, s[28:29]
	s_and_b64 exec, exec, s[26:27]
	s_cbranch_execz .LBB14_196
; %bb.194:                              ;   in Loop: Header=BB14_14 Depth=1
	v_add_u32_e32 v1, s72, v122
	v_cmp_gt_i32_e32 vcc, s52, v1
	s_and_b64 exec, exec, vcc
	s_cbranch_execz .LBB14_196
; %bb.195:                              ;   in Loop: Header=BB14_14 Depth=1
	v_add_u32_e32 v12, v141, v135
	ds_read2st64_b32 v[8:9], v12 offset1:13
	v_add_u32_e32 v14, 0, v135
	ds_read2_b32 v[6:7], v14 offset0:48 offset1:49
	v_add_u32_e32 v10, 0xc0, v14
	ds_read2st64_b32 v[10:11], v10 offset0:13 offset1:26
	ds_read2st64_b32 v[12:13], v12 offset0:26 offset1:39
	ds_read_b32 v14, v14 offset:10176
	s_waitcnt lgkmcnt(4)
	v_cvt_f32_f16_e32 v18, v8
	v_cvt_f32_f16_sdwa v19, v8 dst_sel:DWORD dst_unused:UNUSED_PAD src0_sel:WORD_1
	v_cvt_f32_f16_e32 v8, v9
	v_cvt_f32_f16_sdwa v9, v9 dst_sel:DWORD dst_unused:UNUSED_PAD src0_sel:WORD_1
	v_readlane_b32 s20, v186, 40
	s_waitcnt lgkmcnt(3)
	v_pk_fma_f32 v[18:19], v[6:7], v[18:19], 0 op_sel_hi:[0,1,0]
	s_waitcnt lgkmcnt(2)
	v_mov_b32_e32 v6, v11
	v_pk_fma_f32 v[8:9], v[10:11], v[8:9], v[18:19] op_sel_hi:[0,1,1]
	s_waitcnt lgkmcnt(1)
	v_cvt_f32_f16_e32 v18, v12
	v_cvt_f32_f16_sdwa v19, v12 dst_sel:DWORD dst_unused:UNUSED_PAD src0_sel:WORD_1
	v_cvt_f32_f16_e32 v10, v13
	v_cvt_f32_f16_sdwa v11, v13 dst_sel:DWORD dst_unused:UNUSED_PAD src0_sel:WORD_1
	v_mad_u64_u32 v[16:17], s[20:21], v1, s20, v[42:43]
	v_pk_fma_f32 v[8:9], v[6:7], v[18:19], v[8:9] op_sel_hi:[0,1,1]
	s_waitcnt lgkmcnt(0)
	v_pk_fma_f32 v[8:9], v[14:15], v[10:11], v[8:9] op_sel_hi:[0,1,1]
	v_div_scale_f32 v1, s[20:21], v7, v7, v9
	v_rcp_f32_e32 v6, v1
	v_ashrrev_i32_e32 v17, 31, v16
	v_lshl_add_u64 v[16:17], v[16:17], 3, s[92:93]
	v_fma_f32 v10, -v1, v6, 1.0
	v_fmac_f32_e32 v6, v10, v6
	v_div_scale_f32 v10, vcc, v9, v7, v9
	v_mul_f32_e32 v11, v10, v6
	v_fma_f32 v12, -v1, v11, v10
	v_fmac_f32_e32 v11, v12, v6
	v_fma_f32 v1, -v1, v11, v10
	v_div_fmas_f32 v1, v1, v6, v11
	v_div_fixup_f32 v9, v1, v7, v9
	v_div_scale_f32 v1, s[20:21], v7, v7, v8
	v_rcp_f32_e32 v6, v1
	s_nop 0
	v_fma_f32 v10, -v1, v6, 1.0
	v_fmac_f32_e32 v6, v10, v6
	v_div_scale_f32 v10, vcc, v8, v7, v8
	v_mul_f32_e32 v11, v10, v6
	v_fma_f32 v12, -v1, v11, v10
	v_fmac_f32_e32 v11, v12, v6
	v_fma_f32 v1, -v1, v11, v10
	v_div_fmas_f32 v1, v1, v6, v11
	v_div_fixup_f32 v8, v1, v7, v8
	global_store_dwordx2 v[16:17], v[8:9], off
.LBB14_196:                             ;   in Loop: Header=BB14_14 Depth=1
	s_or_b64 exec, exec, s[24:25]
	v_add_u32_e32 v6, s72, v115
	v_cmp_gt_i32_e32 vcc, s52, v6
	v_mov_b32_e32 v1, 0x47
	s_and_saveexec_b64 s[24:25], vcc
	s_cbranch_execz .LBB14_198
; %bb.197:                              ;   in Loop: Header=BB14_14 Depth=1
	v_add_u32_e32 v7, v142, v136
	v_add_u32_e32 v7, 0x80, v7
	ds_read2st64_b32 v[10:11], v7 offset1:13
	v_add_u32_e32 v1, 0, v136
	ds_read2_b32 v[8:9], v1 offset0:48 offset1:49
	v_add_u32_e32 v12, 0xc0, v1
	ds_read2st64_b32 v[12:13], v12 offset0:13 offset1:26
	ds_read2st64_b32 v[14:15], v7 offset0:26 offset1:39
	ds_read_b32 v16, v1 offset:10176
	s_waitcnt lgkmcnt(4)
	v_cvt_f32_f16_e32 v18, v10
	v_cvt_f32_f16_sdwa v19, v10 dst_sel:DWORD dst_unused:UNUSED_PAD src0_sel:WORD_1
	v_cvt_f32_f16_e32 v10, v11
	v_cvt_f32_f16_sdwa v11, v11 dst_sel:DWORD dst_unused:UNUSED_PAD src0_sel:WORD_1
	v_readlane_b32 s20, v186, 40
	s_waitcnt lgkmcnt(3)
	v_pk_fma_f32 v[18:19], v[8:9], v[18:19], 0 op_sel_hi:[0,1,0]
	s_waitcnt lgkmcnt(2)
	v_mov_b32_e32 v8, v13
	v_pk_fma_f32 v[10:11], v[12:13], v[10:11], v[18:19] op_sel_hi:[0,1,1]
	s_waitcnt lgkmcnt(1)
	v_cvt_f32_f16_e32 v18, v14
	v_cvt_f32_f16_sdwa v19, v14 dst_sel:DWORD dst_unused:UNUSED_PAD src0_sel:WORD_1
	v_cvt_f32_f16_e32 v12, v15
	v_cvt_f32_f16_sdwa v13, v15 dst_sel:DWORD dst_unused:UNUSED_PAD src0_sel:WORD_1
	v_mul_lo_u32 v6, v6, s20
	v_pk_fma_f32 v[10:11], v[8:9], v[18:19], v[10:11] op_sel_hi:[0,1,1]
	v_ashrrev_i32_e32 v7, 31, v6
	s_waitcnt lgkmcnt(0)
	v_pk_fma_f32 v[10:11], v[16:17], v[12:13], v[10:11] op_sel_hi:[0,1,1]
	v_div_scale_f32 v1, s[20:21], v9, v9, v11
	v_rcp_f32_e32 v8, v1
	v_lshl_add_u64 v[6:7], v[6:7], 0, v[44:45]
	v_lshl_add_u64 v[6:7], v[6:7], 3, s[92:93]
	v_fma_f32 v12, -v1, v8, 1.0
	v_fmac_f32_e32 v8, v12, v8
	v_div_scale_f32 v12, vcc, v11, v9, v11
	v_mul_f32_e32 v13, v12, v8
	v_fma_f32 v14, -v1, v13, v12
	v_fmac_f32_e32 v13, v14, v8
	v_fma_f32 v1, -v1, v13, v12
	v_div_fmas_f32 v1, v1, v8, v13
	v_div_fixup_f32 v11, v1, v9, v11
	v_div_scale_f32 v1, s[20:21], v9, v9, v10
	v_rcp_f32_e32 v8, v1
	s_nop 0
	v_fma_f32 v12, -v1, v8, 1.0
	v_fmac_f32_e32 v8, v12, v8
	v_div_scale_f32 v12, vcc, v10, v9, v10
	v_mul_f32_e32 v13, v12, v8
	v_fma_f32 v14, -v1, v13, v12
	v_fmac_f32_e32 v13, v14, v8
	v_fma_f32 v1, -v1, v13, v12
	v_div_fmas_f32 v1, v1, v8, v13
	v_div_fixup_f32 v10, v1, v9, v10
	v_mov_b32_e32 v1, 0
	global_store_dwordx2 v[6:7], v[10:11], off offset:256
.LBB14_198:                             ;   in Loop: Header=BB14_14 Depth=1
	s_or_b64 exec, exec, s[24:25]
	s_movk_i32 s20, 0x47
	v_cmp_gt_i32_e32 vcc, s20, v1
	s_mov_b64 s[24:25], -1
	s_and_saveexec_b64 s[26:27], vcc
; %bb.199:                              ;   in Loop: Header=BB14_14 Depth=1
	v_cmp_eq_u32_e32 vcc, 0, v1
	s_orn2_b64 s[24:25], vcc, exec
; %bb.200:                              ;   in Loop: Header=BB14_14 Depth=1
	s_or_b64 exec, exec, s[26:27]
	s_and_b64 exec, exec, s[24:25]
	s_cbranch_execz .LBB14_12
; %bb.201:                              ;   in Loop: Header=BB14_14 Depth=1
	v_add_u32_e32 v6, s72, v123
	v_cmp_gt_i32_e32 vcc, s52, v6
	v_mov_b32_e32 v1, 0x47
	s_and_saveexec_b64 s[24:25], vcc
	s_cbranch_execz .LBB14_203
; %bb.202:                              ;   in Loop: Header=BB14_14 Depth=1
	v_add_u32_e32 v7, v142, v137
	v_add_u32_e32 v7, 0x80, v7
	ds_read2st64_b32 v[10:11], v7 offset1:13
	v_add_u32_e32 v1, 0, v137
	ds_read2_b32 v[8:9], v1 offset0:48 offset1:49
	v_add_u32_e32 v12, 0xc0, v1
	ds_read2st64_b32 v[12:13], v12 offset0:13 offset1:26
	ds_read2st64_b32 v[14:15], v7 offset0:26 offset1:39
	ds_read_b32 v16, v1 offset:10176
	s_waitcnt lgkmcnt(4)
	v_cvt_f32_f16_e32 v18, v10
	v_cvt_f32_f16_sdwa v19, v10 dst_sel:DWORD dst_unused:UNUSED_PAD src0_sel:WORD_1
	v_cvt_f32_f16_e32 v10, v11
	v_cvt_f32_f16_sdwa v11, v11 dst_sel:DWORD dst_unused:UNUSED_PAD src0_sel:WORD_1
	v_readlane_b32 s20, v186, 40
	s_waitcnt lgkmcnt(3)
	v_pk_fma_f32 v[18:19], v[8:9], v[18:19], 0 op_sel_hi:[0,1,0]
	s_waitcnt lgkmcnt(2)
	v_mov_b32_e32 v8, v13
	v_pk_fma_f32 v[10:11], v[12:13], v[10:11], v[18:19] op_sel_hi:[0,1,1]
	s_waitcnt lgkmcnt(1)
	v_cvt_f32_f16_e32 v18, v14
	v_cvt_f32_f16_sdwa v19, v14 dst_sel:DWORD dst_unused:UNUSED_PAD src0_sel:WORD_1
	v_cvt_f32_f16_e32 v12, v15
	v_cvt_f32_f16_sdwa v13, v15 dst_sel:DWORD dst_unused:UNUSED_PAD src0_sel:WORD_1
	v_mul_lo_u32 v6, v6, s20
	v_pk_fma_f32 v[10:11], v[8:9], v[18:19], v[10:11] op_sel_hi:[0,1,1]
	v_ashrrev_i32_e32 v7, 31, v6
	s_waitcnt lgkmcnt(0)
	v_pk_fma_f32 v[10:11], v[16:17], v[12:13], v[10:11] op_sel_hi:[0,1,1]
	v_div_scale_f32 v1, s[20:21], v9, v9, v11
	v_rcp_f32_e32 v8, v1
	v_lshl_add_u64 v[6:7], v[6:7], 0, v[44:45]
	v_lshl_add_u64 v[6:7], v[6:7], 3, s[92:93]
	v_fma_f32 v12, -v1, v8, 1.0
	v_fmac_f32_e32 v8, v12, v8
	v_div_scale_f32 v12, vcc, v11, v9, v11
	v_mul_f32_e32 v13, v12, v8
	v_fma_f32 v14, -v1, v13, v12
	v_fmac_f32_e32 v13, v14, v8
	v_fma_f32 v1, -v1, v13, v12
	v_div_fmas_f32 v1, v1, v8, v13
	v_div_fixup_f32 v11, v1, v9, v11
	v_div_scale_f32 v1, s[20:21], v9, v9, v10
	v_rcp_f32_e32 v8, v1
	s_nop 0
	v_fma_f32 v12, -v1, v8, 1.0
	v_fmac_f32_e32 v8, v12, v8
	v_div_scale_f32 v12, vcc, v10, v9, v10
	v_mul_f32_e32 v13, v12, v8
	v_fma_f32 v14, -v1, v13, v12
	v_fmac_f32_e32 v13, v14, v8
	v_fma_f32 v1, -v1, v13, v12
	v_div_fmas_f32 v1, v1, v8, v13
	v_div_fixup_f32 v10, v1, v9, v10
	v_mov_b32_e32 v1, 0
	global_store_dwordx2 v[6:7], v[10:11], off offset:256
.LBB14_203:                             ;   in Loop: Header=BB14_14 Depth=1
	s_or_b64 exec, exec, s[24:25]
	s_movk_i32 s20, 0x47
	v_cmp_gt_i32_e32 vcc, s20, v1
	s_mov_b64 s[24:25], -1
	s_and_saveexec_b64 s[26:27], vcc
; %bb.204:                              ;   in Loop: Header=BB14_14 Depth=1
	v_cmp_eq_u32_e32 vcc, 0, v1
	s_orn2_b64 s[24:25], vcc, exec
; %bb.205:                              ;   in Loop: Header=BB14_14 Depth=1
	s_or_b64 exec, exec, s[26:27]
	s_and_b64 exec, exec, s[24:25]
	s_cbranch_execz .LBB14_12
; %bb.206:                              ;   in Loop: Header=BB14_14 Depth=1
	v_add_u32_e32 v6, s72, v124
	v_cmp_gt_i32_e32 vcc, s52, v6
	v_mov_b32_e32 v1, 0x47
	s_and_saveexec_b64 s[24:25], vcc
	s_cbranch_execz .LBB14_208
; %bb.207:                              ;   in Loop: Header=BB14_14 Depth=1
	v_add_u32_e32 v7, v142, v138
	v_add_u32_e32 v7, 0x80, v7
	ds_read2st64_b32 v[10:11], v7 offset1:13
	v_add_u32_e32 v1, 0, v138
	ds_read2_b32 v[8:9], v1 offset0:48 offset1:49
	v_add_u32_e32 v12, 0xc0, v1
	ds_read2st64_b32 v[12:13], v12 offset0:13 offset1:26
	ds_read2st64_b32 v[14:15], v7 offset0:26 offset1:39
	ds_read_b32 v16, v1 offset:10176
	s_waitcnt lgkmcnt(4)
	v_cvt_f32_f16_e32 v18, v10
	v_cvt_f32_f16_sdwa v19, v10 dst_sel:DWORD dst_unused:UNUSED_PAD src0_sel:WORD_1
	v_cvt_f32_f16_e32 v10, v11
	v_cvt_f32_f16_sdwa v11, v11 dst_sel:DWORD dst_unused:UNUSED_PAD src0_sel:WORD_1
	v_readlane_b32 s20, v186, 40
	s_waitcnt lgkmcnt(3)
	v_pk_fma_f32 v[18:19], v[8:9], v[18:19], 0 op_sel_hi:[0,1,0]
	s_waitcnt lgkmcnt(2)
	v_mov_b32_e32 v8, v13
	v_pk_fma_f32 v[10:11], v[12:13], v[10:11], v[18:19] op_sel_hi:[0,1,1]
	s_waitcnt lgkmcnt(1)
	v_cvt_f32_f16_e32 v18, v14
	v_cvt_f32_f16_sdwa v19, v14 dst_sel:DWORD dst_unused:UNUSED_PAD src0_sel:WORD_1
	v_cvt_f32_f16_e32 v12, v15
	v_cvt_f32_f16_sdwa v13, v15 dst_sel:DWORD dst_unused:UNUSED_PAD src0_sel:WORD_1
	v_mul_lo_u32 v6, v6, s20
	v_pk_fma_f32 v[10:11], v[8:9], v[18:19], v[10:11] op_sel_hi:[0,1,1]
	v_ashrrev_i32_e32 v7, 31, v6
	s_waitcnt lgkmcnt(0)
	v_pk_fma_f32 v[10:11], v[16:17], v[12:13], v[10:11] op_sel_hi:[0,1,1]
	v_div_scale_f32 v1, s[20:21], v9, v9, v11
	v_rcp_f32_e32 v8, v1
	v_lshl_add_u64 v[6:7], v[6:7], 0, v[44:45]
	v_lshl_add_u64 v[6:7], v[6:7], 3, s[92:93]
	v_fma_f32 v12, -v1, v8, 1.0
	v_fmac_f32_e32 v8, v12, v8
	v_div_scale_f32 v12, vcc, v11, v9, v11
	v_mul_f32_e32 v13, v12, v8
	v_fma_f32 v14, -v1, v13, v12
	v_fmac_f32_e32 v13, v14, v8
	v_fma_f32 v1, -v1, v13, v12
	v_div_fmas_f32 v1, v1, v8, v13
	v_div_fixup_f32 v11, v1, v9, v11
	v_div_scale_f32 v1, s[20:21], v9, v9, v10
	v_rcp_f32_e32 v8, v1
	s_nop 0
	v_fma_f32 v12, -v1, v8, 1.0
	v_fmac_f32_e32 v8, v12, v8
	v_div_scale_f32 v12, vcc, v10, v9, v10
	v_mul_f32_e32 v13, v12, v8
	v_fma_f32 v14, -v1, v13, v12
	v_fmac_f32_e32 v13, v14, v8
	v_fma_f32 v1, -v1, v13, v12
	v_div_fmas_f32 v1, v1, v8, v13
	v_div_fixup_f32 v10, v1, v9, v10
	v_mov_b32_e32 v1, 0
	global_store_dwordx2 v[6:7], v[10:11], off offset:256
.LBB14_208:                             ;   in Loop: Header=BB14_14 Depth=1
	s_or_b64 exec, exec, s[24:25]
	s_movk_i32 s20, 0x47
	v_cmp_gt_i32_e32 vcc, s20, v1
	s_mov_b64 s[24:25], -1
	s_and_saveexec_b64 s[26:27], vcc
; %bb.209:                              ;   in Loop: Header=BB14_14 Depth=1
	v_cmp_eq_u32_e32 vcc, 0, v1
	s_orn2_b64 s[24:25], vcc, exec
; %bb.210:                              ;   in Loop: Header=BB14_14 Depth=1
	s_or_b64 exec, exec, s[26:27]
	s_and_b64 exec, exec, s[24:25]
	s_cbranch_execz .LBB14_12
; %bb.211:                              ;   in Loop: Header=BB14_14 Depth=1
	v_add_u32_e32 v1, s72, v125
	v_cmp_gt_i32_e32 vcc, s52, v1
	s_and_b64 exec, exec, vcc
	s_cbranch_execz .LBB14_12
; %bb.212:                              ;   in Loop: Header=BB14_14 Depth=1
	v_add_u32_e32 v7, v142, v139
	v_add_u32_e32 v7, 0x80, v7
	ds_read2st64_b32 v[10:11], v7 offset1:13
	v_readlane_b32 s20, v186, 40
	s_waitcnt lgkmcnt(0)
	v_cvt_f32_f16_e32 v18, v10
	v_mul_lo_u32 v6, v1, s20
	v_add_u32_e32 v1, 0, v139
	ds_read2_b32 v[8:9], v1 offset0:48 offset1:49
	v_add_u32_e32 v12, 0xc0, v1
	v_cvt_f32_f16_sdwa v19, v10 dst_sel:DWORD dst_unused:UNUSED_PAD src0_sel:WORD_1
	ds_read2st64_b32 v[12:13], v12 offset0:13 offset1:26
	ds_read2st64_b32 v[14:15], v7 offset0:26 offset1:39
	ds_read_b32 v16, v1 offset:10176
	v_cvt_f32_f16_e32 v10, v11
	v_cvt_f32_f16_sdwa v11, v11 dst_sel:DWORD dst_unused:UNUSED_PAD src0_sel:WORD_1
	s_waitcnt lgkmcnt(3)
	v_pk_fma_f32 v[18:19], v[8:9], v[18:19], 0 op_sel_hi:[0,1,0]
	s_waitcnt lgkmcnt(2)
	v_mov_b32_e32 v8, v13
	v_ashrrev_i32_e32 v7, 31, v6
	v_pk_fma_f32 v[10:11], v[12:13], v[10:11], v[18:19] op_sel_hi:[0,1,1]
	s_waitcnt lgkmcnt(1)
	v_cvt_f32_f16_e32 v18, v14
	v_cvt_f32_f16_sdwa v19, v14 dst_sel:DWORD dst_unused:UNUSED_PAD src0_sel:WORD_1
	v_cvt_f32_f16_e32 v12, v15
	v_cvt_f32_f16_sdwa v13, v15 dst_sel:DWORD dst_unused:UNUSED_PAD src0_sel:WORD_1
	v_lshl_add_u64 v[6:7], v[6:7], 0, v[44:45]
	v_pk_fma_f32 v[10:11], v[8:9], v[18:19], v[10:11] op_sel_hi:[0,1,1]
	v_lshl_add_u64 v[6:7], v[6:7], 3, s[92:93]
	s_waitcnt lgkmcnt(0)
	v_pk_fma_f32 v[10:11], v[16:17], v[12:13], v[10:11] op_sel_hi:[0,1,1]
	v_div_scale_f32 v1, s[20:21], v9, v9, v11
	v_rcp_f32_e32 v8, v1
	s_nop 0
	v_fma_f32 v12, -v1, v8, 1.0
	v_fmac_f32_e32 v8, v12, v8
	v_div_scale_f32 v12, vcc, v11, v9, v11
	v_mul_f32_e32 v13, v12, v8
	v_fma_f32 v14, -v1, v13, v12
	v_fmac_f32_e32 v13, v14, v8
	v_fma_f32 v1, -v1, v13, v12
	v_div_fmas_f32 v1, v1, v8, v13
	v_div_fixup_f32 v11, v1, v9, v11
	v_div_scale_f32 v1, s[20:21], v9, v9, v10
	v_rcp_f32_e32 v8, v1
	s_nop 0
	v_fma_f32 v12, -v1, v8, 1.0
	v_fmac_f32_e32 v8, v12, v8
	v_div_scale_f32 v12, vcc, v10, v9, v10
	v_mul_f32_e32 v13, v12, v8
	v_fma_f32 v14, -v1, v13, v12
	v_fmac_f32_e32 v13, v14, v8
	v_fma_f32 v1, -v1, v13, v12
	v_div_fmas_f32 v1, v1, v8, v13
	v_div_fixup_f32 v10, v1, v9, v10
	global_store_dwordx2 v[6:7], v[10:11], off offset:256
	s_branch .LBB14_12
.LBB14_213:
	v_readlane_b32 s12, v186, 25
	v_readlane_b32 s60, v186, 37
	;; [unrolled: 1-line block ×10, first 2 shown]
	s_andn2_b64 vcc, exec, s[22:23]
	s_cbranch_vccnz .LBB14_10
.LBB14_214:
	v_readlane_b32 s7, v186, 7
	s_abs_i32 s0, s7
	v_cvt_f32_u32_e32 v1, s0
	s_sub_i32 s3, 0, s0
	s_abs_i32 s2, s78
	s_xor_b32 s1, s78, s7
	v_rcp_iflag_f32_e32 v1, v1
	s_ashr_i32 s1, s1, 31
	v_readlane_b32 s8, v186, 6
	v_readlane_b32 s9, v186, 3
	v_mul_f32_e32 v1, 0x4f7ffffe, v1
	v_cvt_u32_f32_e32 v1, v1
	s_nop 0
	v_readfirstlane_b32 s4, v1
	s_mul_i32 s3, s3, s4
	s_mul_hi_u32 s3, s4, s3
	s_add_i32 s4, s4, s3
	s_mul_hi_u32 s3, s2, s4
	s_mul_i32 s4, s3, s0
	s_sub_i32 s2, s2, s4
	s_add_i32 s5, s3, 1
	s_sub_i32 s4, s2, s0
	s_cmp_ge_u32 s2, s0
	s_cselect_b32 s3, s5, s3
	s_cselect_b32 s2, s4, s2
	s_add_i32 s4, s3, 1
	s_cmp_ge_u32 s2, s0
	s_cselect_b32 s0, s4, s3
	s_abs_i32 s2, s8
	v_cvt_f32_u32_e32 v1, s2
	s_xor_b32 s0, s0, s1
	s_sub_i32 s3, 0, s2
	s_sub_i32 s6, s0, s1
	v_rcp_iflag_f32_e32 v1, v1
	s_mul_i32 s0, s6, s7
	s_sub_i32 s0, s78, s0
	s_abs_i32 s4, s0
	v_mul_f32_e32 v1, 0x4f7ffffe, v1
	v_cvt_u32_f32_e32 v1, v1
	s_xor_b32 s1, s0, s8
	s_ashr_i32 s1, s1, 31
	v_readfirstlane_b32 s5, v1
	s_mul_i32 s3, s3, s5
	s_mul_hi_u32 s3, s5, s3
	s_add_i32 s5, s5, s3
	s_mul_hi_u32 s3, s4, s5
	s_mul_i32 s5, s3, s2
	s_sub_i32 s4, s4, s5
	s_add_i32 s7, s3, 1
	s_sub_i32 s5, s4, s2
	s_cmp_ge_u32 s4, s2
	s_cselect_b32 s3, s7, s3
	s_cselect_b32 s4, s5, s4
	s_add_i32 s5, s3, 1
	s_cmp_ge_u32 s4, s2
	s_cselect_b32 s2, s5, s3
	s_abs_i32 s3, s9
	v_cvt_f32_u32_e32 v1, s3
	s_xor_b32 s2, s2, s1
	s_sub_i32 s4, 0, s3
	s_sub_i32 s7, s2, s1
	v_rcp_iflag_f32_e32 v1, v1
	s_mul_i32 s1, s7, s8
	s_sub_i32 s1, s0, s1
	s_abs_i32 s2, s1
	v_mul_f32_e32 v1, 0x4f7ffffe, v1
	v_cvt_u32_f32_e32 v1, v1
	s_xor_b32 s0, s1, s9
	s_ashr_i32 s0, s0, 31
	v_readfirstlane_b32 s5, v1
	s_mul_i32 s4, s4, s5
	s_mul_hi_u32 s4, s5, s4
	s_add_i32 s5, s5, s4
	s_mul_hi_u32 s4, s2, s5
	s_mul_i32 s5, s4, s3
	s_sub_i32 s2, s2, s5
	s_add_i32 s8, s4, 1
	s_sub_i32 s5, s2, s3
	s_cmp_ge_u32 s2, s3
	s_cselect_b32 s4, s8, s4
	s_cselect_b32 s2, s5, s2
	s_add_i32 s5, s4, 1
	s_cmp_ge_u32 s2, s3
	s_cselect_b32 s2, s5, s4
	s_xor_b32 s2, s2, s0
	s_sub_i32 s0, s2, s0
	s_mul_i32 s2, s0, s9
	s_sub_i32 s1, s1, s2
	s_abs_i32 s10, s1
	s_ashr_i32 s8, s6, 31
	s_mul_hi_u32 s9, s10, s35
	s_cmp_eq_u64 s[42:43], 0
	s_mov_b64 s[2:3], 0
	s_cbranch_scc1 .LBB14_216
; %bb.215:
	s_abs_i32 s2, s16
	v_cvt_f32_u32_e32 v1, s2
	s_sub_i32 s4, 0, s2
	s_abs_i32 s3, s6
	v_readlane_b32 s16, v186, 13
	v_rcp_iflag_f32_e32 v1, v1
	v_readlane_b32 s17, v186, 14
	v_mul_f32_e32 v1, 0x4f7ffffe, v1
	v_cvt_u32_f32_e32 v1, v1
	s_nop 0
	v_readfirstlane_b32 s5, v1
	s_mul_i32 s4, s4, s5
	s_mul_hi_u32 s4, s5, s4
	s_add_i32 s5, s5, s4
	s_mul_hi_u32 s4, s3, s5
	s_mul_i32 s4, s4, s2
	s_sub_i32 s3, s3, s4
	s_sub_i32 s4, s3, s2
	s_cmp_ge_u32 s3, s2
	s_cselect_b32 s3, s4, s3
	s_sub_i32 s4, s3, s2
	s_cmp_ge_u32 s3, s2
	s_cselect_b32 s2, s4, s3
	s_xor_b32 s2, s2, s8
	s_sub_i32 s2, s2, s8
	s_ashr_i32 s3, s2, 31
	s_mul_hi_u32 s4, s16, s2
	s_mul_i32 s3, s16, s3
	s_mul_i32 s5, s17, s2
	s_add_i32 s3, s4, s3
	s_add_i32 s3, s3, s5
	s_mul_i32 s2, s16, s2
	s_add_u32 s2, s42, s2
	s_addc_u32 s3, s43, s3
.LBB14_216:
	s_ashr_i32 s12, s1, 31
	v_readlane_b32 s1, v186, 2
	s_mul_i32 s11, s7, s1
	s_add_i32 s11, s11, s0
	v_cmp_le_f32_e64 s[0:1], s13, 0
	s_and_b64 vcc, exec, s[0:1]
	v_mov_b32_e32 v20, 1.0
	s_cbranch_vccnz .LBB14_218
; %bb.217:
	v_readlane_b32 s0, v186, 12
	v_mov_b32_e32 v2, s15
	v_mov_b32_e32 v3, s14
	;; [unrolled: 1-line block ×3, first 2 shown]
	v_sub_co_u32_e32 v1, vcc, s11, v1
	s_add_i32 s0, s11, 1
	v_lshlrev_b32_e32 v1, 1, v1
	v_cndmask_b32_e32 v2, v2, v3, vcc
	v_or_b32_e32 v1, 1, v1
	v_mov_b32_e32 v3, s0
	v_cndmask_b32_e32 v1, v1, v3, vcc
	v_cvt_f32_i32_e32 v1, v1
	v_cmp_neq_f32_e32 vcc, 1.0, v2
	s_mov_b32 s0, 0x3f2aaaab
	s_movk_i32 s4, 0x204
	v_cndmask_b32_e32 v1, 1.0, v1, vcc
	v_cmp_neq_f32_e32 vcc, 0, v1
	s_mov_b32 s1, 0x42b17218
	s_mov_b32 s5, 0x3fb8aa3b
	v_cndmask_b32_e32 v18, 1.0, v2, vcc
	v_frexp_mant_f32_e64 v2, |v18|
	v_cmp_gt_f32_e32 vcc, s0, v2
	s_mov_b32 s0, 0x3f317218
	s_brev_b32 s13, -2
	v_cndmask_b32_e64 v3, 1.0, 2.0, vcc
	v_mul_f32_e32 v2, v2, v3
	v_add_f32_e32 v5, 1.0, v2
	v_rcp_f32_e32 v10, v5
	v_add_f32_e32 v3, -1.0, v5
	v_sub_f32_e32 v7, v2, v3
	v_add_f32_e32 v3, -1.0, v2
	v_mul_f32_e32 v11, v3, v10
	v_mul_f32_e32 v4, v5, v11
	v_fma_f32 v6, v11, v5, -v4
	v_fmac_f32_e32 v6, v11, v7
	v_add_f32_e32 v2, v4, v6
	v_sub_f32_e32 v5, v3, v2
	v_pk_add_f32 v[8:9], v[2:3], v[4:5] neg_lo:[0,1] neg_hi:[0,1]
	v_mov_b32_e32 v7, v2
	v_pk_add_f32 v[2:3], v[8:9], v[6:7] neg_lo:[0,1] neg_hi:[0,1]
	v_mov_b32_e32 v6, 0x3e91f4c4
	v_add_f32_e32 v2, v2, v3
	v_add_f32_e32 v2, v5, v2
	v_mul_f32_e32 v3, v10, v2
	v_add_f32_e32 v2, v11, v3
	v_sub_f32_e32 v4, v2, v11
	v_sub_f32_e32 v12, v3, v4
	v_mul_f32_e32 v3, v2, v2
	v_fma_f32 v5, v2, v2, -v3
	v_add_f32_e32 v4, v12, v12
	v_fmac_f32_e32 v5, v2, v4
	v_add_f32_e32 v4, v3, v5
	v_fmac_f32_e32 v6, 0x3e76c4e1, v4
	v_fmaak_f32 v6, v4, v6, 0x3ecccdef
	v_sub_f32_e32 v3, v4, v3
	v_sub_f32_e32 v13, v5, v3
	v_mul_f32_e32 v3, v4, v6
	v_fma_f32 v5, v4, v6, -v3
	v_fmac_f32_e32 v5, v13, v6
	v_add_f32_e32 v6, v3, v5
	v_add_f32_e32 v7, 0x3f2aaaaa, v6
	v_sub_f32_e32 v3, v6, v3
	v_sub_f32_e32 v3, v5, v3
	v_add_f32_e32 v5, 0xbf2aaaaa, v7
	v_add_f32_e32 v3, 0x31739010, v3
	v_sub_f32_e32 v5, v6, v5
	v_pk_mul_f32 v[8:9], v[2:3], v[4:5]
	v_pk_add_f32 v[10:11], v[2:3], v[4:5]
	v_fma_f32 v6, v4, v2, -v8
	v_fmac_f32_e32 v6, v4, v12
	v_mov_b32_e32 v9, v11
	v_fmac_f32_e32 v6, v13, v2
	v_pk_add_f32 v[4:5], v[8:9], v[6:7]
	v_ldexp_f32 v14, v12, 1
	v_sub_f32_e32 v3, v4, v8
	v_sub_f32_e32 v3, v6, v3
	;; [unrolled: 1-line block ×3, first 2 shown]
	v_add_f32_e32 v9, v11, v6
	v_pk_mul_f32 v[6:7], v[4:5], v[4:5] op_sel:[0,1] op_sel_hi:[1,0]
	v_cvt_f64_f32_e64 v[10:11], |v18|
	v_frexp_exp_i32_f64_e32 v7, v[10:11]
	v_subbrev_co_u32_e32 v7, vcc, 0, v7, vcc
	v_cvt_f32_i32_e32 v7, v7
	v_fma_f32 v8, v4, v5, -v6
	v_fmac_f32_e32 v8, v4, v9
	v_fmac_f32_e32 v8, v3, v5
	v_mul_f32_e32 v4, 0x3f317218, v7
	v_fma_f32 v3, v7, s0, -v4
	v_fmamk_f32 v10, v7, 0xb102e308, v3
	v_ldexp_f32 v11, v2, 1
	v_add_f32_e32 v5, v6, v8
	v_pk_add_f32 v[2:3], v[4:5], v[10:11]
	v_mov_b32_e32 v12, v5
	v_mov_b32_e32 v13, v3
	;; [unrolled: 1-line block ×3, first 2 shown]
	v_pk_add_f32 v[6:7], v[12:13], v[6:7] neg_lo:[0,1] neg_hi:[0,1]
	v_mov_b32_e32 v9, v5
	v_pk_add_f32 v[6:7], v[8:9], v[6:7] neg_lo:[0,1] neg_hi:[0,1]
	v_mov_b32_e32 v11, v2
	v_add_f32_e32 v5, v14, v6
	v_add_f32_e32 v5, v5, v7
	v_pk_add_f32 v[6:7], v[2:3], v[4:5] neg_lo:[0,1] neg_hi:[0,1]
	v_pk_add_f32 v[8:9], v[2:3], v[4:5]
	v_mov_b32_e32 v16, v3
	v_mov_b32_e32 v7, v9
	v_pk_add_f32 v[12:13], v[10:11], v[6:7] neg_lo:[0,1] neg_hi:[0,1]
	v_pk_add_f32 v[6:7], v[10:11], v[6:7]
	v_mov_b32_e32 v4, v5
	v_pk_add_f32 v[10:11], v[6:7], v[2:3] op_sel:[1,0] op_sel_hi:[0,1] neg_lo:[0,1] neg_hi:[0,1]
	v_pk_add_f32 v[14:15], v[8:9], v[10:11] op_sel_hi:[1,0] neg_lo:[0,1] neg_hi:[0,1]
	v_mov_b32_e32 v8, v9
	v_mov_b32_e32 v9, v7
	;; [unrolled: 1-line block ×3, first 2 shown]
	v_pk_add_f32 v[8:9], v[8:9], v[16:17] neg_lo:[0,1] neg_hi:[0,1]
	v_mov_b32_e32 v5, v2
	v_pk_add_f32 v[2:3], v[4:5], v[8:9] neg_lo:[0,1] neg_hi:[0,1]
	v_mov_b32_e32 v14, v12
	v_pk_add_f32 v[4:5], v[14:15], v[2:3]
	v_mov_b32_e32 v13, v7
	v_pk_add_f32 v[8:9], v[4:5], v[4:5] op_sel:[0,1] op_sel_hi:[1,0]
	s_mov_b32 s0, 0x7f800000
	v_pk_add_f32 v[6:7], v[6:7], v[8:9] op_sel:[1,0] op_sel_hi:[0,1]
	v_mov_b32_e32 v5, v6
	v_pk_add_f32 v[10:11], v[4:5], v[12:13] neg_lo:[0,1] neg_hi:[0,1]
	v_mov_b32_e32 v3, v8
	v_sub_f32_e32 v4, v4, v10
	v_pk_add_f32 v[2:3], v[2:3], v[10:11] neg_lo:[0,1] neg_hi:[0,1]
	v_sub_f32_e32 v4, v12, v4
	v_add_f32_e32 v2, v2, v4
	v_add_f32_e32 v2, v2, v3
	;; [unrolled: 1-line block ×3, first 2 shown]
	v_sub_f32_e32 v4, v3, v6
	v_sub_f32_e32 v2, v2, v4
	v_mul_f32_e32 v4, v1, v3
	v_fma_f32 v3, v1, v3, -v4
	v_fmac_f32_e32 v3, v1, v2
	v_add_f32_e32 v2, v4, v3
	v_cmp_class_f32_e64 vcc, v4, s4
	v_sub_f32_e32 v5, v2, v4
	v_sub_f32_e32 v3, v3, v5
	v_cndmask_b32_e32 v2, v2, v4, vcc
	v_mov_b32_e32 v4, 0x37000000
	v_cmp_eq_f32_e32 vcc, s1, v2
	v_cmp_class_f32_e64 s[14:15], v18, s4
	s_nop 0
	v_cndmask_b32_e32 v4, 0, v4, vcc
	v_sub_f32_e32 v5, v2, v4
	v_mul_f32_e32 v6, 0x3fb8aa3b, v5
	v_fma_f32 v7, v5, s5, -v6
	v_rndne_f32_e32 v8, v6
	v_fmamk_f32 v7, v5, 0x32a5705f, v7
	v_sub_f32_e32 v6, v6, v8
	v_add_f32_e32 v6, v6, v7
	v_exp_f32_e32 v6, v6
	v_cvt_i32_f32_e32 v7, v8
	v_cmp_neq_f32_e64 vcc, |v2|, s0
	s_mov_b32 s0, 0xc2ce8ed0
	s_nop 0
	v_cndmask_b32_e32 v2, 0, v3, vcc
	v_ldexp_f32 v3, v6, v7
	v_cmp_ngt_f32_e32 vcc, s0, v5
	v_add_f32_e32 v2, v4, v2
	v_mov_b32_e32 v4, 0x7f800000
	v_cndmask_b32_e32 v3, 0, v3, vcc
	v_cmp_nlt_f32_e32 vcc, s1, v5
	v_mov_b32_e32 v5, 0x7fc00000
	s_nop 0
	v_cndmask_b32_e32 v3, v4, v3, vcc
	v_fma_f32 v2, v3, v2, v3
	v_cmp_class_f32_e64 vcc, v3, s4
	v_cmp_gt_f32_e64 s[4:5], 0, v1
	s_nop 0
	v_cndmask_b32_e32 v2, v2, v3, vcc
	v_trunc_f32_e32 v3, v1
	v_cmp_eq_f32_e32 vcc, v3, v1
	v_mul_f32_e32 v3, 0.5, v1
	v_trunc_f32_e32 v6, v3
	v_cmp_neq_f32_e64 s[0:1], v6, v3
	s_and_b64 s[0:1], vcc, s[0:1]
	s_nop 0
	v_cndmask_b32_e64 v3, 1.0, v18, s[0:1]
	v_bfi_b32 v2, s13, v2, v3
	v_cndmask_b32_e32 v3, v5, v2, vcc
	v_cmp_gt_f32_e32 vcc, 0, v18
	s_nop 1
	v_cndmask_b32_e32 v2, v2, v3, vcc
	v_cmp_eq_f32_e32 vcc, 0, v18
	s_xor_b64 s[4:5], s[4:5], vcc
	v_cndmask_b32_e64 v1, v4, 0, s[4:5]
	v_cndmask_b32_e64 v3, 0, v18, s[0:1]
	v_bfi_b32 v1, s13, v1, v3
	s_or_b64 vcc, vcc, s[14:15]
	v_cndmask_b32_e32 v1, v2, v1, vcc
	v_cmp_o_f32_e32 vcc, v18, v18
	s_nop 1
	v_cndmask_b32_e32 v20, v5, v1, vcc
.LBB14_218:
	s_mul_i32 s1, s9, s85
	v_readlane_b32 s0, v186, 18
	s_sub_i32 s1, s10, s1
	s_xor_b32 s0, s12, s0
	s_add_i32 s4, s9, 1
	s_sub_i32 s5, s1, s85
	s_cmp_ge_u32 s1, s85
	s_cselect_b32 s4, s4, s9
	s_cselect_b32 s1, s5, s1
	s_add_i32 s5, s4, 1
	s_cmp_ge_u32 s1, s85
	s_cselect_b32 s1, s5, s4
	s_xor_b32 s1, s1, s0
	s_sub_i32 s4, s1, s0
	s_cmp_eq_u64 s[46:47], 0
	v_mov_b32_e32 v12, s79
	s_cbranch_scc1 .LBB14_220
; %bb.219:
	v_readlane_b32 s0, v186, 0
	s_mul_i32 s0, s6, s0
	s_add_i32 s0, s4, s0
	s_ashr_i32 s1, s0, 31
	s_lshl_b64 s[0:1], s[0:1], 2
	s_add_u32 s0, s46, s0
	s_addc_u32 s1, s47, s1
	v_mov_b32_e32 v1, 0
	global_load_dword v1, v1, s[0:1]
	s_waitcnt vmcnt(0)
	v_ashrrev_i32_e32 v2, 31, v1
	v_lshrrev_b32_e32 v2, 26, v2
	v_add_u32_e32 v1, v1, v2
	v_ashrrev_i32_e32 v1, 6, v1
	v_min_i32_e32 v12, s79, v1
.LBB14_220:
	v_readlane_b32 s12, v186, 8
	v_readlane_b32 s13, v186, 9
	s_mul_i32 s0, s6, s13
	s_ashr_i32 s1, s0, 31
	s_add_u32 s0, s36, s0
	s_mul_i32 s11, s11, s12
	s_addc_u32 s1, s37, s1
	s_ashr_i32 s5, s11, 31
	s_add_u32 s0, s0, s11
	s_addc_u32 s1, s1, s5
	s_lshl_b32 s33, s4, 4
	v_add_u32_e32 v2, s33, v47
	s_mov_b32 s9, 0x10001
	v_lshl_add_u32 v56, v42, 2, 0
	v_cmp_le_i32_e32 vcc, s52, v2
	s_and_saveexec_b64 s[4:5], vcc
	s_xor_b64 s[4:5], exec, s[4:5]
; %bb.221:
	s_movk_i32 s10, 0xd0
	v_mad_u32_u24 v1, v47, s10, v56
	v_mov_b32_e32 v2, 0
	ds_write_b32 v1, v2
                                        ; implicit-def: $vgpr2
; %bb.222:
	s_or_saveexec_b64 s[4:5], s[4:5]
	v_mul_lo_u32 v1, v49, s9
	s_xor_b64 exec, exec, s[4:5]
	s_cbranch_execz .LBB14_224
; %bb.223:
	v_readlane_b32 s9, v186, 15
	s_nop 1
	v_mad_u64_u32 v[2:3], s[10:11], v2, s9, v[42:43]
	v_ashrrev_i32_e32 v3, 31, v2
	v_lshl_add_u64 v[2:3], v[2:3], 3, s[0:1]
	global_load_dwordx2 v[2:3], v[2:3], off
	s_movk_i32 s9, 0xd0
	s_waitcnt vmcnt(0)
	v_cvt_pk_f16_f32 v2, v2, v3
	v_pk_mul_f16 v2, v2, v1
	v_mad_u32_u24 v3, v47, s9, v56
	ds_write_b32 v3, v2
.LBB14_224:
	s_or_b64 exec, exec, s[4:5]
	v_add_u32_e32 v2, 8, v47
	v_add_u32_e32 v3, s33, v2
	v_cmp_le_i32_e32 vcc, s52, v3
	s_and_saveexec_b64 s[4:5], vcc
	s_xor_b64 s[4:5], exec, s[4:5]
; %bb.225:
	s_movk_i32 s9, 0xd0
	v_mad_u32_u24 v2, v2, s9, v56
	v_mov_b32_e32 v3, 0
	ds_write_b32 v2, v3
                                        ; implicit-def: $vgpr3
                                        ; implicit-def: $vgpr2
; %bb.226:
	s_or_saveexec_b64 s[4:5], s[4:5]
	v_and_b32_e32 v58, 0x3ff, v0
	s_xor_b64 exec, exec, s[4:5]
	s_cbranch_execz .LBB14_228
; %bb.227:
	v_readlane_b32 s9, v186, 15
	s_nop 1
	v_mad_u64_u32 v[4:5], s[10:11], v3, s9, v[42:43]
	v_ashrrev_i32_e32 v5, 31, v4
	v_lshl_add_u64 v[4:5], v[4:5], 3, s[0:1]
	global_load_dwordx2 v[4:5], v[4:5], off
	s_movk_i32 s9, 0xd0
	v_mad_u32_u24 v2, v2, s9, v56
	s_waitcnt vmcnt(0)
	v_cvt_pk_f16_f32 v0, v4, v5
	v_pk_mul_f16 v0, v0, v1
	ds_write_b32 v2, v0
.LBB14_228:
	s_or_b64 exec, exec, s[4:5]
	v_lshrrev_b32_e32 v57, 4, v58
	v_add_u32_e32 v0, v100, v57
	v_add_u32_e32 v2, s33, v0
	v_cmp_le_i32_e32 vcc, s52, v2
                                        ; implicit-def: $vgpr24
	s_and_saveexec_b64 s[4:5], vcc
	s_xor_b64 s[4:5], exec, s[4:5]
	s_cbranch_execz .LBB14_230
; %bb.229:
	v_and_b32_e32 v24, 15, v58
	v_mul_u32_u24_e32 v0, 0xd0, v0
	v_lshlrev_b32_e32 v1, 2, v24
	v_add3_u32 v0, 0, v0, v1
	v_mov_b32_e32 v1, 0
	ds_write_b32 v0, v1 offset:128
                                        ; implicit-def: $vgpr2
                                        ; implicit-def: $vgpr0
                                        ; implicit-def: $vgpr1
.LBB14_230:
	s_andn2_saveexec_b64 s[4:5], s[4:5]
	s_cbranch_execz .LBB14_232
; %bb.231:
	v_readlane_b32 s9, v186, 15
	v_and_b32_e32 v24, 15, v58
	v_mov_b32_e32 v25, 0
	v_mul_lo_u32 v2, v2, s9
	v_ashrrev_i32_e32 v3, 31, v2
	v_lshl_add_u64 v[2:3], v[2:3], 0, v[24:25]
	v_lshl_add_u64 v[2:3], v[2:3], 3, s[0:1]
	global_load_dwordx2 v[2:3], v[2:3], off offset:256
	v_mul_u32_u24_e32 v0, 0xd0, v0
	v_lshlrev_b32_e32 v4, 2, v24
	v_add3_u32 v0, 0, v0, v4
	s_waitcnt vmcnt(0)
	v_cvt_pk_f16_f32 v2, v2, v3
	v_pk_mul_f16 v1, v2, v1
	ds_write_b32 v0, v1 offset:128
.LBB14_232:
	s_or_b64 exec, exec, s[4:5]
	s_mul_i32 s0, s76, s8
	s_mul_hi_u32 s1, s76, s6
	s_add_i32 s0, s1, s0
	s_mul_i32 s1, s77, s6
	s_add_i32 s0, s0, s1
	s_mul_i32 s1, s76, s6
	s_add_u32 s1, s40, s1
	s_mul_i32 s4, s7, s59
	s_addc_u32 s0, s41, s0
	s_ashr_i32 s5, s4, 31
	s_add_u32 s30, s1, s4
	s_addc_u32 s31, s0, s5
	s_mul_i32 s0, s56, s8
	s_mul_hi_u32 s1, s56, s6
	s_add_i32 s0, s1, s0
	s_mul_i32 s1, s57, s6
	v_readlane_b32 s4, v186, 16
	s_add_i32 s0, s0, s1
	s_mul_i32 s1, s56, s6
	v_readlane_b32 s5, v186, 17
	s_add_u32 s1, s38, s1
	s_mul_i32 s7, s7, s5
	s_addc_u32 s0, s39, s0
	s_ashr_i32 s4, s7, 31
	s_add_u32 s35, s1, s7
	v_lshrrev_b32_e32 v14, 3, v58
	s_addc_u32 s36, s0, s4
	v_and_b32_e32 v13, 0xff0, v100
	s_movk_i32 s4, 0xd0
	v_and_b32_e32 v1, 0x7e, v14
	v_mad_u32_u24 v0, v13, s4, 0
	v_mul_u32_u24_e32 v76, 0xd0, v24
	v_lshlrev_b32_e32 v25, 2, v1
	v_add3_u32 v0, v0, v76, v25
	s_waitcnt lgkmcnt(0)
	s_barrier
	ds_read2_b64 v[8:11], v0 offset1:4
	ds_read2_b64 v[4:7], v0 offset0:8 offset1:12
	ds_read2_b64 v[0:3], v0 offset0:16 offset1:20
	v_add_u32_e32 v78, -1, v12
	v_cmp_ge_i32_e32 vcc, s34, v78
	s_mov_b32 s37, 0
	s_and_b64 vcc, exec, vcc
	v_or_b32_e32 v74, v13, v24
	v_lshlrev_b32_e32 v22, 1, v58
	v_lshrrev_b32_e32 v75, 2, v58
	v_lshlrev_b32_e32 v77, 2, v58
	v_lshl_add_u32 v61, v43, 3, v14
	v_lshlrev_b32_e32 v60, 1, v14
	v_lshlrev_b32_e32 v59, 1, v24
	s_waitcnt lgkmcnt(0)
	s_barrier
	s_cbranch_vccnz .LBB14_243
; %bb.233:
	v_mov_b32_e32 v27, 0
	v_mov_b32_e32 v23, v27
	v_mul_u32_u24_e32 v12, 0x90, v43
	v_lshl_add_u64 v[28:29], s[2:3], 0, v[22:23]
	v_add3_u32 v23, 0, v12, v22
	v_add_u32_e32 v12, s33, v43
	v_mul_hi_u32 v13, s68, v12
	v_add_u32_e32 v13, v12, v13
	v_lshrrev_b32_e32 v13, s69, v13
	v_mul_lo_u32 v13, v13, s52
	v_sub_u32_e32 v13, v12, v13
	v_mad_i64_i32 v[30:31], s[6:7], v13, s70, 0
	v_add_u32_e32 v13, 4, v12
	v_mul_hi_u32 v14, s68, v13
	v_add_u32_e32 v14, v13, v14
	v_lshrrev_b32_e32 v14, s69, v14
	v_mul_lo_u32 v14, v14, s52
	v_sub_u32_e32 v13, v13, v14
	v_mad_i64_i32 v[32:33], s[6:7], v13, s70, 0
	v_add_u32_e32 v13, 8, v12
	v_mul_hi_u32 v14, s68, v13
	v_add_u32_e32 v14, v13, v14
	v_lshrrev_b32_e32 v14, s69, v14
	v_mul_lo_u32 v14, v14, s52
	v_sub_u32_e32 v13, v13, v14
	v_add_u32_e32 v12, 12, v12
	v_mad_i64_i32 v[34:35], s[6:7], v13, s70, 0
	v_mul_hi_u32 v13, s68, v12
	v_add_u32_e32 v13, v12, v13
	v_lshrrev_b32_e32 v13, s69, v13
	v_mul_lo_u32 v13, v13, s52
	v_sub_u32_e32 v12, v12, v13
	v_mad_i64_i32 v[36:37], s[6:7], v12, s70, 0
	v_mbcnt_hi_u32_b32 v12, -1, v101
	v_and_b32_e32 v14, 64, v12
	v_add_u32_e32 v14, 64, v14
	v_xor_b32_e32 v16, 32, v12
	v_cmp_lt_i32_e32 vcc, v16, v14
	v_and_b32_e32 v13, 48, v99
	v_mad_u32_u24 v15, v13, s4, 0
	v_cndmask_b32_e32 v16, v12, v16, vcc
	v_lshlrev_b32_e32 v82, 2, v16
	v_xor_b32_e32 v16, 16, v12
	v_cmp_lt_i32_e32 vcc, v16, v14
	v_mul_lo_u32 v40, s66, v61
	v_mul_u32_u24_e32 v19, 0x90, v74
	v_cndmask_b32_e32 v12, v12, v16, vcc
	v_lshlrev_b32_e32 v83, 2, v12
	v_add_u32_e32 v16, v75, v99
	v_and_b32_e32 v12, 12, v77
	v_mad_u32_u24 v14, v16, s4, 0
	v_lshlrev_b32_e32 v17, 2, v12
	s_movk_i32 s4, 0x80
	v_add3_u32 v84, v14, v17, s4
	v_and_b32_e32 v14, 28, v77
	v_mul_u32_u24_e32 v17, 0xd0, v61
	v_lshlrev_b32_e32 v18, 2, v14
	v_add3_u32 v85, 0, v17, v18
	v_and_b32_e32 v17, 0xfc, v75
	v_add_u32_e32 v18, v17, v13
	v_add_u16_e32 v13, v17, v13
	v_lshrrev_b16_e32 v13, 1, v13
	v_cmp_gt_u32_e64 s[18:19], 64, v16
	v_mul_lo_u32 v38, s66, v16
	v_lshlrev_b32_e32 v13, 2, v13
	v_cmp_gt_u32_e64 s[8:9], 64, v18
	v_cmp_gt_u32_e64 s[10:11], 63, v18
	;; [unrolled: 1-line block ×4, first 2 shown]
	v_mul_lo_u32 v46, s54, v16
	v_mul_lo_u32 v48, s54, v61
	v_and_b32_e32 v16, 0xfc, v60
	v_or_b32_e32 v17, 2, v60
	v_or_b32_e32 v18, 3, v60
	s_mov_b64 s[20:21], src_private_base
	s_cmp_lg_u64 s[2:3], 0
	v_lshl_add_u32 v44, s66, 5, v40
	v_add3_u32 v13, 0, v19, v13
	v_lshl_add_u32 v50, s54, 5, v48
	v_mul_u32_u24_e32 v16, 0xd0, v16
	v_mul_u32_u24_e32 v17, 0xd0, v17
	;; [unrolled: 1-line block ×3, first 2 shown]
	s_cselect_b64 s[22:23], -1, 0
	v_cmp_gt_u32_e64 s[0:1], 64, v58
	v_add_u32_e32 v79, 0x240, v23
	v_add_u32_e32 v80, 0x480, v23
	;; [unrolled: 1-line block ×3, first 2 shown]
	v_ashrrev_i32_e32 v39, 31, v38
	v_cmp_gt_u32_e64 s[4:5], 64, v61
	v_ashrrev_i32_e32 v41, 31, v40
	v_add_u32_e32 v86, 0x1a00, v85
	v_cmp_gt_u32_e64 s[6:7], 32, v61
	v_ashrrev_i32_e32 v45, 31, v44
	v_add3_u32 v87, v15, v76, v25
	v_ashrrev_i32_e32 v47, 31, v46
	v_ashrrev_i32_e32 v49, 31, v48
	;; [unrolled: 1-line block ×3, first 2 shown]
	v_add3_u32 v88, v15, v16, v59
	v_add3_u32 v89, v15, v17, v59
	;; [unrolled: 1-line block ×3, first 2 shown]
	v_mov_b32_e32 v52, v20
	v_mov_b32_e32 v53, v20
	s_lshl_b32 s24, s34, 6
	v_mov_b32_e32 v95, 0xfeffffff
	v_lshlrev_b32_e32 v26, 2, v12
	s_mov_b64 s[26:27], 0x80
	v_lshlrev_b32_e32 v54, 2, v14
	v_add_u32_e32 v91, 0x3400, v13
	s_mov_b32 s20, 0x3fb8aa3b
	s_mov_b32 s38, 0xc2ce8ed0
	;; [unrolled: 1-line block ×5, first 2 shown]
	v_mov_b32_e32 v92, 0
	v_mov_b32_e32 v12, v27
	;; [unrolled: 1-line block ×19, first 2 shown]
.LBB14_234:                             ; =>This Inner Loop Header: Depth=1
	v_cndmask_b32_e64 v16, 0, 1, s[22:23]
	v_cmp_ne_u32_e64 s[16:17], 1, v16
	s_andn2_b64 vcc, exec, s[22:23]
	s_ashr_i32 s25, s24, 31
	s_cbranch_vccnz .LBB14_238
; %bb.235:                              ;   in Loop: Header=BB14_234 Depth=1
	v_mov_b32_e32 v16, 0
	v_mov_b32_e32 v17, 0
	;; [unrolled: 1-line block ×4, first 2 shown]
	s_and_saveexec_b64 s[28:29], s[0:1]
	s_cbranch_execz .LBB14_237
; %bb.236:                              ;   in Loop: Header=BB14_234 Depth=1
	v_lshl_add_u64 v[16:17], s[24:25], 1, v[28:29]
	v_lshl_add_u64 v[18:19], v[30:31], 1, v[16:17]
	;; [unrolled: 1-line block ×5, first 2 shown]
	global_load_ushort v16, v[18:19], off
	global_load_ushort v17, v[96:97], off
	s_nop 0
	global_load_ushort v18, v[102:103], off
	global_load_ushort v19, v[104:105], off
.LBB14_237:                             ;   in Loop: Header=BB14_234 Depth=1
	s_or_b64 exec, exec, s[28:29]
	s_waitcnt vmcnt(3)
	ds_write_b16 v23, v16 offset:13312
	s_waitcnt vmcnt(2)
	ds_write_b16 v79, v17 offset:13312
	;; [unrolled: 2-line block ×4, first 2 shown]
.LBB14_238:                             ;   in Loop: Header=BB14_234 Depth=1
	s_mul_hi_i32 s29, s24, s66
	s_mul_i32 s28, s24, s66
	s_lshl_b64 s[28:29], s[28:29], 2
	s_add_u32 s28, s35, s28
	s_addc_u32 s29, s36, s29
	v_lshl_add_u64 v[16:17], v[38:39], 2, s[28:29]
	v_lshl_add_u64 v[16:17], v[16:17], 0, v[26:27]
	;; [unrolled: 1-line block ×3, first 2 shown]
	v_mov_b32_e32 v21, s21
	v_cndmask_b32_e64 v17, v21, v17, s[18:19]
	v_cndmask_b32_e64 v16, v92, v16, s[18:19]
	scratch_store_dwordx4 off, v[12:15], off
	flat_load_dwordx4 v[16:19], v[16:17]
	v_mov_b32_e32 v55, v27
	v_lshl_add_u64 v[96:97], v[40:41], 2, s[28:29]
	v_lshl_add_u64 v[96:97], v[96:97], 0, v[54:55]
	v_cndmask_b32_e64 v97, v21, v97, s[4:5]
	v_cndmask_b32_e64 v96, v92, v96, s[4:5]
	s_and_b64 vcc, exec, s[16:17]
	s_waitcnt vmcnt(0) lgkmcnt(0)
	ds_write_b128 v84, v[16:19]
	flat_load_dwordx4 v[16:19], v[96:97]
	v_lshl_add_u64 v[96:97], v[44:45], 2, s[28:29]
	v_lshl_add_u64 v[96:97], v[96:97], 0, v[54:55]
	v_cndmask_b32_e64 v97, v21, v97, s[6:7]
	v_cndmask_b32_e64 v96, v92, v96, s[6:7]
	s_waitcnt vmcnt(0) lgkmcnt(0)
	ds_write_b128 v85, v[16:19]
	flat_load_dwordx4 v[16:19], v[96:97]
	s_waitcnt vmcnt(0) lgkmcnt(0)
	ds_write_b128 v86, v[16:19]
	s_waitcnt lgkmcnt(0)
	s_barrier
	ds_read2_b64 v[16:19], v87 offset1:4
	s_waitcnt lgkmcnt(0)
	v_mfma_f32_16x16x16_f16 v[102:105], v[16:17], v[8:9], 0
	v_mfma_f32_16x16x16_f16 v[16:19], v[18:19], v[10:11], v[102:105]
	s_nop 6
	ds_read2_b64 v[102:105], v87 offset0:8 offset1:12
	s_waitcnt lgkmcnt(0)
	v_mfma_f32_16x16x16_f16 v[16:19], v[102:103], v[4:5], v[16:19]
	v_mfma_f32_16x16x16_f16 v[16:19], v[104:105], v[6:7], v[16:19]
	ds_read2_b64 v[102:105], v87 offset0:16 offset1:20
	s_waitcnt lgkmcnt(0)
	s_barrier
	v_mfma_f32_16x16x16_f16 v[16:19], v[102:103], v[0:1], v[16:19]
	v_mfma_f32_16x16x16_f16 v[16:19], v[104:105], v[2:3], v[16:19]
	s_cbranch_vccnz .LBB14_240
; %bb.239:                              ;   in Loop: Header=BB14_234 Depth=1
	ds_read2_b32 v[96:97], v91 offset1:1
	v_mov_b32_e32 v21, v20
	s_waitcnt lgkmcnt(0)
	v_cvt_f32_f16_e32 v102, v96
	v_cvt_f32_f16_e32 v104, v97
	v_cvt_f32_f16_sdwa v105, v97 dst_sel:DWORD dst_unused:UNUSED_PAD src0_sel:WORD_1
	v_cvt_f32_f16_sdwa v103, v96 dst_sel:DWORD dst_unused:UNUSED_PAD src0_sel:WORD_1
	v_pk_fma_f32 v[18:19], v[20:21], v[104:105], v[18:19]
	v_pk_fma_f32 v[16:17], v[52:53], v[102:103], v[16:17]
.LBB14_240:                             ;   in Loop: Header=BB14_234 Depth=1
	s_mul_hi_i32 s17, s24, s54
	s_mul_i32 s16, s24, s54
	s_lshl_b64 s[16:17], s[16:17], 2
	s_add_u32 s16, s30, s16
	s_addc_u32 s17, s31, s17
	v_lshl_add_u64 v[96:97], v[46:47], 2, s[16:17]
	v_lshl_add_u64 v[96:97], v[96:97], 0, v[26:27]
	;; [unrolled: 1-line block ×3, first 2 shown]
	v_mov_b32_e32 v108, s21
	scratch_store_dwordx4 off, v[12:15], off
	v_cndmask_b32_e64 v97, v108, v97, s[18:19]
	v_cndmask_b32_e64 v96, v92, v96, s[18:19]
	flat_load_dwordx4 v[102:105], v[96:97]
	v_lshl_add_u64 v[96:97], v[48:49], 2, s[16:17]
	v_lshl_add_u64 v[96:97], v[96:97], 0, v[54:55]
	v_cndmask_b32_e64 v97, v108, v97, s[4:5]
	v_cndmask_b32_e64 v96, v92, v96, s[4:5]
	v_add_f32_e32 v106, 0x40051340, v16
	v_max_f32_e32 v107, v95, v95
	v_max_f32_e32 v106, v107, v106
	v_cndmask_b32_e64 v106, v95, v106, s[8:9]
	v_add_f32_e32 v109, 0x40051340, v17
	v_max_f32_e32 v107, v106, v106
	v_max_f32_e32 v107, v107, v109
	;; [unrolled: 4-line block ×4, first 2 shown]
	v_cndmask_b32_e64 v109, v106, v107, s[14:15]
	ds_bpermute_b32 v110, v82, v109
	v_max_f32_e32 v109, v109, v109
	v_lshl_add_u64 v[106:107], v[50:51], 2, s[16:17]
	v_lshl_add_u64 v[106:107], v[106:107], 0, v[54:55]
	v_cndmask_b32_e64 v107, v108, v107, s[6:7]
	s_waitcnt lgkmcnt(0)
	v_max_f32_e32 v110, v110, v110
	v_max_f32_e32 v109, v109, v110
	ds_bpermute_b32 v110, v83, v109
	v_cndmask_b32_e64 v106, v92, v106, s[6:7]
	v_mov_b32_e32 v21, s37
	s_add_i32 s34, s34, 1
	v_cmp_lt_i32_e32 vcc, s34, v78
	s_waitcnt lgkmcnt(0)
	v_max_f32_e32 v55, v110, v110
	v_max_f32_e32 v55, v109, v55
	v_sub_f32_e32 v108, v16, v55
	v_sub_f32_e32 v109, v17, v55
	;; [unrolled: 1-line block ×4, first 2 shown]
	v_mul_f32_e32 v16, 0x3fb8aa3b, v108
	v_mul_f32_e32 v17, 0x3fb8aa3b, v109
	;; [unrolled: 1-line block ×4, first 2 shown]
	v_fma_f32 v113, v108, s20, -v16
	v_rndne_f32_e32 v114, v16
	v_fma_f32 v115, v109, s20, -v17
	v_rndne_f32_e32 v116, v17
	;; [unrolled: 2-line block ×3, first 2 shown]
	v_rndne_f32_e32 v120, v19
	v_fmac_f32_e32 v113, 0x32a5705f, v108
	v_sub_f32_e32 v16, v16, v114
	v_fmac_f32_e32 v115, 0x32a5705f, v109
	v_sub_f32_e32 v17, v17, v116
	v_fmac_f32_e32 v117, 0x32a5705f, v110
	v_sub_f32_e32 v18, v18, v118
	v_fma_f32 v119, v111, s20, -v19
	v_sub_f32_e32 v123, v19, v120
	v_add_f32_e32 v113, v16, v113
	v_add_f32_e32 v115, v17, v115
	;; [unrolled: 1-line block ×3, first 2 shown]
	v_sub_f32_e32 v95, v95, v55
	v_mul_f32_e32 v112, 0x3fb8aa3b, v95
	v_cvt_i32_f32_e32 v114, v114
	v_fma_f32 v121, v95, s20, -v112
	v_rndne_f32_e32 v122, v112
	v_cvt_i32_f32_e32 v116, v116
	v_fmac_f32_e32 v119, 0x32a5705f, v111
	v_cvt_i32_f32_e32 v118, v118
	v_fmac_f32_e32 v121, 0x32a5705f, v95
	v_sub_f32_e32 v112, v112, v122
	v_cvt_i32_f32_e32 v120, v120
	v_cvt_i32_f32_e32 v122, v122
	v_cmp_ngt_f32_e64 s[16:17], s38, v108
	s_and_b64 vcc, exec, vcc
	s_add_i32 s24, s24, 64
	s_waitcnt vmcnt(0)
	ds_write_b128 v84, v[102:105]
	flat_load_dwordx4 v[102:105], v[96:97]
	v_mov_b32_e32 v96, s37
	v_mov_b32_e32 v97, s37
	s_waitcnt vmcnt(0) lgkmcnt(0)
	ds_write_b128 v85, v[102:105]
	flat_load_dwordx4 v[16:19], v[106:107]
	v_exp_f32_e32 v104, v113
	v_exp_f32_e32 v105, v115
	v_add_f32_e32 v102, v123, v119
	v_exp_f32_e32 v106, v117
	v_add_f32_e32 v103, v112, v121
	v_exp_f32_e32 v102, v102
	v_exp_f32_e32 v103, v103
	v_ldexp_f32 v104, v104, v114
	v_ldexp_f32 v105, v105, v116
	v_cndmask_b32_e64 v104, 0, v104, s[16:17]
	v_cmp_ngt_f32_e64 s[16:17], s38, v109
	v_ldexp_f32 v106, v106, v118
	v_ldexp_f32 v102, v102, v120
	v_cndmask_b32_e64 v105, 0, v105, s[16:17]
	v_cmp_ngt_f32_e64 s[16:17], s38, v110
	v_ldexp_f32 v103, v103, v122
	s_waitcnt vmcnt(0) lgkmcnt(0)
	ds_write_b128 v86, v[16:19]
	v_cndmask_b32_e64 v106, 0, v106, s[16:17]
	v_cmp_ngt_f32_e64 s[16:17], s38, v111
	s_waitcnt lgkmcnt(0)
	s_barrier
	v_cndmask_b32_e64 v102, 0, v102, s[16:17]
	v_cmp_ngt_f32_e64 s[16:17], s38, v95
	s_nop 1
	v_cndmask_b32_e64 v103, 0, v103, s[16:17]
	v_cmp_nlt_f32_e64 s[16:17], s39, v108
	s_nop 1
	v_cndmask_b32_e64 v104, v93, v104, s[16:17]
	v_cmp_nlt_f32_e64 s[16:17], s39, v109
	;; [unrolled: 3-line block ×3, first 2 shown]
	v_cndmask_b32_e64 v21, v21, v105, s[10:11]
	s_nop 0
	v_cndmask_b32_e64 v106, v93, v106, s[16:17]
	v_cmp_nlt_f32_e64 s[16:17], s39, v111
	v_cndmask_b32_e64 v96, v96, v106, s[12:13]
	s_nop 0
	v_cndmask_b32_e64 v107, v93, v102, s[16:17]
	v_cmp_nlt_f32_e64 s[16:17], s39, v95
	v_cndmask_b32_e64 v102, 0, v104, s[8:9]
	v_cndmask_b32_e64 v97, v97, v107, s[14:15]
	;; [unrolled: 1-line block ×3, first 2 shown]
	v_cmp_le_f32_e64 s[16:17], s40, v95
	v_cvt_pk_f16_f32 v110, v102, v21
	v_cvt_pk_f16_f32 v111, v96, v97
	v_cndmask_b32_e64 v95, 0, v103, s[16:17]
	v_add_f32_e32 v103, v105, v102
	v_cvt_f16_f32_e32 v104, v95
	v_cndmask_b32_e64 v21, v102, v103, s[10:11]
	v_add_f32_e32 v96, v21, v106
	v_cndmask_b32_e64 v21, v21, v96, s[12:13]
	v_add_f32_e32 v96, v21, v107
	v_mul_u32_u24_e32 v97, 0x10001, v104
	v_cndmask_b32_e64 v21, v21, v96, s[14:15]
	v_pk_mul_f16 v71, v71, v97
	v_pk_mul_f16 v70, v70, v97
	;; [unrolled: 1-line block ×12, first 2 shown]
	v_cvt_f32_f16_e32 v66, v71
	v_cvt_f32_f16_sdwa v67, v71 dst_sel:DWORD dst_unused:UNUSED_PAD src0_sel:WORD_1
	v_cvt_f32_f16_e32 v68, v70
	v_cvt_f32_f16_sdwa v69, v70 dst_sel:DWORD dst_unused:UNUSED_PAD src0_sel:WORD_1
	;; [unrolled: 2-line block ×4, first 2 shown]
	ds_read_u16 v16, v88 offset:208
	ds_read_u16 v18, v88
	ds_read_u16 v19, v88 offset:32
	ds_read_u16 v108, v88 offset:240
	;; [unrolled: 1-line block ×6, first 2 shown]
	ds_read_u16 v17, v89
	ds_read_u16 v107, v89 offset:32
	ds_read_u16 v117, v88 offset:272
	;; [unrolled: 1-line block ×7, first 2 shown]
	ds_read_u16 v104, v90
	ds_read_u16 v123, v90 offset:32
	ds_read_u16 v124, v90 offset:64
	;; [unrolled: 1-line block ×7, first 2 shown]
	v_fmac_f32_e32 v21, v94, v95
	v_cvt_f32_f16_e32 v62, v73
	v_cvt_f32_f16_sdwa v63, v73 dst_sel:DWORD dst_unused:UNUSED_PAD src0_sel:WORD_1
	v_cvt_f32_f16_e32 v64, v72
	v_cvt_f32_f16_sdwa v65, v72 dst_sel:DWORD dst_unused:UNUSED_PAD src0_sel:WORD_1
	;; [unrolled: 2-line block ×5, first 2 shown]
	s_waitcnt lgkmcnt(7)
	v_perm_b32 v17, v104, v17, s41
	v_perm_b32 v16, v16, v18, s41
	v_cvt_f32_f16_e32 v104, v106
	v_cvt_f32_f16_sdwa v105, v106 dst_sel:DWORD dst_unused:UNUSED_PAD src0_sel:WORD_1
	s_waitcnt lgkmcnt(6)
	v_perm_b32 v107, v123, v107, s41
	v_perm_b32 v106, v108, v19, s41
	v_mfma_f32_16x16x16_f16 v[16:19], v[16:17], v[110:111], v[62:65]
	s_waitcnt lgkmcnt(0)
	s_barrier
	s_nop 0
	v_perm_b32 v65, v124, v118, s41
	v_perm_b32 v64, v117, v109, s41
	v_mfma_f32_16x16x16_f16 v[106:109], v[106:107], v[110:111], v[66:69]
	v_cvt_f32_f16_e32 v62, v112
	v_cvt_f32_f16_sdwa v63, v112 dst_sel:DWORD dst_unused:UNUSED_PAD src0_sel:WORD_1
	s_nop 0
	v_perm_b32 v67, v125, v120, s41
	v_perm_b32 v66, v119, v114, s41
	v_mfma_f32_16x16x16_f16 v[68:71], v[64:65], v[110:111], v[70:73]
	v_cvt_f32_f16_e32 v64, v113
	v_cvt_f32_f16_sdwa v65, v113 dst_sel:DWORD dst_unused:UNUSED_PAD src0_sel:WORD_1
	s_nop 0
	v_perm_b32 v73, v127, v126, s41
	v_perm_b32 v72, v121, v115, s41
	v_mfma_f32_16x16x16_f16 v[94:97], v[66:67], v[110:111], v[94:97]
	v_perm_b32 v67, v128, v129, s41
	v_perm_b32 v66, v122, v116, s41
	v_cvt_pk_f16_f32 v69, v68, v69
	v_mfma_f32_16x16x16_f16 v[102:105], v[72:73], v[110:111], v[102:105]
	v_cvt_pk_f16_f32 v68, v70, v71
	v_cvt_pk_f16_f32 v71, v106, v107
	;; [unrolled: 1-line block ×3, first 2 shown]
	v_mfma_f32_16x16x16_f16 v[110:113], v[66:67], v[110:111], v[62:65]
	v_cvt_pk_f16_f32 v73, v16, v17
	v_cvt_pk_f16_f32 v72, v18, v19
	s_nop 1
	v_cvt_pk_f16_f32 v67, v102, v103
	v_cvt_pk_f16_f32 v64, v94, v95
	;; [unrolled: 1-line block ×6, first 2 shown]
	s_cbranch_vccz .LBB14_244
; %bb.241:                              ;   in Loop: Header=BB14_234 Depth=1
	v_mov_b32_e32 v94, v21
	v_mov_b32_e32 v95, v55
	s_branch .LBB14_234
.LBB14_242:
                                        ; implicit-def: $sgpr4_sgpr5
                                        ; kill: killed $sgpr4_sgpr5
	s_load_dwordx2 s[68:69], s[0:1], 0x5c
	s_branch .LBB14_7
.LBB14_243:
	v_mov_b32_e32 v55, 0xfeffffff
	v_mov_b32_e32 v21, 0
	;; [unrolled: 1-line block ×14, first 2 shown]
.LBB14_244:
	s_lshl_b32 s8, s34, 6
	v_readlane_b32 s0, v186, 4
	s_sub_i32 s14, s0, s8
	s_cmp_lg_u64 s[2:3], 0
	s_cselect_b64 s[10:11], -1, 0
	s_ashr_i32 s9, s8, 31
	s_cmp_eq_u64 s[2:3], 0
	v_readlane_b32 s1, v186, 5
	s_cbranch_scc1 .LBB14_254
; %bb.245:
	s_lshl_b64 s[0:1], s[8:9], 1
	s_add_u32 s0, s2, s0
	s_addc_u32 s1, s3, s1
	v_mov_b32_e32 v23, 0
	v_cmp_gt_i32_e32 vcc, s14, v58
	v_lshl_add_u64 v[12:13], s[0:1], 0, v[22:23]
	v_mov_b32_e32 v15, 0
	s_and_saveexec_b64 s[0:1], vcc
	s_cbranch_execz .LBB14_247
; %bb.246:
	v_add_u32_e32 v14, s33, v43
	v_mul_hi_u32 v15, s68, v14
	v_add_u32_e32 v15, v14, v15
	v_lshrrev_b32_e32 v15, s69, v15
	v_mul_lo_u32 v15, v15, s52
	v_sub_u32_e32 v14, v14, v15
	v_mad_i64_i32 v[14:15], s[2:3], v14, s70, 0
	v_lshl_add_u64 v[14:15], v[14:15], 1, v[12:13]
	global_load_ushort v15, v[14:15], off
.LBB14_247:
	s_or_b64 exec, exec, s[0:1]
	s_movk_i32 s0, 0x90
	v_mad_u32_u24 v14, v43, s0, 0
	v_lshl_add_u32 v16, v58, 1, v14
	s_waitcnt vmcnt(0)
	ds_write_b16 v16, v15 offset:13312
	s_and_saveexec_b64 s[0:1], vcc
	s_cbranch_execz .LBB14_249
; %bb.248:
	v_add3_u32 v15, v43, s33, 4
	v_mul_hi_u32 v16, s68, v15
	v_add_u32_e32 v16, v15, v16
	v_lshrrev_b32_e32 v16, s69, v16
	v_mul_lo_u32 v16, v16, s52
	v_sub_u32_e32 v15, v15, v16
	v_mad_i64_i32 v[16:17], s[2:3], v15, s70, 0
	v_lshl_add_u64 v[16:17], v[16:17], 1, v[12:13]
	global_load_ushort v23, v[16:17], off
.LBB14_249:
	s_or_b64 exec, exec, s[0:1]
	v_add_u32_e32 v15, 0x240, v14
	v_lshl_add_u32 v14, v58, 1, v15
	s_waitcnt vmcnt(0)
	ds_write_b16 v14, v23 offset:13312
	v_mov_b32_e32 v14, 0
	v_mov_b32_e32 v16, 0
	s_and_saveexec_b64 s[0:1], vcc
	s_cbranch_execz .LBB14_251
; %bb.250:
	v_add3_u32 v16, v43, s33, 8
	v_mul_hi_u32 v17, s68, v16
	v_add_u32_e32 v17, v16, v17
	v_lshrrev_b32_e32 v17, s69, v17
	v_mul_lo_u32 v17, v17, s52
	v_sub_u32_e32 v16, v16, v17
	v_mad_i64_i32 v[16:17], s[2:3], v16, s70, 0
	v_lshl_add_u64 v[16:17], v[16:17], 1, v[12:13]
	global_load_ushort v16, v[16:17], off
.LBB14_251:
	s_or_b64 exec, exec, s[0:1]
	v_add_u32_e32 v15, 0x240, v15
	v_lshl_add_u32 v15, v58, 1, v15
	s_waitcnt vmcnt(0)
	ds_write_b16 v15, v16 offset:13312
	s_and_saveexec_b64 s[0:1], vcc
	s_cbranch_execz .LBB14_253
; %bb.252:
	v_add3_u32 v14, v43, s33, 12
	v_mul_hi_u32 v16, s68, v14
	v_add_u32_e32 v16, v14, v16
	v_lshrrev_b32_e32 v16, s69, v16
	v_mul_lo_u32 v16, v16, s52
	v_sub_u32_e32 v14, v14, v16
	v_mad_i64_i32 v[16:17], s[2:3], v14, s70, 0
	v_lshl_add_u64 v[12:13], v[16:17], 1, v[12:13]
	global_load_ushort v14, v[12:13], off
.LBB14_253:
	s_or_b64 exec, exec, s[0:1]
	s_waitcnt vmcnt(0)
	ds_write_b16 v15, v14 offset:13888
.LBB14_254:
	s_mul_hi_i32 s3, s8, s66
	s_mul_i32 s2, s8, s66
	s_lshl_b64 s[2:3], s[2:3], 2
	v_add_u32_e32 v27, v75, v99
	s_add_u32 s12, s35, s2
	v_mul_lo_u32 v12, s66, v27
	s_addc_u32 s13, s36, s3
	v_ashrrev_i32_e32 v13, 31, v12
	v_and_b32_e32 v14, 12, v77
	v_lshl_add_u64 v[12:13], v[12:13], 2, s[12:13]
	v_lshlrev_b32_e32 v18, 2, v14
	v_mov_b32_e32 v19, 0
	s_mov_b64 s[0:1], src_private_base
	v_lshl_add_u64 v[12:13], v[12:13], 0, v[18:19]
	s_mov_b64 s[2:3], 0x80
	v_lshl_add_u64 v[12:13], v[12:13], 0, s[2:3]
	v_mov_b32_e32 v26, s1
	v_cmp_gt_i32_e64 s[4:5], s14, v27
	v_mov_b32_e32 v22, 0
	v_mov_b32_e32 v14, v19
	v_cndmask_b32_e64 v17, v26, v13, s[4:5]
	v_cndmask_b32_e64 v16, v22, v12, s[4:5]
	v_mov_b32_e32 v12, v19
	v_mov_b32_e32 v13, v19
	;; [unrolled: 1-line block ×3, first 2 shown]
	scratch_store_dwordx4 off, v[12:15], off
	flat_load_dwordx4 v[28:31], v[16:17]
	v_mul_lo_u32 v32, s66, v61
	v_and_b32_e32 v16, 28, v77
	v_ashrrev_i32_e32 v33, 31, v32
	v_mul_u32_u24_e32 v23, 0xd0, v27
	v_lshlrev_b32_e32 v16, 2, v16
	v_mov_b32_e32 v17, v19
	v_lshl_add_u64 v[34:35], v[32:33], 2, s[12:13]
	v_add3_u32 v36, 0, v23, v18
	v_lshl_add_u64 v[34:35], v[34:35], 0, v[16:17]
	v_cmp_gt_i32_e64 s[6:7], s14, v61
	v_lshl_add_u32 v32, s66, 5, v32
	v_ashrrev_i32_e32 v33, 31, v32
	v_cndmask_b32_e64 v35, v26, v35, s[6:7]
	v_cndmask_b32_e64 v34, v22, v34, s[6:7]
	v_mul_u32_u24_e32 v23, 0xd0, v61
	v_lshl_add_u64 v[32:33], v[32:33], 2, s[12:13]
	v_add3_u32 v23, 0, v23, v16
	v_lshl_add_u64 v[32:33], v[32:33], 0, v[16:17]
	s_movk_i32 s9, 0xd0
	v_and_b32_e32 v37, 48, v99
	s_andn2_b64 vcc, exec, s[10:11]
	s_waitcnt vmcnt(0) lgkmcnt(0)
	ds_write_b128 v36, v[28:31] offset:128
	flat_load_dwordx4 v[28:31], v[34:35]
	v_add_u32_e32 v34, 32, v61
	v_cmp_gt_i32_e64 s[0:1], s14, v34
	s_waitcnt vmcnt(0) lgkmcnt(0)
	ds_write_b128 v23, v[28:31]
	v_cndmask_b32_e64 v33, v26, v33, s[0:1]
	v_cndmask_b32_e64 v32, v22, v32, s[0:1]
	flat_load_dwordx4 v[28:31], v[32:33]
	v_mad_u32_u24 v26, v37, s9, 0
	v_add3_u32 v38, v26, v76, v25
	s_waitcnt vmcnt(0) lgkmcnt(0)
	ds_write_b128 v23, v[28:31] offset:6656
	s_waitcnt lgkmcnt(0)
	s_barrier
	ds_read2_b64 v[28:31], v38 offset1:4
	s_waitcnt lgkmcnt(0)
	v_mfma_f32_16x16x16_f16 v[32:35], v[28:29], v[8:9], 0
	v_mfma_f32_16x16x16_f16 v[8:11], v[30:31], v[10:11], v[32:35]
	ds_read2_b64 v[28:31], v38 offset0:8 offset1:12
	s_nop 5
	ds_read2_b64 v[32:35], v38 offset0:16 offset1:20
	s_waitcnt lgkmcnt(1)
	v_mfma_f32_16x16x16_f16 v[8:11], v[28:29], v[4:5], v[8:11]
	v_add_u32_e32 v5, 0x80, v36
	v_add_u32_e32 v4, 0x1a00, v23
	s_waitcnt lgkmcnt(0)
	v_mfma_f32_16x16x16_f16 v[6:9], v[30:31], v[6:7], v[8:11]
	s_barrier
	v_mfma_f32_16x16x16_f16 v[6:9], v[32:33], v[0:1], v[6:9]
	s_nop 1
	v_and_b32_e32 v10, 0xfc, v75
	v_mfma_f32_16x16x16_f16 v[0:3], v[34:35], v[2:3], v[6:9]
	s_nop 3
	v_add_u32_e32 v6, v10, v37
	s_cbranch_vccnz .LBB14_256
; %bb.255:
	s_movk_i32 s9, 0x90
	v_mad_u32_u24 v7, v74, s9, 0
	v_lshlrev_b32_e32 v8, 1, v6
	s_movk_i32 s9, 0x3400
	v_add3_u32 v7, v7, v8, s9
	ds_read2_b32 v[8:9], v7 offset1:1
	s_waitcnt lgkmcnt(0)
	v_cvt_f32_f16_e32 v10, v8
	v_cvt_f32_f16_e32 v28, v9
	v_cvt_f32_f16_sdwa v29, v9 dst_sel:DWORD dst_unused:UNUSED_PAD src0_sel:WORD_1
	v_cvt_f32_f16_sdwa v11, v8 dst_sel:DWORD dst_unused:UNUSED_PAD src0_sel:WORD_1
	v_pk_fma_f32 v[2:3], v[20:21], v[28:29], v[2:3] op_sel_hi:[0,1,1]
	v_pk_fma_f32 v[0:1], v[20:21], v[10:11], v[0:1] op_sel_hi:[0,1,1]
.LBB14_256:
	s_mul_hi_i32 s9, s8, s54
	s_mul_i32 s8, s8, s54
	s_lshl_b64 s[8:9], s[8:9], 2
	s_add_u32 s12, s30, s8
	v_mul_lo_u32 v8, s54, v27
	s_addc_u32 s13, s31, s9
	v_ashrrev_i32_e32 v9, 31, v8
	v_lshl_add_u64 v[8:9], v[8:9], 2, s[12:13]
	s_mov_b64 s[10:11], src_private_base
	v_lshl_add_u64 v[8:9], v[8:9], 0, v[18:19]
	scratch_store_dwordx4 off, v[12:15], off
	v_lshl_add_u64 v[8:9], v[8:9], 0, s[2:3]
	v_cndmask_b32_e64 v8, v22, v8, s[4:5]
	v_mov_b32_e32 v13, s11
	v_cndmask_b32_e64 v9, v13, v9, s[4:5]
	flat_load_dwordx4 v[8:11], v[8:9]
	v_mul_lo_u32 v14, s54, v61
	v_ashrrev_i32_e32 v15, 31, v14
	v_lshl_add_u64 v[18:19], v[14:15], 2, s[12:13]
	v_lshl_add_u64 v[18:19], v[18:19], 0, v[16:17]
	v_cndmask_b32_e64 v19, v13, v19, s[6:7]
	v_cndmask_b32_e64 v18, v22, v18, s[6:7]
	v_add_f32_e32 v7, 0x40051340, v0
	v_max_f32_e32 v12, v55, v55
	v_and_b32_e32 v34, 0xfc, v60
	v_max_f32_e32 v37, v12, v7
	v_cmp_gt_u32_e32 vcc, s14, v6
	v_or_b32_e32 v20, 1, v6
	v_or_b32_e32 v28, 2, v6
	;; [unrolled: 1-line block ×4, first 2 shown]
	v_cndmask_b32_e32 v6, v55, v37, vcc
	v_add_f32_e32 v27, 0x40051340, v1
	v_mbcnt_hi_u32_b32 v32, -1, v101
	v_or_b32_e32 v35, 2, v60
	v_and_b32_e32 v38, 64, v32
	v_cmp_gt_u32_e64 s[8:9], s14, v20
	v_xor_b32_e32 v39, 32, v32
	v_add_f32_e32 v29, 0x40051340, v2
	v_add_f32_e32 v31, 0x40051340, v3
	v_cmp_gt_u32_e64 s[6:7], s14, v30
	v_xor_b32_e32 v40, 16, v32
	v_lshl_add_u32 v14, s54, 5, v14
	v_ashrrev_i32_e32 v15, 31, v14
	v_lshl_add_u64 v[14:15], v[14:15], 2, s[12:13]
	v_lshl_add_u64 v[14:15], v[14:15], 0, v[16:17]
	v_cndmask_b32_e64 v15, v13, v15, s[0:1]
	s_mov_b32 s15, 0x3fb8aa3b
	v_cndmask_b32_e64 v14, v22, v14, s[0:1]
	s_mov_b32 s16, 0xc2ce8ed0
	s_mov_b32 s17, 0x42b17218
	v_mov_b32_e32 v33, 0x7f800000
	s_mov_b32 s18, 0xc1a00000
	s_mov_b32 s3, 0
	v_mov_b32_e32 v7, s3
	v_mov_b32_e32 v12, s3
	s_mov_b32 s2, 0x5040100
	s_waitcnt vmcnt(0) lgkmcnt(0)
	ds_write_b128 v5, v[8:11]
	flat_load_dwordx4 v[8:11], v[18:19]
	v_mul_u32_u24_e32 v18, 0xd0, v34
	v_mul_u32_u24_e32 v34, 0xd0, v36
	v_add3_u32 v36, v26, v18, v59
	v_max_f32_e32 v18, v6, v6
	v_max_f32_e32 v18, v18, v27
	v_mul_u32_u24_e32 v19, 0xd0, v35
	v_add_u32_e32 v35, 64, v38
	v_cndmask_b32_e64 v6, v6, v18, s[8:9]
	v_cmp_lt_i32_e64 s[4:5], v39, v35
	v_max_f32_e32 v18, v6, v6
	v_add3_u32 v37, v26, v19, v59
	v_cndmask_b32_e64 v19, v32, v39, s[4:5]
	v_max_f32_e32 v18, v18, v29
	v_cmp_gt_u32_e64 s[4:5], s14, v28
	v_lshlrev_b32_e32 v27, 2, v19
	v_cmp_lt_i32_e64 s[10:11], v40, v35
	v_cndmask_b32_e64 v6, v6, v18, s[4:5]
	v_max_f32_e32 v18, v6, v6
	v_max_f32_e32 v18, v18, v31
	v_cndmask_b32_e64 v6, v6, v18, s[6:7]
	ds_bpermute_b32 v18, v27, v6
	v_cndmask_b32_e64 v19, v32, v40, s[10:11]
	v_max_f32_e32 v6, v6, v6
	v_lshlrev_b32_e32 v29, 2, v19
	v_add3_u32 v34, v26, v34, v59
	s_waitcnt lgkmcnt(0)
	v_max_f32_e32 v18, v18, v18
	v_max_f32_e32 v6, v6, v18
	ds_bpermute_b32 v18, v29, v6
	v_mov_b32_e32 v5, s3
	s_waitcnt lgkmcnt(0)
	v_max_f32_e32 v13, v18, v18
	v_max_f32_e32 v26, v6, v13
	v_sub_f32_e32 v6, v0, v26
	v_sub_f32_e32 v13, v1, v26
	;; [unrolled: 1-line block ×4, first 2 shown]
	v_mul_f32_e32 v0, 0x3fb8aa3b, v6
	v_mul_f32_e32 v1, 0x3fb8aa3b, v13
	;; [unrolled: 1-line block ×4, first 2 shown]
	v_fma_f32 v20, v6, s15, -v0
	v_rndne_f32_e32 v22, v0
	v_fma_f32 v28, v13, s15, -v1
	v_rndne_f32_e32 v30, v1
	;; [unrolled: 2-line block ×3, first 2 shown]
	v_rndne_f32_e32 v38, v3
	v_fmac_f32_e32 v20, 0x32a5705f, v6
	v_sub_f32_e32 v0, v0, v22
	v_fmac_f32_e32 v28, 0x32a5705f, v13
	v_sub_f32_e32 v1, v1, v30
	;; [unrolled: 2-line block ×3, first 2 shown]
	v_fma_f32 v35, v17, s15, -v3
	v_sub_f32_e32 v41, v3, v38
	v_add_f32_e32 v20, v0, v20
	v_add_f32_e32 v28, v1, v28
	v_add_f32_e32 v31, v2, v31
	v_sub_f32_e32 v18, v55, v26
	v_mul_f32_e32 v19, 0x3fb8aa3b, v18
	v_cvt_i32_f32_e32 v22, v22
	v_fma_f32 v39, v18, s15, -v19
	v_rndne_f32_e32 v40, v19
	v_cvt_i32_f32_e32 v30, v30
	v_fmac_f32_e32 v35, 0x32a5705f, v17
	v_cvt_i32_f32_e32 v32, v32
	v_fmac_f32_e32 v39, 0x32a5705f, v18
	v_sub_f32_e32 v19, v19, v40
	v_cvt_i32_f32_e32 v38, v38
	v_cvt_i32_f32_e32 v40, v40
	v_cmp_ngt_f32_e64 s[0:1], s16, v6
	s_waitcnt vmcnt(0)
	ds_write_b128 v23, v[8:11]
	flat_load_dwordx4 v[0:3], v[14:15]
	v_exp_f32_e32 v10, v20
	v_exp_f32_e32 v11, v28
	v_add_f32_e32 v8, v41, v35
	v_exp_f32_e32 v14, v31
	v_add_f32_e32 v9, v19, v39
	v_exp_f32_e32 v8, v8
	v_exp_f32_e32 v9, v9
	v_ldexp_f32 v10, v10, v22
	v_ldexp_f32 v11, v11, v30
	v_cndmask_b32_e64 v10, 0, v10, s[0:1]
	v_cmp_ngt_f32_e64 s[0:1], s16, v13
	v_ldexp_f32 v14, v14, v32
	v_ldexp_f32 v8, v8, v38
	v_cndmask_b32_e64 v11, 0, v11, s[0:1]
	v_cmp_ngt_f32_e64 s[0:1], s16, v16
	v_ldexp_f32 v9, v9, v40
	s_waitcnt vmcnt(0) lgkmcnt(0)
	ds_write_b128 v4, v[0:3]
	v_cndmask_b32_e64 v14, 0, v14, s[0:1]
	v_cmp_ngt_f32_e64 s[0:1], s16, v17
	s_waitcnt lgkmcnt(0)
	s_barrier
	v_cndmask_b32_e64 v8, 0, v8, s[0:1]
	v_cmp_ngt_f32_e64 s[0:1], s16, v18
	s_nop 1
	v_cndmask_b32_e64 v9, 0, v9, s[0:1]
	v_cmp_nlt_f32_e64 s[0:1], s17, v6
	s_nop 1
	v_cndmask_b32_e64 v6, v33, v10, s[0:1]
	v_cmp_nlt_f32_e64 s[0:1], s17, v13
	v_cndmask_b32_e32 v6, 0, v6, vcc
	v_cmp_le_f32_e32 vcc, s18, v18
	v_cndmask_b32_e64 v10, v33, v11, s[0:1]
	v_cmp_nlt_f32_e64 s[0:1], s17, v16
	v_cndmask_b32_e64 v7, v7, v10, s[8:9]
	v_add_f32_e32 v10, v10, v6
	v_cndmask_b32_e64 v11, v33, v14, s[0:1]
	v_cmp_nlt_f32_e64 s[0:1], s17, v17
	v_cvt_pk_f16_f32 v22, v6, v7
	s_nop 0
	v_cndmask_b32_e64 v13, v33, v8, s[0:1]
	v_cmp_nlt_f32_e64 s[0:1], s17, v18
	v_cndmask_b32_e64 v8, v12, v11, s[4:5]
	v_cndmask_b32_e64 v5, v5, v13, s[6:7]
	;; [unrolled: 1-line block ×3, first 2 shown]
	v_cndmask_b32_e32 v9, 0, v9, vcc
	v_cvt_f16_f32_e32 v12, v9
	v_cvt_pk_f16_f32 v23, v8, v5
	v_cndmask_b32_e64 v5, v6, v10, s[8:9]
	v_add_f32_e32 v6, v5, v11
	v_cndmask_b32_e64 v5, v5, v6, s[4:5]
	v_add_f32_e32 v6, v5, v13
	v_mul_u32_u24_e32 v7, 0x10001, v12
	v_cndmask_b32_e64 v28, v5, v6, s[6:7]
	v_pk_mul_f16 v5, v73, v7
	v_pk_mul_f16 v10, v72, v7
	;; [unrolled: 1-line block ×12, first 2 shown]
	v_cvt_f32_f16_e32 v6, v5
	v_cvt_f32_f16_sdwa v7, v5 dst_sel:DWORD dst_unused:UNUSED_PAD src0_sel:WORD_1
	ds_read_u16 v0, v36 offset:208
	ds_read_u16 v2, v36
	ds_read_u16 v3, v36 offset:32
	ds_read_u16 v4, v36 offset:240
	;; [unrolled: 1-line block ×6, first 2 shown]
	ds_read_u16 v1, v37
	ds_read_u16 v5, v37 offset:32
	ds_read_u16 v45, v36 offset:272
	;; [unrolled: 1-line block ×7, first 2 shown]
	ds_read_u16 v32, v34
	ds_read_u16 v36, v34 offset:32
	ds_read_u16 v51, v34 offset:64
	;; [unrolled: 1-line block ×7, first 2 shown]
	s_waitcnt lgkmcnt(7)
	v_perm_b32 v1, v32, v1, s2
	v_perm_b32 v0, v0, v2, s2
	v_fmac_f32_e32 v28, v21, v9
	v_cvt_f32_f16_e32 v8, v10
	v_cvt_f32_f16_sdwa v9, v10 dst_sel:DWORD dst_unused:UNUSED_PAD src0_sel:WORD_1
	s_waitcnt lgkmcnt(6)
	v_perm_b32 v5, v36, v5, s2
	v_perm_b32 v4, v4, v3, s2
	v_cvt_f32_f16_e32 v10, v11
	v_cvt_f32_f16_sdwa v11, v11 dst_sel:DWORD dst_unused:UNUSED_PAD src0_sel:WORD_1
	v_cvt_f32_f16_e32 v12, v13
	v_cvt_f32_f16_sdwa v13, v13 dst_sel:DWORD dst_unused:UNUSED_PAD src0_sel:WORD_1
	v_mfma_f32_16x16x16_f16 v[0:3], v[0:1], v[22:23], v[6:9]
	v_cvt_f32_f16_e32 v14, v15
	v_cvt_f32_f16_sdwa v15, v15 dst_sel:DWORD dst_unused:UNUSED_PAD src0_sel:WORD_1
	v_cvt_f32_f16_e32 v16, v17
	s_waitcnt lgkmcnt(5)
	v_perm_b32 v9, v51, v46, s2
	v_perm_b32 v8, v45, v39, s2
	v_cvt_f32_f16_sdwa v17, v17 dst_sel:DWORD dst_unused:UNUSED_PAD src0_sel:WORD_1
	v_mfma_f32_16x16x16_f16 v[4:7], v[4:5], v[22:23], v[10:13]
	v_cvt_f32_f16_e32 v18, v19
	v_cvt_f32_f16_sdwa v19, v19 dst_sel:DWORD dst_unused:UNUSED_PAD src0_sel:WORD_1
	v_cvt_f32_f16_e32 v20, v30
	s_waitcnt lgkmcnt(4)
	v_perm_b32 v13, v52, v48, s2
	v_perm_b32 v12, v47, v40, s2
	v_cvt_f32_f16_sdwa v21, v30 dst_sel:DWORD dst_unused:UNUSED_PAD src0_sel:WORD_1
	ds_bpermute_b32 v39, v27, v28
	v_mfma_f32_16x16x16_f16 v[8:11], v[8:9], v[22:23], v[14:17]
	v_cvt_f32_f16_e32 v30, v31
	v_cvt_f32_f16_sdwa v31, v31 dst_sel:DWORD dst_unused:UNUSED_PAD src0_sel:WORD_1
	v_cvt_f32_f16_e32 v32, v33
	s_waitcnt lgkmcnt(3)
	v_perm_b32 v17, v54, v53, s2
	v_perm_b32 v16, v49, v41, s2
	v_cvt_f32_f16_sdwa v33, v33 dst_sel:DWORD dst_unused:UNUSED_PAD src0_sel:WORD_1
	v_mfma_f32_16x16x16_f16 v[12:15], v[12:13], v[22:23], v[18:21]
	v_cvt_f32_f16_e32 v34, v35
	v_cvt_f32_f16_sdwa v35, v35 dst_sel:DWORD dst_unused:UNUSED_PAD src0_sel:WORD_1
	v_cvt_f32_f16_e32 v36, v38
	s_waitcnt lgkmcnt(1)
	v_perm_b32 v21, v55, v37, s2
	v_perm_b32 v20, v50, v44, s2
	v_cvt_f32_f16_sdwa v37, v38 dst_sel:DWORD dst_unused:UNUSED_PAD src0_sel:WORD_1
	s_waitcnt lgkmcnt(0)
	v_add_f32_e32 v28, v28, v39
	v_mfma_f32_16x16x16_f16 v[16:19], v[16:17], v[22:23], v[30:33]
	v_cmp_gt_u32_e64 s[0:1], 16, v58
	s_barrier
	s_nop 0
	ds_bpermute_b32 v30, v29, v28
	v_mfma_f32_16x16x16_f16 v[20:23], v[20:21], v[22:23], v[34:37]
	s_waitcnt lgkmcnt(0)
	s_and_saveexec_b64 s[2:3], s[0:1]
; %bb.257:
	v_add_f32_e32 v28, v28, v30
	v_or_b32_e32 v30, v99, v58
	s_movk_i32 s4, 0xd0
	v_mad_u32_u24 v30, v30, s4, 0
	ds_write2_b32 v30, v26, v28 offset0:48 offset1:49
; %bb.258:
	s_or_b64 exec, exec, s[2:3]
	v_and_b32_e32 v26, 3, v43
	v_cmp_eq_u32_e32 vcc, 0, v26
	v_cmp_ne_u32_e64 s[4:5], 0, v26
	s_waitcnt lgkmcnt(0)
	s_barrier
	s_and_saveexec_b64 s[2:3], s[4:5]
	s_xor_b64 s[2:3], exec, s[2:3]
	s_cbranch_execz .LBB14_260
; %bb.259:
	s_barrier
                                        ; implicit-def: $vgpr58
                                        ; implicit-def: $vgpr27
                                        ; implicit-def: $vgpr29
                                        ; implicit-def: $vgpr100
.LBB14_260:
	s_andn2_saveexec_b64 s[2:3], s[2:3]
	s_cbranch_execz .LBB14_264
; %bb.261:
	v_add_u32_e32 v26, v99, v58
	s_movk_i32 s4, 0xd0
	v_mad_u32_u24 v32, v26, s4, 0
	ds_read_b64 v[30:31], v32 offset:192
	s_mov_b32 s4, 0x3fb8aa3b
	s_mov_b32 s6, 0x42b17218
	;; [unrolled: 1-line block ×3, first 2 shown]
	s_waitcnt lgkmcnt(0)
	ds_bpermute_b32 v26, v27, v30
	v_max_f32_e32 v28, v30, v30
	s_barrier
	s_waitcnt lgkmcnt(0)
	v_max_f32_e32 v26, v26, v26
	v_max_f32_e32 v26, v28, v26
	ds_bpermute_b32 v28, v29, v26
	s_waitcnt lgkmcnt(0)
	v_max_f32_e32 v28, v28, v28
	v_max_f32_e32 v26, v26, v28
	v_sub_f32_e32 v28, v30, v26
	v_mul_f32_e32 v30, 0x3fb8aa3b, v28
	v_fma_f32 v33, v28, s4, -v30
	v_rndne_f32_e32 v34, v30
	v_fmamk_f32 v33, v28, 0x32a5705f, v33
	v_sub_f32_e32 v30, v30, v34
	v_add_f32_e32 v30, v30, v33
	v_cvt_i32_f32_e32 v34, v34
	v_exp_f32_e32 v30, v30
	s_mov_b32 s4, 0xc2ce8ed0
	v_cmp_ngt_f32_e64 s[4:5], s4, v28
	v_mov_b32_e32 v33, 0x7f800000
	v_ldexp_f32 v30, v30, v34
	v_cndmask_b32_e64 v30, 0, v30, s[4:5]
	v_cmp_nlt_f32_e64 s[4:5], s6, v28
	s_nop 1
	v_cndmask_b32_e64 v28, v33, v30, s[4:5]
	v_mul_f32_e32 v30, v31, v28
	ds_bpermute_b32 v27, v27, v30
	s_waitcnt lgkmcnt(0)
	v_fmac_f32_e32 v27, v31, v28
	ds_bpermute_b32 v29, v29, v27
	s_waitcnt lgkmcnt(0)
	v_add_f32_e32 v29, v27, v29
	ds_write_b64 v32, v[28:29] offset:192
	s_and_saveexec_b64 s[4:5], s[0:1]
	s_cbranch_execz .LBB14_263
; %bb.262:
	s_add_i32 s0, s61, s60
	s_lshl_b32 s6, s0, 4
	s_lshl_b64 s[0:1], s[6:7], 3
	s_add_u32 s0, s50, s0
	v_or_b32_e32 v27, v100, v58
	s_addc_u32 s1, s51, s1
	v_lshlrev_b32_e32 v28, 3, v27
	v_mov_b32_e32 v27, v29
	global_store_dwordx2 v28, v[26:27], s[0:1]
.LBB14_263:
	s_or_b64 exec, exec, s[4:5]
.LBB14_264:
	s_or_b64 exec, exec, s[2:3]
	v_cvt_pk_f16_f32 v0, v0, v1
	v_cvt_pk_f16_f32 v1, v6, v7
	;; [unrolled: 1-line block ×3, first 2 shown]
	v_or_b32_e32 v12, v99, v24
	v_mul_u32_u24_e32 v12, 0xd0, v12
	v_cvt_pk_f16_f32 v2, v2, v3
	s_movk_i32 s4, 0xd0
	s_mov_b32 s3, 0
	v_add3_u32 v12, 0, v12, v25
	v_cvt_pk_f16_f32 v3, v4, v5
	v_cvt_pk_f16_f32 v4, v10, v11
	;; [unrolled: 1-line block ×8, first 2 shown]
	ds_write2_b32 v12, v0, v2 offset1:1
	ds_write2_b32 v12, v3, v1 offset0:8 offset1:9
	ds_write2_b32 v12, v5, v4 offset0:16 offset1:17
	;; [unrolled: 1-line block ×5, first 2 shown]
	s_waitcnt lgkmcnt(0)
	s_barrier
	s_and_saveexec_b64 s[0:1], vcc
	s_cbranch_execz .LBB14_266
; %bb.265:
	s_mul_i32 s2, s60, 0x300
	s_lshl_b64 s[6:7], s[2:3], 3
	s_add_u32 s5, s50, s6
	s_addc_u32 s6, s51, s7
	s_lshl_b32 s2, s61, 5
	v_lshrrev_b32_e32 v0, 1, v43
	s_lshl_b64 s[2:3], s[2:3], 3
	v_add_u32_e32 v12, v0, v98
	s_add_u32 s2, s5, s2
	v_lshlrev_b32_e32 v0, 2, v12
	v_and_b32_e32 v1, 15, v12
	s_movk_i32 s5, 0xfc0
	v_and_or_b32 v2, v0, s5, v1
	v_mad_u32_u24 v8, v2, s4, v56
	ds_read2st64_b32 v[0:1], v8 offset1:13
	v_mad_u32_u24 v2, v2, s4, 0
	v_add_u32_e32 v6, 0xc0, v2
	ds_read2st64_b32 v[2:3], v6 offset1:13
	ds_read2st64_b32 v[6:7], v6 offset0:26 offset1:39
	ds_read2st64_b32 v[8:9], v8 offset0:26 offset1:39
	s_waitcnt lgkmcnt(3)
	v_cvt_f32_f16_e32 v4, v0
	v_cvt_f32_f16_sdwa v5, v0 dst_sel:DWORD dst_unused:UNUSED_PAD src0_sel:WORD_1
	v_cvt_f32_f16_e32 v0, v1
	v_cvt_f32_f16_sdwa v1, v1 dst_sel:DWORD dst_unused:UNUSED_PAD src0_sel:WORD_1
	s_waitcnt lgkmcnt(0)
	v_cvt_f32_f16_e32 v10, v8
	v_cvt_f32_f16_sdwa v11, v8 dst_sel:DWORD dst_unused:UNUSED_PAD src0_sel:WORD_1
	v_cvt_f32_f16_e32 v8, v9
	v_cvt_f32_f16_sdwa v9, v9 dst_sel:DWORD dst_unused:UNUSED_PAD src0_sel:WORD_1
	v_pk_fma_f32 v[4:5], v[2:3], v[4:5], 0 op_sel_hi:[0,1,0]
	v_mov_b32_e32 v2, v3
	v_pk_fma_f32 v[0:1], v[2:3], v[0:1], v[4:5] op_sel_hi:[0,1,1]
	v_pk_fma_f32 v[0:1], v[6:7], v[10:11], v[0:1] op_sel_hi:[0,1,1]
	v_mov_b32_e32 v2, v7
	v_pk_fma_f32 v[0:1], v[2:3], v[8:9], v[0:1] op_sel_hi:[0,1,1]
	v_add_u32_e32 v2, 2, v12
	v_lshlrev_b32_e32 v3, 2, v2
	v_and_b32_e32 v2, 15, v2
	s_movk_i32 s5, 0x1fc0
	v_and_or_b32 v4, v3, s5, v2
	v_mul_u32_u24_e32 v13, 48, v12
	v_mad_u32_u24 v8, v4, s4, v56
	s_addc_u32 s3, s6, s3
	ds_read2st64_b32 v[2:3], v8 offset1:13
	v_add_lshl_u32 v13, v13, v42, 3
	v_mad_u32_u24 v4, v4, s4, 0
	v_add_u32_e32 v9, 0xc0, v4
	global_store_dwordx2 v13, v[0:1], s[2:3]
	ds_read2st64_b32 v[4:5], v9 offset1:13
	ds_read2st64_b32 v[0:1], v9 offset0:26 offset1:39
	ds_read2st64_b32 v[8:9], v8 offset0:26 offset1:39
	s_waitcnt lgkmcnt(3)
	v_cvt_f32_f16_e32 v6, v2
	v_cvt_f32_f16_sdwa v7, v2 dst_sel:DWORD dst_unused:UNUSED_PAD src0_sel:WORD_1
	v_cvt_f32_f16_e32 v2, v3
	v_cvt_f32_f16_sdwa v3, v3 dst_sel:DWORD dst_unused:UNUSED_PAD src0_sel:WORD_1
	s_waitcnt lgkmcnt(0)
	v_cvt_f32_f16_e32 v10, v8
	v_cvt_f32_f16_sdwa v11, v8 dst_sel:DWORD dst_unused:UNUSED_PAD src0_sel:WORD_1
	v_cvt_f32_f16_e32 v8, v9
	v_cvt_f32_f16_sdwa v9, v9 dst_sel:DWORD dst_unused:UNUSED_PAD src0_sel:WORD_1
	v_pk_fma_f32 v[6:7], v[4:5], v[6:7], 0 op_sel_hi:[0,1,0]
	v_mov_b32_e32 v4, v5
	v_pk_fma_f32 v[2:3], v[4:5], v[2:3], v[6:7] op_sel_hi:[0,1,1]
	v_pk_fma_f32 v[2:3], v[0:1], v[10:11], v[2:3] op_sel_hi:[0,1,1]
	v_mov_b32_e32 v0, v1
	v_pk_fma_f32 v[0:1], v[0:1], v[8:9], v[2:3] op_sel_hi:[0,1,1]
	v_add_u32_e32 v2, 4, v12
	v_lshlrev_b32_e32 v3, 2, v2
	v_and_b32_e32 v2, 15, v2
	v_and_or_b32 v4, v3, s5, v2
	v_mad_u32_u24 v8, v4, s4, v56
	ds_read2st64_b32 v[2:3], v8 offset1:13
	global_store_dwordx2 v13, v[0:1], s[2:3] offset:768
	v_mad_u32_u24 v0, v4, s4, 0
	v_add_u32_e32 v6, 0xc0, v0
	ds_read2st64_b32 v[0:1], v6 offset1:13
	ds_read2st64_b32 v[6:7], v6 offset0:26 offset1:39
	ds_read2st64_b32 v[8:9], v8 offset0:26 offset1:39
	s_waitcnt lgkmcnt(3)
	v_cvt_f32_f16_e32 v4, v2
	v_cvt_f32_f16_sdwa v5, v2 dst_sel:DWORD dst_unused:UNUSED_PAD src0_sel:WORD_1
	v_cvt_f32_f16_e32 v2, v3
	v_cvt_f32_f16_sdwa v3, v3 dst_sel:DWORD dst_unused:UNUSED_PAD src0_sel:WORD_1
	s_waitcnt lgkmcnt(0)
	v_cvt_f32_f16_e32 v10, v8
	v_cvt_f32_f16_sdwa v11, v8 dst_sel:DWORD dst_unused:UNUSED_PAD src0_sel:WORD_1
	v_cvt_f32_f16_e32 v8, v9
	v_cvt_f32_f16_sdwa v9, v9 dst_sel:DWORD dst_unused:UNUSED_PAD src0_sel:WORD_1
	v_pk_fma_f32 v[4:5], v[0:1], v[4:5], 0 op_sel_hi:[0,1,0]
	v_mov_b32_e32 v0, v1
	v_pk_fma_f32 v[0:1], v[0:1], v[2:3], v[4:5] op_sel_hi:[0,1,1]
	v_pk_fma_f32 v[0:1], v[6:7], v[10:11], v[0:1] op_sel_hi:[0,1,1]
	v_mov_b32_e32 v2, v7
	v_pk_fma_f32 v[0:1], v[2:3], v[8:9], v[0:1] op_sel_hi:[0,1,1]
	v_add_u32_e32 v2, 6, v12
	v_lshlrev_b32_e32 v3, 2, v2
	v_and_b32_e32 v2, 15, v2
	v_and_or_b32 v4, v3, s5, v2
	v_add_u32_e32 v14, 0x600, v13
	v_mad_u32_u24 v8, v4, s4, v56
	ds_read2st64_b32 v[2:3], v8 offset1:13
	global_store_dwordx2 v14, v[0:1], s[2:3]
	v_mad_u32_u24 v0, v4, s4, 0
	v_add_u32_e32 v6, 0xc0, v0
	ds_read2st64_b32 v[0:1], v6 offset1:13
	ds_read2st64_b32 v[6:7], v6 offset0:26 offset1:39
	ds_read2st64_b32 v[8:9], v8 offset0:26 offset1:39
	s_waitcnt lgkmcnt(3)
	v_cvt_f32_f16_e32 v4, v2
	v_cvt_f32_f16_sdwa v5, v2 dst_sel:DWORD dst_unused:UNUSED_PAD src0_sel:WORD_1
	v_cvt_f32_f16_e32 v2, v3
	v_cvt_f32_f16_sdwa v3, v3 dst_sel:DWORD dst_unused:UNUSED_PAD src0_sel:WORD_1
	s_waitcnt lgkmcnt(0)
	v_cvt_f32_f16_e32 v10, v8
	v_cvt_f32_f16_sdwa v11, v8 dst_sel:DWORD dst_unused:UNUSED_PAD src0_sel:WORD_1
	v_cvt_f32_f16_e32 v8, v9
	v_cvt_f32_f16_sdwa v9, v9 dst_sel:DWORD dst_unused:UNUSED_PAD src0_sel:WORD_1
	v_pk_fma_f32 v[4:5], v[0:1], v[4:5], 0 op_sel_hi:[0,1,0]
	v_mov_b32_e32 v0, v1
	v_pk_fma_f32 v[0:1], v[0:1], v[2:3], v[4:5] op_sel_hi:[0,1,1]
	v_pk_fma_f32 v[0:1], v[6:7], v[10:11], v[0:1] op_sel_hi:[0,1,1]
	v_mov_b32_e32 v2, v7
	v_pk_fma_f32 v[0:1], v[2:3], v[8:9], v[0:1] op_sel_hi:[0,1,1]
	v_add_u32_e32 v2, 8, v12
	v_lshlrev_b32_e32 v3, 2, v2
	v_and_b32_e32 v2, 15, v2
	v_and_or_b32 v4, v3, s5, v2
	v_add_u32_e32 v14, 0x900, v13
	v_mad_u32_u24 v8, v4, s4, v56
	ds_read2st64_b32 v[2:3], v8 offset1:13
	global_store_dwordx2 v14, v[0:1], s[2:3]
	;; [unrolled: 29-line block ×5, first 2 shown]
	v_mad_u32_u24 v0, v4, s4, 0
	v_add_u32_e32 v6, 0xc0, v0
	ds_read2st64_b32 v[0:1], v6 offset1:13
	ds_read2st64_b32 v[6:7], v6 offset0:26 offset1:39
	ds_read2st64_b32 v[8:9], v8 offset0:26 offset1:39
	s_waitcnt lgkmcnt(3)
	v_cvt_f32_f16_e32 v4, v2
	v_cvt_f32_f16_sdwa v5, v2 dst_sel:DWORD dst_unused:UNUSED_PAD src0_sel:WORD_1
	v_cvt_f32_f16_e32 v2, v3
	v_cvt_f32_f16_sdwa v3, v3 dst_sel:DWORD dst_unused:UNUSED_PAD src0_sel:WORD_1
	s_waitcnt lgkmcnt(0)
	v_cvt_f32_f16_e32 v10, v8
	v_cvt_f32_f16_sdwa v11, v8 dst_sel:DWORD dst_unused:UNUSED_PAD src0_sel:WORD_1
	v_cvt_f32_f16_e32 v8, v9
	v_cvt_f32_f16_sdwa v9, v9 dst_sel:DWORD dst_unused:UNUSED_PAD src0_sel:WORD_1
	v_pk_fma_f32 v[4:5], v[0:1], v[4:5], 0 op_sel_hi:[0,1,0]
	v_mov_b32_e32 v0, v1
	v_pk_fma_f32 v[0:1], v[0:1], v[2:3], v[4:5] op_sel_hi:[0,1,1]
	v_pk_fma_f32 v[0:1], v[6:7], v[10:11], v[0:1] op_sel_hi:[0,1,1]
	v_mov_b32_e32 v2, v7
	v_add_u32_e32 v12, 0x1500, v13
	v_pk_fma_f32 v[0:1], v[2:3], v[8:9], v[0:1] op_sel_hi:[0,1,1]
	v_add_u32_e32 v16, v57, v43
	global_store_dwordx2 v12, v[0:1], s[2:3]
	v_lshlrev_b32_e32 v0, 2, v16
	v_and_b32_e32 v1, 15, v16
	v_lshl_add_u32 v17, v24, 2, 0
	v_and_or_b32 v0, v0, s5, v1
	v_mad_u32_u24 v2, v0, s4, 0
	v_mad_u32_u24 v0, v0, s4, v17
	v_add_u32_e32 v6, 0x80, v0
	ds_read2st64_b32 v[0:1], v6 offset1:13
	v_add_u32_e32 v4, 0xc0, v2
	ds_read2st64_b32 v[2:3], v4 offset1:13
	ds_read2st64_b32 v[4:5], v4 offset0:26 offset1:39
	ds_read2st64_b32 v[6:7], v6 offset0:26 offset1:39
	v_mad_u32_u24 v10, v16, 48, v24
	v_mov_b32_e32 v11, 0
	s_waitcnt lgkmcnt(3)
	v_cvt_f32_f16_e32 v8, v0
	v_cvt_f32_f16_sdwa v9, v0 dst_sel:DWORD dst_unused:UNUSED_PAD src0_sel:WORD_1
	v_cvt_f32_f16_e32 v0, v1
	v_cvt_f32_f16_sdwa v1, v1 dst_sel:DWORD dst_unused:UNUSED_PAD src0_sel:WORD_1
	s_waitcnt lgkmcnt(0)
	v_cvt_f32_f16_e32 v14, v6
	v_cvt_f32_f16_sdwa v15, v6 dst_sel:DWORD dst_unused:UNUSED_PAD src0_sel:WORD_1
	v_cvt_f32_f16_e32 v6, v7
	v_cvt_f32_f16_sdwa v7, v7 dst_sel:DWORD dst_unused:UNUSED_PAD src0_sel:WORD_1
	v_pk_fma_f32 v[8:9], v[2:3], v[8:9], 0 op_sel_hi:[0,1,0]
	v_mov_b32_e32 v2, v3
	v_pk_fma_f32 v[0:1], v[2:3], v[0:1], v[8:9] op_sel_hi:[0,1,1]
	v_pk_fma_f32 v[0:1], v[4:5], v[14:15], v[0:1] op_sel_hi:[0,1,1]
	v_mov_b32_e32 v2, v5
	v_lshl_add_u64 v[12:13], v[10:11], 3, s[2:3]
	v_pk_fma_f32 v[0:1], v[2:3], v[6:7], v[0:1] op_sel_hi:[0,1,1]
	global_store_dwordx2 v[12:13], v[0:1], off offset:256
	v_add_u32_e32 v0, 4, v16
	v_lshlrev_b32_e32 v1, 2, v0
	v_and_b32_e32 v0, 15, v0
	s_movk_i32 s5, 0x3fc0
	v_and_or_b32 v0, v1, s5, v0
	v_mad_u32_u24 v2, v0, s4, 0
	v_mad_u32_u24 v0, v0, s4, v17
	v_add_u32_e32 v6, 0x80, v0
	ds_read2st64_b32 v[0:1], v6 offset1:13
	v_add_u32_e32 v4, 0xc0, v2
	ds_read2st64_b32 v[2:3], v4 offset1:13
	ds_read2st64_b32 v[4:5], v4 offset0:26 offset1:39
	ds_read2st64_b32 v[6:7], v6 offset0:26 offset1:39
	v_add_u32_e32 v12, 0xc0, v10
	v_mov_b32_e32 v13, v11
	s_waitcnt lgkmcnt(3)
	v_cvt_f32_f16_e32 v8, v0
	v_cvt_f32_f16_sdwa v9, v0 dst_sel:DWORD dst_unused:UNUSED_PAD src0_sel:WORD_1
	v_cvt_f32_f16_e32 v0, v1
	v_cvt_f32_f16_sdwa v1, v1 dst_sel:DWORD dst_unused:UNUSED_PAD src0_sel:WORD_1
	s_waitcnt lgkmcnt(0)
	v_cvt_f32_f16_e32 v14, v6
	v_cvt_f32_f16_sdwa v15, v6 dst_sel:DWORD dst_unused:UNUSED_PAD src0_sel:WORD_1
	v_cvt_f32_f16_e32 v6, v7
	v_cvt_f32_f16_sdwa v7, v7 dst_sel:DWORD dst_unused:UNUSED_PAD src0_sel:WORD_1
	v_pk_fma_f32 v[8:9], v[2:3], v[8:9], 0 op_sel_hi:[0,1,0]
	v_mov_b32_e32 v2, v3
	v_pk_fma_f32 v[0:1], v[2:3], v[0:1], v[8:9] op_sel_hi:[0,1,1]
	v_pk_fma_f32 v[0:1], v[4:5], v[14:15], v[0:1] op_sel_hi:[0,1,1]
	v_mov_b32_e32 v2, v5
	v_lshl_add_u64 v[12:13], v[12:13], 3, s[2:3]
	v_pk_fma_f32 v[0:1], v[2:3], v[6:7], v[0:1] op_sel_hi:[0,1,1]
	global_store_dwordx2 v[12:13], v[0:1], off offset:256
	v_add_u32_e32 v0, 8, v16
	v_lshlrev_b32_e32 v1, 2, v0
	v_and_b32_e32 v0, 15, v0
	v_and_or_b32 v0, v1, s5, v0
	v_mad_u32_u24 v2, v0, s4, 0
	v_mad_u32_u24 v0, v0, s4, v17
	v_add_u32_e32 v6, 0x80, v0
	ds_read2st64_b32 v[0:1], v6 offset1:13
	v_add_u32_e32 v4, 0xc0, v2
	ds_read2st64_b32 v[2:3], v4 offset1:13
	ds_read2st64_b32 v[4:5], v4 offset0:26 offset1:39
	ds_read2st64_b32 v[6:7], v6 offset0:26 offset1:39
	v_add_u32_e32 v12, 0x180, v10
	v_mov_b32_e32 v13, v11
	s_waitcnt lgkmcnt(3)
	v_cvt_f32_f16_e32 v8, v0
	v_cvt_f32_f16_sdwa v9, v0 dst_sel:DWORD dst_unused:UNUSED_PAD src0_sel:WORD_1
	v_cvt_f32_f16_e32 v0, v1
	v_cvt_f32_f16_sdwa v1, v1 dst_sel:DWORD dst_unused:UNUSED_PAD src0_sel:WORD_1
	s_waitcnt lgkmcnt(0)
	v_cvt_f32_f16_e32 v14, v6
	v_cvt_f32_f16_sdwa v15, v6 dst_sel:DWORD dst_unused:UNUSED_PAD src0_sel:WORD_1
	v_cvt_f32_f16_e32 v6, v7
	v_cvt_f32_f16_sdwa v7, v7 dst_sel:DWORD dst_unused:UNUSED_PAD src0_sel:WORD_1
	v_pk_fma_f32 v[8:9], v[2:3], v[8:9], 0 op_sel_hi:[0,1,0]
	v_mov_b32_e32 v2, v3
	v_pk_fma_f32 v[0:1], v[2:3], v[0:1], v[8:9] op_sel_hi:[0,1,1]
	v_pk_fma_f32 v[0:1], v[4:5], v[14:15], v[0:1] op_sel_hi:[0,1,1]
	v_mov_b32_e32 v2, v5
	v_lshl_add_u64 v[12:13], v[12:13], 3, s[2:3]
	v_pk_fma_f32 v[0:1], v[2:3], v[6:7], v[0:1] op_sel_hi:[0,1,1]
	global_store_dwordx2 v[12:13], v[0:1], off offset:256
	v_add_u32_e32 v0, 12, v16
	v_lshlrev_b32_e32 v1, 2, v0
	v_and_b32_e32 v0, 15, v0
	v_and_or_b32 v2, v1, s5, v0
	v_mad_u32_u24 v0, v2, s4, v17
	v_add_u32_e32 v8, 0x80, v0
	ds_read2st64_b32 v[0:1], v8 offset1:13
	v_mad_u32_u24 v2, v2, s4, 0
	v_add_u32_e32 v4, 0xc0, v2
	ds_read2st64_b32 v[2:3], v4 offset1:13
	ds_read2st64_b32 v[4:5], v4 offset0:26 offset1:39
	ds_read2st64_b32 v[8:9], v8 offset0:26 offset1:39
	s_waitcnt lgkmcnt(3)
	v_cvt_f32_f16_e32 v6, v0
	v_cvt_f32_f16_sdwa v7, v0 dst_sel:DWORD dst_unused:UNUSED_PAD src0_sel:WORD_1
	v_cvt_f32_f16_e32 v0, v1
	v_cvt_f32_f16_sdwa v1, v1 dst_sel:DWORD dst_unused:UNUSED_PAD src0_sel:WORD_1
	s_waitcnt lgkmcnt(0)
	v_cvt_f32_f16_e32 v12, v8
	v_cvt_f32_f16_sdwa v13, v8 dst_sel:DWORD dst_unused:UNUSED_PAD src0_sel:WORD_1
	v_cvt_f32_f16_e32 v8, v9
	v_cvt_f32_f16_sdwa v9, v9 dst_sel:DWORD dst_unused:UNUSED_PAD src0_sel:WORD_1
	v_pk_fma_f32 v[6:7], v[2:3], v[6:7], 0 op_sel_hi:[0,1,0]
	v_mov_b32_e32 v2, v3
	v_pk_fma_f32 v[0:1], v[2:3], v[0:1], v[6:7] op_sel_hi:[0,1,1]
	v_add_u32_e32 v10, 0x240, v10
	v_pk_fma_f32 v[0:1], v[4:5], v[12:13], v[0:1] op_sel_hi:[0,1,1]
	v_mov_b32_e32 v2, v5
	v_lshl_add_u64 v[10:11], v[10:11], 3, s[2:3]
	v_pk_fma_f32 v[0:1], v[2:3], v[8:9], v[0:1] op_sel_hi:[0,1,1]
	global_store_dwordx2 v[10:11], v[0:1], off offset:256
.LBB14_266:
	s_or_b64 exec, exec, s[0:1]
	s_barrier
	s_endpgm
	.section	.rodata,"a",@progbits
	.p2align	6, 0x0
	.amdhsa_kernel _ZL18flash_attn_ext_f16ILi96ELi96ELi16ELi1ELb0ELb0EEvPKcS1_S1_S1_S1_PKiPfP15HIP_vector_typeIfLj2EEffffjfiS5_IjLj3EEiiiiiiiiiiiliiliiiiil
		.amdhsa_group_segment_fixed_size 0
		.amdhsa_private_segment_fixed_size 32
		.amdhsa_kernarg_size 464
		.amdhsa_user_sgpr_count 2
		.amdhsa_user_sgpr_dispatch_ptr 0
		.amdhsa_user_sgpr_queue_ptr 0
		.amdhsa_user_sgpr_kernarg_segment_ptr 1
		.amdhsa_user_sgpr_dispatch_id 0
		.amdhsa_user_sgpr_kernarg_preload_length 0
		.amdhsa_user_sgpr_kernarg_preload_offset 0
		.amdhsa_user_sgpr_private_segment_size 0
		.amdhsa_uses_dynamic_stack 0
		.amdhsa_enable_private_segment 1
		.amdhsa_system_sgpr_workgroup_id_x 1
		.amdhsa_system_sgpr_workgroup_id_y 0
		.amdhsa_system_sgpr_workgroup_id_z 0
		.amdhsa_system_sgpr_workgroup_info 0
		.amdhsa_system_vgpr_workitem_id 1
		.amdhsa_next_free_vgpr 187
		.amdhsa_next_free_sgpr 100
		.amdhsa_accum_offset 188
		.amdhsa_reserve_vcc 1
		.amdhsa_float_round_mode_32 0
		.amdhsa_float_round_mode_16_64 0
		.amdhsa_float_denorm_mode_32 3
		.amdhsa_float_denorm_mode_16_64 3
		.amdhsa_dx10_clamp 1
		.amdhsa_ieee_mode 1
		.amdhsa_fp16_overflow 0
		.amdhsa_tg_split 0
		.amdhsa_exception_fp_ieee_invalid_op 0
		.amdhsa_exception_fp_denorm_src 0
		.amdhsa_exception_fp_ieee_div_zero 0
		.amdhsa_exception_fp_ieee_overflow 0
		.amdhsa_exception_fp_ieee_underflow 0
		.amdhsa_exception_fp_ieee_inexact 0
		.amdhsa_exception_int_div_zero 0
	.end_amdhsa_kernel
	.section	.text._ZL18flash_attn_ext_f16ILi96ELi96ELi16ELi1ELb0ELb0EEvPKcS1_S1_S1_S1_PKiPfP15HIP_vector_typeIfLj2EEffffjfiS5_IjLj3EEiiiiiiiiiiiliiliiiiil,"axG",@progbits,_ZL18flash_attn_ext_f16ILi96ELi96ELi16ELi1ELb0ELb0EEvPKcS1_S1_S1_S1_PKiPfP15HIP_vector_typeIfLj2EEffffjfiS5_IjLj3EEiiiiiiiiiiiliiliiiiil,comdat
.Lfunc_end14:
	.size	_ZL18flash_attn_ext_f16ILi96ELi96ELi16ELi1ELb0ELb0EEvPKcS1_S1_S1_S1_PKiPfP15HIP_vector_typeIfLj2EEffffjfiS5_IjLj3EEiiiiiiiiiiiliiliiiiil, .Lfunc_end14-_ZL18flash_attn_ext_f16ILi96ELi96ELi16ELi1ELb0ELb0EEvPKcS1_S1_S1_S1_PKiPfP15HIP_vector_typeIfLj2EEffffjfiS5_IjLj3EEiiiiiiiiiiiliiliiiiil
                                        ; -- End function
	.set _ZL18flash_attn_ext_f16ILi96ELi96ELi16ELi1ELb0ELb0EEvPKcS1_S1_S1_S1_PKiPfP15HIP_vector_typeIfLj2EEffffjfiS5_IjLj3EEiiiiiiiiiiiliiliiiiil.num_vgpr, 187
	.set _ZL18flash_attn_ext_f16ILi96ELi96ELi16ELi1ELb0ELb0EEvPKcS1_S1_S1_S1_PKiPfP15HIP_vector_typeIfLj2EEffffjfiS5_IjLj3EEiiiiiiiiiiiliiliiiiil.num_agpr, 0
	.set _ZL18flash_attn_ext_f16ILi96ELi96ELi16ELi1ELb0ELb0EEvPKcS1_S1_S1_S1_PKiPfP15HIP_vector_typeIfLj2EEffffjfiS5_IjLj3EEiiiiiiiiiiiliiliiiiil.numbered_sgpr, 100
	.set _ZL18flash_attn_ext_f16ILi96ELi96ELi16ELi1ELb0ELb0EEvPKcS1_S1_S1_S1_PKiPfP15HIP_vector_typeIfLj2EEffffjfiS5_IjLj3EEiiiiiiiiiiiliiliiiiil.num_named_barrier, 0
	.set _ZL18flash_attn_ext_f16ILi96ELi96ELi16ELi1ELb0ELb0EEvPKcS1_S1_S1_S1_PKiPfP15HIP_vector_typeIfLj2EEffffjfiS5_IjLj3EEiiiiiiiiiiiliiliiiiil.private_seg_size, 32
	.set _ZL18flash_attn_ext_f16ILi96ELi96ELi16ELi1ELb0ELb0EEvPKcS1_S1_S1_S1_PKiPfP15HIP_vector_typeIfLj2EEffffjfiS5_IjLj3EEiiiiiiiiiiiliiliiiiil.uses_vcc, 1
	.set _ZL18flash_attn_ext_f16ILi96ELi96ELi16ELi1ELb0ELb0EEvPKcS1_S1_S1_S1_PKiPfP15HIP_vector_typeIfLj2EEffffjfiS5_IjLj3EEiiiiiiiiiiiliiliiiiil.uses_flat_scratch, 0
	.set _ZL18flash_attn_ext_f16ILi96ELi96ELi16ELi1ELb0ELb0EEvPKcS1_S1_S1_S1_PKiPfP15HIP_vector_typeIfLj2EEffffjfiS5_IjLj3EEiiiiiiiiiiiliiliiiiil.has_dyn_sized_stack, 0
	.set _ZL18flash_attn_ext_f16ILi96ELi96ELi16ELi1ELb0ELb0EEvPKcS1_S1_S1_S1_PKiPfP15HIP_vector_typeIfLj2EEffffjfiS5_IjLj3EEiiiiiiiiiiiliiliiiiil.has_recursion, 0
	.set _ZL18flash_attn_ext_f16ILi96ELi96ELi16ELi1ELb0ELb0EEvPKcS1_S1_S1_S1_PKiPfP15HIP_vector_typeIfLj2EEffffjfiS5_IjLj3EEiiiiiiiiiiiliiliiiiil.has_indirect_call, 0
	.section	.AMDGPU.csdata,"",@progbits
; Kernel info:
; codeLenInByte = 38136
; TotalNumSgprs: 106
; NumVgprs: 187
; NumAgprs: 0
; TotalNumVgprs: 187
; ScratchSize: 32
; MemoryBound: 0
; FloatMode: 240
; IeeeMode: 1
; LDSByteSize: 0 bytes/workgroup (compile time only)
; SGPRBlocks: 13
; VGPRBlocks: 23
; NumSGPRsForWavesPerEU: 106
; NumVGPRsForWavesPerEU: 187
; AccumOffset: 188
; Occupancy: 2
; WaveLimiterHint : 1
; COMPUTE_PGM_RSRC2:SCRATCH_EN: 1
; COMPUTE_PGM_RSRC2:USER_SGPR: 2
; COMPUTE_PGM_RSRC2:TRAP_HANDLER: 0
; COMPUTE_PGM_RSRC2:TGID_X_EN: 1
; COMPUTE_PGM_RSRC2:TGID_Y_EN: 0
; COMPUTE_PGM_RSRC2:TGID_Z_EN: 0
; COMPUTE_PGM_RSRC2:TIDIG_COMP_CNT: 1
; COMPUTE_PGM_RSRC3_GFX90A:ACCUM_OFFSET: 46
; COMPUTE_PGM_RSRC3_GFX90A:TG_SPLIT: 0
	.section	.text._ZL18flash_attn_ext_f16ILi96ELi96ELi16ELi1ELb1ELb0EEvPKcS1_S1_S1_S1_PKiPfP15HIP_vector_typeIfLj2EEffffjfiS5_IjLj3EEiiiiiiiiiiiliiliiiiil,"axG",@progbits,_ZL18flash_attn_ext_f16ILi96ELi96ELi16ELi1ELb1ELb0EEvPKcS1_S1_S1_S1_PKiPfP15HIP_vector_typeIfLj2EEffffjfiS5_IjLj3EEiiiiiiiiiiiliiliiiiil,comdat
	.globl	_ZL18flash_attn_ext_f16ILi96ELi96ELi16ELi1ELb1ELb0EEvPKcS1_S1_S1_S1_PKiPfP15HIP_vector_typeIfLj2EEffffjfiS5_IjLj3EEiiiiiiiiiiiliiliiiiil ; -- Begin function _ZL18flash_attn_ext_f16ILi96ELi96ELi16ELi1ELb1ELb0EEvPKcS1_S1_S1_S1_PKiPfP15HIP_vector_typeIfLj2EEffffjfiS5_IjLj3EEiiiiiiiiiiiliiliiiiil
	.p2align	8
	.type	_ZL18flash_attn_ext_f16ILi96ELi96ELi16ELi1ELb1ELb0EEvPKcS1_S1_S1_S1_PKiPfP15HIP_vector_typeIfLj2EEffffjfiS5_IjLj3EEiiiiiiiiiiiliiliiiiil,@function
_ZL18flash_attn_ext_f16ILi96ELi96ELi16ELi1ELb1ELb0EEvPKcS1_S1_S1_S1_PKiPfP15HIP_vector_typeIfLj2EEffffjfiS5_IjLj3EEiiiiiiiiiiiliiliiiiil: ; @_ZL18flash_attn_ext_f16ILi96ELi96ELi16ELi1ELb1ELb0EEvPKcS1_S1_S1_S1_PKiPfP15HIP_vector_typeIfLj2EEffffjfiS5_IjLj3EEiiiiiiiiiiiliiliiiiil
; %bb.0:
	s_add_u32 s8, s0, 0xd0
	s_addc_u32 s9, s1, 0
	s_getpc_b64 s[0:1]
	s_add_u32 s0, s0, _ZL14no_device_codePKciS0_iS0_@rel32@lo+4
	s_addc_u32 s1, s1, _ZL14no_device_codePKciS0_iS0_@rel32@hi+12
	s_mov_b32 s32, 0
	s_swappc_b64 s[30:31], s[0:1]
	.section	.rodata,"a",@progbits
	.p2align	6, 0x0
	.amdhsa_kernel _ZL18flash_attn_ext_f16ILi96ELi96ELi16ELi1ELb1ELb0EEvPKcS1_S1_S1_S1_PKiPfP15HIP_vector_typeIfLj2EEffffjfiS5_IjLj3EEiiiiiiiiiiiliiliiiiil
		.amdhsa_group_segment_fixed_size 0
		.amdhsa_private_segment_fixed_size 16
		.amdhsa_kernarg_size 464
		.amdhsa_user_sgpr_count 2
		.amdhsa_user_sgpr_dispatch_ptr 0
		.amdhsa_user_sgpr_queue_ptr 0
		.amdhsa_user_sgpr_kernarg_segment_ptr 1
		.amdhsa_user_sgpr_dispatch_id 0
		.amdhsa_user_sgpr_kernarg_preload_length 0
		.amdhsa_user_sgpr_kernarg_preload_offset 0
		.amdhsa_user_sgpr_private_segment_size 0
		.amdhsa_uses_dynamic_stack 0
		.amdhsa_enable_private_segment 1
		.amdhsa_system_sgpr_workgroup_id_x 1
		.amdhsa_system_sgpr_workgroup_id_y 0
		.amdhsa_system_sgpr_workgroup_id_z 0
		.amdhsa_system_sgpr_workgroup_info 0
		.amdhsa_system_vgpr_workitem_id 0
		.amdhsa_next_free_vgpr 50
		.amdhsa_next_free_sgpr 34
		.amdhsa_accum_offset 52
		.amdhsa_reserve_vcc 1
		.amdhsa_float_round_mode_32 0
		.amdhsa_float_round_mode_16_64 0
		.amdhsa_float_denorm_mode_32 3
		.amdhsa_float_denorm_mode_16_64 3
		.amdhsa_dx10_clamp 1
		.amdhsa_ieee_mode 1
		.amdhsa_fp16_overflow 0
		.amdhsa_tg_split 0
		.amdhsa_exception_fp_ieee_invalid_op 0
		.amdhsa_exception_fp_denorm_src 0
		.amdhsa_exception_fp_ieee_div_zero 0
		.amdhsa_exception_fp_ieee_overflow 0
		.amdhsa_exception_fp_ieee_underflow 0
		.amdhsa_exception_fp_ieee_inexact 0
		.amdhsa_exception_int_div_zero 0
	.end_amdhsa_kernel
	.section	.text._ZL18flash_attn_ext_f16ILi96ELi96ELi16ELi1ELb1ELb0EEvPKcS1_S1_S1_S1_PKiPfP15HIP_vector_typeIfLj2EEffffjfiS5_IjLj3EEiiiiiiiiiiiliiliiiiil,"axG",@progbits,_ZL18flash_attn_ext_f16ILi96ELi96ELi16ELi1ELb1ELb0EEvPKcS1_S1_S1_S1_PKiPfP15HIP_vector_typeIfLj2EEffffjfiS5_IjLj3EEiiiiiiiiiiiliiliiiiil,comdat
.Lfunc_end15:
	.size	_ZL18flash_attn_ext_f16ILi96ELi96ELi16ELi1ELb1ELb0EEvPKcS1_S1_S1_S1_PKiPfP15HIP_vector_typeIfLj2EEffffjfiS5_IjLj3EEiiiiiiiiiiiliiliiiiil, .Lfunc_end15-_ZL18flash_attn_ext_f16ILi96ELi96ELi16ELi1ELb1ELb0EEvPKcS1_S1_S1_S1_PKiPfP15HIP_vector_typeIfLj2EEffffjfiS5_IjLj3EEiiiiiiiiiiiliiliiiiil
                                        ; -- End function
	.set _ZL18flash_attn_ext_f16ILi96ELi96ELi16ELi1ELb1ELb0EEvPKcS1_S1_S1_S1_PKiPfP15HIP_vector_typeIfLj2EEffffjfiS5_IjLj3EEiiiiiiiiiiiliiliiiiil.num_vgpr, max(0, .L_ZL14no_device_codePKciS0_iS0_.num_vgpr)
	.set _ZL18flash_attn_ext_f16ILi96ELi96ELi16ELi1ELb1ELb0EEvPKcS1_S1_S1_S1_PKiPfP15HIP_vector_typeIfLj2EEffffjfiS5_IjLj3EEiiiiiiiiiiiliiliiiiil.num_agpr, max(0, .L_ZL14no_device_codePKciS0_iS0_.num_agpr)
	.set _ZL18flash_attn_ext_f16ILi96ELi96ELi16ELi1ELb1ELb0EEvPKcS1_S1_S1_S1_PKiPfP15HIP_vector_typeIfLj2EEffffjfiS5_IjLj3EEiiiiiiiiiiiliiliiiiil.numbered_sgpr, max(33, .L_ZL14no_device_codePKciS0_iS0_.numbered_sgpr)
	.set _ZL18flash_attn_ext_f16ILi96ELi96ELi16ELi1ELb1ELb0EEvPKcS1_S1_S1_S1_PKiPfP15HIP_vector_typeIfLj2EEffffjfiS5_IjLj3EEiiiiiiiiiiiliiliiiiil.num_named_barrier, max(0, .L_ZL14no_device_codePKciS0_iS0_.num_named_barrier)
	.set _ZL18flash_attn_ext_f16ILi96ELi96ELi16ELi1ELb1ELb0EEvPKcS1_S1_S1_S1_PKiPfP15HIP_vector_typeIfLj2EEffffjfiS5_IjLj3EEiiiiiiiiiiiliiliiiiil.private_seg_size, 0+max(.L_ZL14no_device_codePKciS0_iS0_.private_seg_size)
	.set _ZL18flash_attn_ext_f16ILi96ELi96ELi16ELi1ELb1ELb0EEvPKcS1_S1_S1_S1_PKiPfP15HIP_vector_typeIfLj2EEffffjfiS5_IjLj3EEiiiiiiiiiiiliiliiiiil.uses_vcc, or(1, .L_ZL14no_device_codePKciS0_iS0_.uses_vcc)
	.set _ZL18flash_attn_ext_f16ILi96ELi96ELi16ELi1ELb1ELb0EEvPKcS1_S1_S1_S1_PKiPfP15HIP_vector_typeIfLj2EEffffjfiS5_IjLj3EEiiiiiiiiiiiliiliiiiil.uses_flat_scratch, or(0, .L_ZL14no_device_codePKciS0_iS0_.uses_flat_scratch)
	.set _ZL18flash_attn_ext_f16ILi96ELi96ELi16ELi1ELb1ELb0EEvPKcS1_S1_S1_S1_PKiPfP15HIP_vector_typeIfLj2EEffffjfiS5_IjLj3EEiiiiiiiiiiiliiliiiiil.has_dyn_sized_stack, or(0, .L_ZL14no_device_codePKciS0_iS0_.has_dyn_sized_stack)
	.set _ZL18flash_attn_ext_f16ILi96ELi96ELi16ELi1ELb1ELb0EEvPKcS1_S1_S1_S1_PKiPfP15HIP_vector_typeIfLj2EEffffjfiS5_IjLj3EEiiiiiiiiiiiliiliiiiil.has_recursion, or(0, .L_ZL14no_device_codePKciS0_iS0_.has_recursion)
	.set _ZL18flash_attn_ext_f16ILi96ELi96ELi16ELi1ELb1ELb0EEvPKcS1_S1_S1_S1_PKiPfP15HIP_vector_typeIfLj2EEffffjfiS5_IjLj3EEiiiiiiiiiiiliiliiiiil.has_indirect_call, or(0, .L_ZL14no_device_codePKciS0_iS0_.has_indirect_call)
	.section	.AMDGPU.csdata,"",@progbits
; Kernel info:
; codeLenInByte = 40
; TotalNumSgprs: 40
; NumVgprs: 50
; NumAgprs: 0
; TotalNumVgprs: 50
; ScratchSize: 16
; MemoryBound: 0
; FloatMode: 240
; IeeeMode: 1
; LDSByteSize: 0 bytes/workgroup (compile time only)
; SGPRBlocks: 4
; VGPRBlocks: 6
; NumSGPRsForWavesPerEU: 40
; NumVGPRsForWavesPerEU: 50
; AccumOffset: 52
; Occupancy: 8
; WaveLimiterHint : 1
; COMPUTE_PGM_RSRC2:SCRATCH_EN: 1
; COMPUTE_PGM_RSRC2:USER_SGPR: 2
; COMPUTE_PGM_RSRC2:TRAP_HANDLER: 0
; COMPUTE_PGM_RSRC2:TGID_X_EN: 1
; COMPUTE_PGM_RSRC2:TGID_Y_EN: 0
; COMPUTE_PGM_RSRC2:TGID_Z_EN: 0
; COMPUTE_PGM_RSRC2:TIDIG_COMP_CNT: 0
; COMPUTE_PGM_RSRC3_GFX90A:ACCUM_OFFSET: 12
; COMPUTE_PGM_RSRC3_GFX90A:TG_SPLIT: 0
	.section	.text._ZL33flash_attn_stream_k_fixup_uniformILi96ELi16ELi1EEvPfPK15HIP_vector_typeIfLj2EEiiiiiiS1_IjLj3EES5_S5_,"axG",@progbits,_ZL33flash_attn_stream_k_fixup_uniformILi96ELi16ELi1EEvPfPK15HIP_vector_typeIfLj2EEiiiiiiS1_IjLj3EES5_S5_,comdat
	.globl	_ZL33flash_attn_stream_k_fixup_uniformILi96ELi16ELi1EEvPfPK15HIP_vector_typeIfLj2EEiiiiiiS1_IjLj3EES5_S5_ ; -- Begin function _ZL33flash_attn_stream_k_fixup_uniformILi96ELi16ELi1EEvPfPK15HIP_vector_typeIfLj2EEiiiiiiS1_IjLj3EES5_S5_
	.p2align	8
	.type	_ZL33flash_attn_stream_k_fixup_uniformILi96ELi16ELi1EEvPfPK15HIP_vector_typeIfLj2EEiiiiiiS1_IjLj3EES5_S5_,@function
_ZL33flash_attn_stream_k_fixup_uniformILi96ELi16ELi1EEvPfPK15HIP_vector_typeIfLj2EEiiiiiiS1_IjLj3EES5_S5_: ; @_ZL33flash_attn_stream_k_fixup_uniformILi96ELi16ELi1EEvPfPK15HIP_vector_typeIfLj2EEiiiiiiS1_IjLj3EES5_S5_
; %bb.0:
	s_load_dwordx8 s[8:15], s[0:1], 0x1c
	s_load_dwordx2 s[6:7], s[0:1], 0x10
	s_load_dwordx4 s[16:19], s[0:1], 0x3c
	s_waitcnt lgkmcnt(0)
	s_mul_hi_u32 s5, s11, s2
	s_add_i32 s5, s2, s5
	s_lshr_b32 s5, s5, s12
	s_mul_i32 s11, s5, s13
	s_sub_i32 s12, s2, s11
	s_mul_hi_u32 s11, s12, s14
	s_add_i32 s11, s12, s11
	s_lshr_b32 s11, s11, s15
	s_mul_i32 s13, s11, s16
	s_sub_i32 s12, s12, s13
	;; [unrolled: 5-line block ×3, first 2 shown]
	s_lshl_b32 s12, s17, 4
	s_add_i32 s12, s12, s3
	s_cmp_lt_i32 s12, s6
	s_cselect_b64 s[12:13], -1, 0
	s_add_i32 s16, s16, s4
	s_cmp_lt_i32 s16, s9
	s_cselect_b64 s[14:15], -1, 0
	s_and_b64 s[12:13], s[12:13], s[14:15]
	s_andn2_b64 vcc, exec, s[12:13]
	s_cbranch_vccnz .LBB16_6
; %bb.1:
	s_load_dwordx4 s[12:15], s[0:1], 0x0
	s_mul_i32 s0, s5, s6
	s_mul_i32 s11, s11, s9
	s_add_i32 s0, s0, s3
	s_mul_i32 s0, s0, s7
	s_add_i32 s5, s16, s11
	;; [unrolled: 2-line block ×3, first 2 shown]
	s_mulk_i32 s1, 0x600
	s_mulk_i32 s0, 0x60
	s_add_i32 s0, s0, s1
	v_add_u32_e32 v4, s0, v0
	s_waitcnt lgkmcnt(0)
	v_mov_b32_e32 v2, s12
	v_mov_b32_e32 v3, s13
	v_ashrrev_i32_e32 v5, 31, v4
	v_lshl_add_u64 v[2:3], v[4:5], 2, v[2:3]
	global_load_dword v5, v[2:3], off
	s_mul_i32 s6, s10, s2
	s_add_i32 s7, s6, s10
	s_add_i32 s3, s3, s4
	s_lshl_b32 s0, s7, 4
	s_add_i32 s0, s3, s0
	s_add_i32 s0, s0, -16
	s_ashr_i32 s1, s0, 31
	s_lshl_b64 s[0:1], s[0:1], 3
	s_add_u32 s0, s14, s0
	s_addc_u32 s1, s15, s1
	s_load_dword s9, s[0:1], 0x4
	s_add_i32 s4, s7, -2
	s_cmp_lt_i32 s4, s6
	s_cbranch_scc1 .LBB16_4
; %bb.2:
	s_lshl_b32 s4, s8, 6
	s_ashr_i32 s5, s4, 31
	s_lshl_b64 s[4:5], s[4:5], 2
	s_add_u32 s4, s14, s4
	s_addc_u32 s5, s15, s5
	s_load_dword s0, s[0:1], 0x0
	s_add_i32 s2, s2, 1
	s_mul_i32 s10, s10, s2
	s_mul_i32 s1, s3, 0x60
	s_lshl_b32 s2, s10, 4
	s_mulk_i32 s10, 0x600
	s_add_i32 s2, s3, s2
	s_lshl_b32 s3, s8, 4
	s_add_i32 s1, s1, s10
	s_add_i32 s2, s2, s3
	v_add_u32_e32 v0, s1, v0
	s_add_i32 s7, s7, -1
	s_sub_i32 s2, s2, 32
	v_add_u32_e32 v0, 0xfffff400, v0
	s_waitcnt lgkmcnt(0)
	v_mov_b32_e32 v7, s0
	v_mov_b32_e32 v4, s9
	s_mov_b32 s8, 0x3fb8aa3b
	s_mov_b32 s9, 0xc2ce8ed0
	;; [unrolled: 1-line block ×3, first 2 shown]
	v_mov_b32_e32 v6, 0x7f800000
	s_mov_b32 s11, 0xc1a00000
.LBB16_3:                               ; =>This Inner Loop Header: Depth=1
	v_ashrrev_i32_e32 v1, 31, v0
	v_lshl_add_u64 v[8:9], v[0:1], 2, s[4:5]
	global_load_dword v9, v[8:9], off
	s_ashr_i32 s3, s2, 31
	s_lshl_b64 s[0:1], s[2:3], 3
	s_add_u32 s0, s14, s0
	s_addc_u32 s1, s15, s1
	s_load_dwordx2 s[0:1], s[0:1], 0x0
	v_max_f32_e32 v1, v7, v7
	s_add_i32 s7, s7, -1
	s_add_i32 s2, s2, -16
	v_add_u32_e32 v0, 0xfffffa00, v0
	s_waitcnt lgkmcnt(0)
	v_max_f32_e64 v10, s0, s0
	v_max_f32_e32 v1, v1, v10
	v_sub_f32_e32 v11, s0, v1
	v_sub_f32_e32 v10, v7, v1
	v_mul_f32_e32 v12, 0x3fb8aa3b, v11
	v_mov_b32_e32 v7, v1
	v_mul_f32_e32 v1, 0x3fb8aa3b, v10
	v_fma_f32 v15, v11, s8, -v12
	v_rndne_f32_e32 v16, v12
	v_fma_f32 v13, v10, s8, -v1
	v_rndne_f32_e32 v14, v1
	v_fmac_f32_e32 v15, 0x32a5705f, v11
	v_sub_f32_e32 v12, v12, v16
	v_fmac_f32_e32 v13, 0x32a5705f, v10
	v_sub_f32_e32 v1, v1, v14
	v_add_f32_e32 v12, v12, v15
	v_cvt_i32_f32_e32 v16, v16
	v_add_f32_e32 v1, v1, v13
	v_exp_f32_e32 v12, v12
	v_cvt_i32_f32_e32 v14, v14
	v_exp_f32_e32 v1, v1
	v_cmp_ngt_f32_e32 vcc, s9, v11
	v_ldexp_f32 v12, v12, v16
	v_mov_b32_e32 v8, s1
	v_ldexp_f32 v1, v1, v14
	v_cmp_ngt_f32_e64 s[0:1], s9, v10
	v_cndmask_b32_e32 v12, 0, v12, vcc
	v_cmp_nlt_f32_e32 vcc, s10, v11
	v_cndmask_b32_e64 v1, 0, v1, s[0:1]
	v_cmp_nlt_f32_e64 s[0:1], s10, v10
	v_cndmask_b32_e32 v12, v6, v12, vcc
	v_cmp_le_f32_e32 vcc, s11, v11
	v_cndmask_b32_e64 v1, v6, v1, s[0:1]
	v_cmp_le_f32_e64 s[0:1], s11, v10
	v_cndmask_b32_e32 v12, 0, v12, vcc
	s_cmp_le_i32 s7, s6
	v_cndmask_b32_e64 v10, 0, v1, s[0:1]
	s_waitcnt vmcnt(0)
	v_pk_mul_f32 v[8:9], v[8:9], v[12:13] op_sel_hi:[1,0]
	s_nop 0
	v_pk_fma_f32 v[4:5], v[4:5], v[10:11], v[8:9] op_sel_hi:[1,0,1]
	s_cbranch_scc0 .LBB16_3
	s_branch .LBB16_5
.LBB16_4:
	s_waitcnt lgkmcnt(0)
	v_mov_b32_e32 v4, s9
.LBB16_5:
	s_waitcnt vmcnt(0)
	v_div_scale_f32 v0, s[0:1], v4, v4, v5
	v_rcp_f32_e32 v1, v0
	v_div_scale_f32 v6, vcc, v5, v4, v5
	v_fma_f32 v7, -v0, v1, 1.0
	v_fmac_f32_e32 v1, v7, v1
	v_mul_f32_e32 v7, v6, v1
	v_fma_f32 v8, -v0, v7, v6
	v_fmac_f32_e32 v7, v8, v1
	v_fma_f32 v0, -v0, v7, v6
	v_div_fmas_f32 v0, v0, v1, v7
	v_div_fixup_f32 v0, v0, v4, v5
	global_store_dword v[2:3], v0, off
.LBB16_6:
	s_endpgm
	.section	.rodata,"a",@progbits
	.p2align	6, 0x0
	.amdhsa_kernel _ZL33flash_attn_stream_k_fixup_uniformILi96ELi16ELi1EEvPfPK15HIP_vector_typeIfLj2EEiiiiiiS1_IjLj3EES5_S5_
		.amdhsa_group_segment_fixed_size 0
		.amdhsa_private_segment_fixed_size 0
		.amdhsa_kernarg_size 76
		.amdhsa_user_sgpr_count 2
		.amdhsa_user_sgpr_dispatch_ptr 0
		.amdhsa_user_sgpr_queue_ptr 0
		.amdhsa_user_sgpr_kernarg_segment_ptr 1
		.amdhsa_user_sgpr_dispatch_id 0
		.amdhsa_user_sgpr_kernarg_preload_length 0
		.amdhsa_user_sgpr_kernarg_preload_offset 0
		.amdhsa_user_sgpr_private_segment_size 0
		.amdhsa_uses_dynamic_stack 0
		.amdhsa_enable_private_segment 0
		.amdhsa_system_sgpr_workgroup_id_x 1
		.amdhsa_system_sgpr_workgroup_id_y 1
		.amdhsa_system_sgpr_workgroup_id_z 1
		.amdhsa_system_sgpr_workgroup_info 0
		.amdhsa_system_vgpr_workitem_id 0
		.amdhsa_next_free_vgpr 17
		.amdhsa_next_free_sgpr 20
		.amdhsa_accum_offset 20
		.amdhsa_reserve_vcc 1
		.amdhsa_float_round_mode_32 0
		.amdhsa_float_round_mode_16_64 0
		.amdhsa_float_denorm_mode_32 3
		.amdhsa_float_denorm_mode_16_64 3
		.amdhsa_dx10_clamp 1
		.amdhsa_ieee_mode 1
		.amdhsa_fp16_overflow 0
		.amdhsa_tg_split 0
		.amdhsa_exception_fp_ieee_invalid_op 0
		.amdhsa_exception_fp_denorm_src 0
		.amdhsa_exception_fp_ieee_div_zero 0
		.amdhsa_exception_fp_ieee_overflow 0
		.amdhsa_exception_fp_ieee_underflow 0
		.amdhsa_exception_fp_ieee_inexact 0
		.amdhsa_exception_int_div_zero 0
	.end_amdhsa_kernel
	.section	.text._ZL33flash_attn_stream_k_fixup_uniformILi96ELi16ELi1EEvPfPK15HIP_vector_typeIfLj2EEiiiiiiS1_IjLj3EES5_S5_,"axG",@progbits,_ZL33flash_attn_stream_k_fixup_uniformILi96ELi16ELi1EEvPfPK15HIP_vector_typeIfLj2EEiiiiiiS1_IjLj3EES5_S5_,comdat
.Lfunc_end16:
	.size	_ZL33flash_attn_stream_k_fixup_uniformILi96ELi16ELi1EEvPfPK15HIP_vector_typeIfLj2EEiiiiiiS1_IjLj3EES5_S5_, .Lfunc_end16-_ZL33flash_attn_stream_k_fixup_uniformILi96ELi16ELi1EEvPfPK15HIP_vector_typeIfLj2EEiiiiiiS1_IjLj3EES5_S5_
                                        ; -- End function
	.set _ZL33flash_attn_stream_k_fixup_uniformILi96ELi16ELi1EEvPfPK15HIP_vector_typeIfLj2EEiiiiiiS1_IjLj3EES5_S5_.num_vgpr, 17
	.set _ZL33flash_attn_stream_k_fixup_uniformILi96ELi16ELi1EEvPfPK15HIP_vector_typeIfLj2EEiiiiiiS1_IjLj3EES5_S5_.num_agpr, 0
	.set _ZL33flash_attn_stream_k_fixup_uniformILi96ELi16ELi1EEvPfPK15HIP_vector_typeIfLj2EEiiiiiiS1_IjLj3EES5_S5_.numbered_sgpr, 20
	.set _ZL33flash_attn_stream_k_fixup_uniformILi96ELi16ELi1EEvPfPK15HIP_vector_typeIfLj2EEiiiiiiS1_IjLj3EES5_S5_.num_named_barrier, 0
	.set _ZL33flash_attn_stream_k_fixup_uniformILi96ELi16ELi1EEvPfPK15HIP_vector_typeIfLj2EEiiiiiiS1_IjLj3EES5_S5_.private_seg_size, 0
	.set _ZL33flash_attn_stream_k_fixup_uniformILi96ELi16ELi1EEvPfPK15HIP_vector_typeIfLj2EEiiiiiiS1_IjLj3EES5_S5_.uses_vcc, 1
	.set _ZL33flash_attn_stream_k_fixup_uniformILi96ELi16ELi1EEvPfPK15HIP_vector_typeIfLj2EEiiiiiiS1_IjLj3EES5_S5_.uses_flat_scratch, 0
	.set _ZL33flash_attn_stream_k_fixup_uniformILi96ELi16ELi1EEvPfPK15HIP_vector_typeIfLj2EEiiiiiiS1_IjLj3EES5_S5_.has_dyn_sized_stack, 0
	.set _ZL33flash_attn_stream_k_fixup_uniformILi96ELi16ELi1EEvPfPK15HIP_vector_typeIfLj2EEiiiiiiS1_IjLj3EES5_S5_.has_recursion, 0
	.set _ZL33flash_attn_stream_k_fixup_uniformILi96ELi16ELi1EEvPfPK15HIP_vector_typeIfLj2EEiiiiiiS1_IjLj3EES5_S5_.has_indirect_call, 0
	.section	.AMDGPU.csdata,"",@progbits
; Kernel info:
; codeLenInByte = 816
; TotalNumSgprs: 26
; NumVgprs: 17
; NumAgprs: 0
; TotalNumVgprs: 17
; ScratchSize: 0
; MemoryBound: 0
; FloatMode: 240
; IeeeMode: 1
; LDSByteSize: 0 bytes/workgroup (compile time only)
; SGPRBlocks: 3
; VGPRBlocks: 2
; NumSGPRsForWavesPerEU: 26
; NumVGPRsForWavesPerEU: 17
; AccumOffset: 20
; Occupancy: 8
; WaveLimiterHint : 0
; COMPUTE_PGM_RSRC2:SCRATCH_EN: 0
; COMPUTE_PGM_RSRC2:USER_SGPR: 2
; COMPUTE_PGM_RSRC2:TRAP_HANDLER: 0
; COMPUTE_PGM_RSRC2:TGID_X_EN: 1
; COMPUTE_PGM_RSRC2:TGID_Y_EN: 1
; COMPUTE_PGM_RSRC2:TGID_Z_EN: 1
; COMPUTE_PGM_RSRC2:TIDIG_COMP_CNT: 0
; COMPUTE_PGM_RSRC3_GFX90A:ACCUM_OFFSET: 4
; COMPUTE_PGM_RSRC3_GFX90A:TG_SPLIT: 0
	.section	.text._ZL33flash_attn_stream_k_fixup_generalILi96ELi16ELi1EEvPfPK15HIP_vector_typeIfLj2EEiiiiS1_IjLj3EES5_S5_S5_,"axG",@progbits,_ZL33flash_attn_stream_k_fixup_generalILi96ELi16ELi1EEvPfPK15HIP_vector_typeIfLj2EEiiiiS1_IjLj3EES5_S5_S5_,comdat
	.globl	_ZL33flash_attn_stream_k_fixup_generalILi96ELi16ELi1EEvPfPK15HIP_vector_typeIfLj2EEiiiiS1_IjLj3EES5_S5_S5_ ; -- Begin function _ZL33flash_attn_stream_k_fixup_generalILi96ELi16ELi1EEvPfPK15HIP_vector_typeIfLj2EEiiiiS1_IjLj3EES5_S5_S5_
	.p2align	8
	.type	_ZL33flash_attn_stream_k_fixup_generalILi96ELi16ELi1EEvPfPK15HIP_vector_typeIfLj2EEiiiiS1_IjLj3EES5_S5_S5_,@function
_ZL33flash_attn_stream_k_fixup_generalILi96ELi16ELi1EEvPfPK15HIP_vector_typeIfLj2EEiiiiS1_IjLj3EES5_S5_S5_: ; @_ZL33flash_attn_stream_k_fixup_generalILi96ELi16ELi1EEvPfPK15HIP_vector_typeIfLj2EEiiiiS1_IjLj3EES5_S5_S5_
; %bb.0:
	s_load_dwordx4 s[8:11], s[0:1], 0x10
	s_load_dword s22, s[0:1], 0x50
	s_mov_b32 s12, 0
	s_waitcnt lgkmcnt(0)
	s_mul_hi_i32 s13, s11, s2
	s_cmp_lg_u64 s[12:13], 0
	s_mul_i32 s5, s11, s2
	s_cbranch_scc0 .LBB17_20
; %bb.1:
	s_add_u32 s6, s22, 0
	s_addc_u32 s7, 0, 0
	s_xor_b64 s[6:7], s[6:7], 0
	v_cvt_f32_u32_e32 v1, s6
	v_cvt_f32_u32_e32 v2, s7
	s_sub_u32 s12, 0, s6
	s_subb_u32 s18, 0, s7
	v_fmamk_f32 v1, v2, 0x4f800000, v1
	v_rcp_f32_e32 v1, v1
	s_nop 0
	v_mul_f32_e32 v1, 0x5f7ffffc, v1
	v_mul_f32_e32 v2, 0x2f800000, v1
	v_trunc_f32_e32 v2, v2
	v_fmamk_f32 v1, v2, 0xcf800000, v1
	v_cvt_u32_f32_e32 v2, v2
	v_cvt_u32_f32_e32 v1, v1
	v_readfirstlane_b32 s19, v2
	v_readfirstlane_b32 s14, v1
	s_mul_i32 s15, s12, s19
	s_mul_hi_u32 s21, s12, s14
	s_mul_i32 s20, s18, s14
	s_add_i32 s15, s21, s15
	s_add_i32 s15, s15, s20
	s_mul_i32 s23, s12, s14
	s_mul_i32 s21, s14, s15
	s_mul_hi_u32 s24, s14, s23
	s_mul_hi_u32 s20, s14, s15
	s_add_u32 s21, s24, s21
	s_addc_u32 s20, 0, s20
	s_mul_hi_u32 s25, s19, s23
	s_mul_i32 s23, s19, s23
	s_add_u32 s21, s21, s23
	s_mul_hi_u32 s24, s19, s15
	s_addc_u32 s20, s20, s25
	s_addc_u32 s21, s24, 0
	s_mul_i32 s15, s19, s15
	s_add_u32 s15, s20, s15
	s_addc_u32 s20, 0, s21
	s_add_u32 s21, s14, s15
	s_cselect_b64 s[14:15], -1, 0
	s_cmp_lg_u64 s[14:15], 0
	s_addc_u32 s19, s19, s20
	s_mul_i32 s14, s12, s19
	s_mul_hi_u32 s15, s12, s21
	s_add_i32 s14, s15, s14
	s_mul_i32 s18, s18, s21
	s_add_i32 s14, s14, s18
	s_mul_i32 s12, s12, s21
	s_mul_hi_u32 s18, s19, s12
	s_mul_i32 s20, s19, s12
	s_mul_i32 s24, s21, s14
	s_mul_hi_u32 s12, s21, s12
	s_mul_hi_u32 s23, s21, s14
	s_add_u32 s12, s12, s24
	s_addc_u32 s23, 0, s23
	s_add_u32 s12, s12, s20
	s_mul_hi_u32 s15, s19, s14
	s_addc_u32 s12, s23, s18
	s_addc_u32 s15, s15, 0
	s_mul_i32 s14, s19, s14
	s_add_u32 s12, s12, s14
	s_addc_u32 s18, 0, s15
	s_add_u32 s20, s21, s12
	s_cselect_b64 s[14:15], -1, 0
	s_cmp_lg_u64 s[14:15], 0
	s_addc_u32 s18, s19, s18
	s_ashr_i32 s14, s13, 31
	s_add_u32 s12, s5, s14
	s_mov_b32 s15, s14
	s_addc_u32 s13, s13, s14
	s_xor_b64 s[12:13], s[12:13], s[14:15]
	s_mul_i32 s21, s12, s18
	s_mul_hi_u32 s23, s12, s20
	s_mul_hi_u32 s19, s12, s18
	s_add_u32 s21, s23, s21
	s_addc_u32 s19, 0, s19
	s_mul_hi_u32 s24, s13, s20
	s_mul_i32 s20, s13, s20
	s_add_u32 s20, s21, s20
	s_mul_hi_u32 s23, s13, s18
	s_addc_u32 s19, s19, s24
	s_addc_u32 s20, s23, 0
	s_mul_i32 s18, s13, s18
	s_add_u32 s23, s19, s18
	s_addc_u32 s24, 0, s20
	s_mul_i32 s18, s6, s24
	s_mul_hi_u32 s19, s6, s23
	s_add_i32 s18, s19, s18
	s_mul_i32 s19, s7, s23
	s_add_i32 s25, s18, s19
	s_sub_i32 s20, s13, s25
	s_mul_i32 s18, s6, s23
	s_sub_u32 s12, s12, s18
	s_cselect_b64 s[18:19], -1, 0
	s_cmp_lg_u64 s[18:19], 0
	s_subb_u32 s26, s20, s7
	s_sub_u32 s27, s12, s6
	s_cselect_b64 s[20:21], -1, 0
	s_cmp_lg_u64 s[20:21], 0
	s_subb_u32 s20, s26, 0
	s_cmp_ge_u32 s20, s7
	s_cselect_b32 s21, -1, 0
	s_cmp_ge_u32 s27, s6
	s_cselect_b32 s26, -1, 0
	s_cmp_eq_u32 s20, s7
	s_cselect_b32 s20, s26, s21
	s_add_u32 s21, s23, 1
	s_addc_u32 s26, s24, 0
	s_add_u32 s27, s23, 2
	s_addc_u32 s28, s24, 0
	s_cmp_lg_u32 s20, 0
	s_cselect_b32 s20, s27, s21
	s_cselect_b32 s21, s28, s26
	s_cmp_lg_u64 s[18:19], 0
	s_subb_u32 s13, s13, s25
	s_cmp_ge_u32 s13, s7
	s_cselect_b32 s18, -1, 0
	s_cmp_ge_u32 s12, s6
	s_cselect_b32 s6, -1, 0
	s_cmp_eq_u32 s13, s7
	s_cselect_b32 s6, s6, s18
	s_cmp_lg_u32 s6, 0
	s_cselect_b32 s7, s21, s24
	s_cselect_b32 s6, s20, s23
	s_xor_b64 s[12:13], s[14:15], 0
	s_xor_b64 s[6:7], s[6:7], s[12:13]
	s_sub_u32 s6, s6, s12
	s_load_dwordx4 s[12:15], s[0:1], 0x44
	s_cbranch_execnz .LBB17_3
.LBB17_2:
	v_cvt_f32_u32_e32 v1, s22
	s_sub_i32 s6, 0, s22
	v_rcp_iflag_f32_e32 v1, v1
	s_nop 0
	v_mul_f32_e32 v1, 0x4f7ffffe, v1
	v_cvt_u32_f32_e32 v1, v1
	s_nop 0
	v_readfirstlane_b32 s7, v1
	s_mul_i32 s6, s6, s7
	s_mul_hi_u32 s6, s7, s6
	s_add_i32 s7, s7, s6
	s_mul_hi_u32 s6, s5, s7
	s_waitcnt lgkmcnt(0)
	s_mul_i32 s15, s6, s22
	s_sub_i32 s5, s5, s15
	s_add_i32 s7, s6, 1
	s_sub_i32 s15, s5, s22
	s_cmp_ge_u32 s5, s22
	s_cselect_b32 s6, s7, s6
	s_cselect_b32 s5, s15, s5
	s_add_i32 s7, s6, 1
	s_cmp_ge_u32 s5, s22
	s_cselect_b32 s6, s7, s6
.LBB17_3:
	s_add_i32 s5, s2, 1
	s_mul_hi_i32 s21, s11, s5
	s_mov_b32 s20, 0
	s_cmp_lg_u64 s[20:21], 0
	s_mul_i32 s5, s11, s5
	s_cbranch_scc0 .LBB17_21
; %bb.4:
	s_add_u32 s16, s22, 0
	s_addc_u32 s17, 0, 0
	s_xor_b64 s[18:19], s[16:17], 0
	v_cvt_f32_u32_e32 v1, s18
	v_cvt_f32_u32_e32 v2, s19
	s_sub_u32 s7, 0, s18
	s_waitcnt lgkmcnt(0)
	s_subb_u32 s15, 0, s19
	v_fmamk_f32 v1, v2, 0x4f800000, v1
	v_rcp_f32_e32 v1, v1
	s_nop 0
	v_mul_f32_e32 v1, 0x5f7ffffc, v1
	v_mul_f32_e32 v2, 0x2f800000, v1
	v_trunc_f32_e32 v2, v2
	v_fmamk_f32 v1, v2, 0xcf800000, v1
	v_cvt_u32_f32_e32 v2, v2
	v_cvt_u32_f32_e32 v1, v1
	v_readfirstlane_b32 s20, v2
	v_readfirstlane_b32 s23, v1
	s_mul_i32 s24, s7, s20
	s_mul_hi_u32 s26, s7, s23
	s_mul_i32 s25, s15, s23
	s_add_i32 s24, s26, s24
	s_add_i32 s24, s24, s25
	s_mul_i32 s27, s7, s23
	s_mul_i32 s26, s23, s24
	s_mul_hi_u32 s28, s23, s27
	s_mul_hi_u32 s25, s23, s24
	s_add_u32 s26, s28, s26
	s_addc_u32 s25, 0, s25
	s_mul_hi_u32 s29, s20, s27
	s_mul_i32 s27, s20, s27
	s_add_u32 s26, s26, s27
	s_mul_hi_u32 s28, s20, s24
	s_addc_u32 s25, s25, s29
	s_addc_u32 s26, s28, 0
	s_mul_i32 s24, s20, s24
	s_add_u32 s24, s25, s24
	s_addc_u32 s26, 0, s26
	s_add_u32 s23, s23, s24
	s_cselect_b64 s[24:25], -1, 0
	s_cmp_lg_u64 s[24:25], 0
	s_addc_u32 s20, s20, s26
	s_mul_i32 s24, s7, s20
	s_mul_hi_u32 s25, s7, s23
	s_add_i32 s24, s25, s24
	s_mul_i32 s15, s15, s23
	s_add_i32 s24, s24, s15
	s_mul_i32 s7, s7, s23
	s_mul_hi_u32 s25, s20, s7
	s_mul_i32 s26, s20, s7
	s_mul_i32 s28, s23, s24
	s_mul_hi_u32 s7, s23, s7
	s_mul_hi_u32 s27, s23, s24
	s_add_u32 s7, s7, s28
	s_addc_u32 s27, 0, s27
	s_add_u32 s7, s7, s26
	s_mul_hi_u32 s15, s20, s24
	s_addc_u32 s7, s27, s25
	s_addc_u32 s15, s15, 0
	s_mul_i32 s24, s20, s24
	s_add_u32 s7, s7, s24
	s_addc_u32 s15, 0, s15
	s_add_u32 s7, s23, s7
	s_cselect_b64 s[24:25], -1, 0
	s_cmp_lg_u64 s[24:25], 0
	s_addc_u32 s15, s20, s15
	s_ashr_i32 s24, s21, 31
	s_add_u32 s20, s5, s24
	s_mov_b32 s25, s24
	s_addc_u32 s21, s21, s24
	s_xor_b64 s[20:21], s[20:21], s[24:25]
	s_mul_i32 s26, s20, s15
	s_mul_hi_u32 s27, s20, s7
	s_mul_hi_u32 s23, s20, s15
	s_add_u32 s26, s27, s26
	s_addc_u32 s23, 0, s23
	s_mul_hi_u32 s28, s21, s7
	s_mul_i32 s7, s21, s7
	s_add_u32 s7, s26, s7
	s_mul_hi_u32 s27, s21, s15
	s_addc_u32 s7, s23, s28
	s_addc_u32 s23, s27, 0
	s_mul_i32 s15, s21, s15
	s_add_u32 s7, s7, s15
	s_addc_u32 s15, 0, s23
	s_mul_i32 s23, s18, s15
	s_mul_hi_u32 s26, s18, s7
	s_add_i32 s23, s26, s23
	s_mul_i32 s26, s19, s7
	s_add_i32 s23, s23, s26
	s_sub_i32 s28, s21, s23
	s_mul_i32 s26, s18, s7
	s_sub_u32 s20, s20, s26
	s_cselect_b64 s[26:27], -1, 0
	s_cmp_lg_u64 s[26:27], 0
	s_subb_u32 s30, s28, s19
	s_sub_u32 s31, s20, s18
	s_cselect_b64 s[28:29], -1, 0
	s_cmp_lg_u64 s[28:29], 0
	s_subb_u32 s28, s30, 0
	s_cmp_ge_u32 s28, s19
	s_cselect_b32 s29, -1, 0
	s_cmp_ge_u32 s31, s18
	s_cselect_b32 s30, -1, 0
	s_cmp_eq_u32 s28, s19
	s_cselect_b32 s28, s30, s29
	s_add_u32 s29, s7, 1
	s_addc_u32 s30, s15, 0
	s_add_u32 s31, s7, 2
	s_addc_u32 s33, s15, 0
	s_cmp_lg_u32 s28, 0
	s_cselect_b32 s28, s31, s29
	s_cselect_b32 s29, s33, s30
	s_cmp_lg_u64 s[26:27], 0
	s_subb_u32 s21, s21, s23
	s_cmp_ge_u32 s21, s19
	s_cselect_b32 s23, -1, 0
	s_cmp_ge_u32 s20, s18
	s_cselect_b32 s18, -1, 0
	s_cmp_eq_u32 s21, s19
	s_cselect_b32 s18, s18, s23
	s_cmp_lg_u32 s18, 0
	s_cselect_b32 s19, s29, s15
	s_cselect_b32 s18, s28, s7
	s_xor_b64 s[20:21], s[24:25], 0
	s_xor_b64 s[18:19], s[18:19], s[20:21]
	s_sub_u32 s18, s18, s20
	s_cbranch_execnz .LBB17_6
.LBB17_5:
	v_cvt_f32_u32_e32 v1, s22
	s_sub_i32 s7, 0, s22
	v_rcp_iflag_f32_e32 v1, v1
	s_nop 0
	v_mul_f32_e32 v1, 0x4f7ffffe, v1
	v_cvt_u32_f32_e32 v1, v1
	s_waitcnt lgkmcnt(0)
	v_readfirstlane_b32 s15, v1
	s_mul_i32 s7, s7, s15
	s_mul_hi_u32 s7, s15, s7
	s_add_i32 s15, s15, s7
	s_mul_hi_u32 s7, s5, s15
	s_mul_i32 s16, s7, s22
	s_sub_i32 s5, s5, s16
	s_add_i32 s15, s7, 1
	s_sub_i32 s16, s5, s22
	s_cmp_ge_u32 s5, s22
	s_cselect_b32 s7, s15, s7
	s_cselect_b32 s5, s16, s5
	s_add_i32 s15, s7, 1
	s_cmp_ge_u32 s5, s22
	s_cselect_b32 s18, s15, s7
.LBB17_6:
	s_cmp_eq_u32 s6, s18
	s_waitcnt lgkmcnt(0)
	s_mul_hi_u32 s5, s6, s12
	s_cselect_b64 s[16:17], -1, 0
	s_add_i32 s5, s5, s6
	s_lshr_b32 s7, s5, s13
	s_mul_i32 s5, s7, s14
	s_cmp_eq_u32 s5, s6
	s_mul_hi_u32 s5, s18, s12
	s_cselect_b64 s[20:21], -1, 0
	s_add_i32 s5, s5, s18
	s_lshr_b32 s5, s5, s13
	s_cmp_eq_u32 s7, s5
	s_mul_i32 s5, s5, s14
	s_cselect_b64 s[24:25], -1, 0
	s_cmp_lg_u32 s5, s18
	s_cselect_b64 s[18:19], -1, 0
	s_and_b64 s[18:19], s[24:25], s[18:19]
	s_or_b64 s[16:17], s[16:17], s[20:21]
	s_or_b64 s[16:17], s[16:17], s[18:19]
	s_and_b64 vcc, exec, s[16:17]
	s_cbranch_vccnz .LBB17_23
; %bb.7:
	s_load_dwordx8 s[24:31], s[0:1], 0x20
	s_load_dword s5, s[0:1], 0x40
	s_waitcnt lgkmcnt(0)
	s_mul_hi_u32 s15, s6, s24
	s_add_i32 s15, s15, s6
	s_lshr_b32 s20, s15, s25
	s_mul_i32 s15, s20, s26
	s_sub_i32 s15, s6, s15
	s_mul_hi_u32 s16, s15, s27
	s_add_i32 s16, s15, s16
	s_lshr_b32 s21, s16, s28
	s_mul_i32 s16, s21, s29
	s_sub_i32 s15, s15, s16
	;; [unrolled: 5-line block ×3, first 2 shown]
	s_mul_hi_u32 s15, s5, s12
	s_add_i32 s5, s5, s15
	s_lshr_b32 s23, s5, s13
	s_lshl_b32 s5, s23, 4
	s_add_i32 s5, s5, s3
	s_cmp_lt_i32 s5, s8
	s_cselect_b64 s[16:17], -1, 0
	s_add_i32 s24, s24, s4
	s_cmp_lt_i32 s24, s10
	s_cselect_b64 s[18:19], -1, 0
	s_and_b64 s[16:17], s[16:17], s[18:19]
	s_andn2_b64 vcc, exec, s[16:17]
	s_cbranch_vccnz .LBB17_23
; %bb.8:
	s_load_dwordx4 s[16:19], s[0:1], 0x0
	s_mov_b32 s0, 0
	s_add_i32 s15, s3, s4
	s_lshl_b32 s4, s22, 6
	s_mov_b32 s5, s0
	s_lshl_b64 s[4:5], s[4:5], 2
	s_waitcnt lgkmcnt(0)
	s_add_u32 s4, s18, s4
	s_mul_i32 s1, s20, s8
	s_addc_u32 s5, s19, s5
	s_mul_i32 s21, s21, s10
	s_add_i32 s1, s1, s3
	s_mul_i32 s1, s1, s9
	s_add_i32 s3, s24, s21
	;; [unrolled: 2-line block ×3, first 2 shown]
	s_mulk_i32 s8, 0x600
	s_mulk_i32 s1, 0x60
	s_add_i32 s8, s8, s1
	v_add_u32_e32 v4, s8, v0
	v_mov_b32_e32 v2, s16
	v_mov_b32_e32 v3, s17
	v_ashrrev_i32_e32 v5, 31, v4
	v_lshl_add_u64 v[2:3], v[4:5], 2, v[2:3]
	global_load_dword v1, v[2:3], off
	v_cvt_f32_u32_e32 v4, s22
	s_lshl_b32 s1, s2, 4
	s_add_i32 s8, s1, s15
	s_ashr_i32 s9, s8, 31
	s_lshl_b64 s[8:9], s[8:9], 3
	v_rcp_iflag_f32_e32 v4, v4
	s_add_u32 s8, s18, s8
	s_addc_u32 s9, s19, s9
	s_load_dwordx2 s[8:9], s[8:9], 0x0
	v_mul_f32_e32 v4, 0x4f7ffffe, v4
	v_cvt_u32_f32_e32 v7, v4
	s_mul_i32 s1, s15, 0x60
	s_add_i32 s21, s2, -1
	v_add_u32_e32 v6, s1, v0
	s_waitcnt lgkmcnt(0)
	v_mov_b32_e32 v0, s9
	v_mov_b32_e32 v9, s8
	s_mov_b32 s10, 0x3fb8aa3b
	s_mov_b32 s20, 0xc2ce8ed0
	;; [unrolled: 1-line block ×4, first 2 shown]
	v_mov_b32_e32 v8, 0x7f800000
	s_mul_hi_i32 s1, s21, s11
	s_cmp_lg_u64 s[0:1], 0
	s_mul_i32 s16, s21, s11
	s_cbranch_scc0 .LBB17_19
.LBB17_9:
	s_add_u32 s2, s22, 0
	s_addc_u32 s3, 0, 0
	s_xor_b64 s[2:3], s[2:3], 0
	v_cvt_f32_u32_e32 v4, s2
	v_cvt_f32_u32_e32 v5, s3
	s_sub_u32 s17, 0, s2
	s_subb_u32 s25, 0, s3
	v_fmac_f32_e32 v4, 0x4f800000, v5
	v_rcp_f32_e32 v4, v4
	s_nop 0
	v_mul_f32_e32 v4, 0x5f7ffffc, v4
	v_mul_f32_e32 v5, 0x2f800000, v4
	v_trunc_f32_e32 v5, v5
	v_fmac_f32_e32 v4, 0xcf800000, v5
	v_cvt_u32_f32_e32 v5, v5
	v_cvt_u32_f32_e32 v4, v4
	v_readfirstlane_b32 s26, v5
	v_readfirstlane_b32 s8, v4
	s_mul_i32 s9, s17, s26
	s_mul_hi_u32 s28, s17, s8
	s_mul_i32 s27, s25, s8
	s_add_i32 s9, s28, s9
	s_mul_i32 s29, s17, s8
	s_add_i32 s9, s9, s27
	s_mul_i32 s28, s8, s9
	s_mul_hi_u32 s30, s8, s29
	s_mul_hi_u32 s27, s8, s9
	s_add_u32 s28, s30, s28
	s_addc_u32 s27, 0, s27
	s_mul_hi_u32 s31, s26, s29
	s_mul_i32 s29, s26, s29
	s_add_u32 s28, s28, s29
	s_mul_hi_u32 s30, s26, s9
	s_addc_u32 s27, s27, s31
	s_addc_u32 s28, s30, 0
	s_mul_i32 s9, s26, s9
	s_add_u32 s9, s27, s9
	s_addc_u32 s27, 0, s28
	s_add_u32 s28, s8, s9
	s_cselect_b64 s[8:9], -1, 0
	s_cmp_lg_u64 s[8:9], 0
	s_addc_u32 s26, s26, s27
	s_mul_i32 s8, s17, s26
	s_mul_hi_u32 s9, s17, s28
	s_add_i32 s8, s9, s8
	s_mul_i32 s25, s25, s28
	s_add_i32 s8, s8, s25
	s_mul_i32 s17, s17, s28
	s_mul_hi_u32 s25, s26, s17
	s_mul_i32 s27, s26, s17
	s_mul_i32 s30, s28, s8
	s_mul_hi_u32 s17, s28, s17
	s_mul_hi_u32 s29, s28, s8
	s_add_u32 s17, s17, s30
	s_addc_u32 s29, 0, s29
	s_add_u32 s17, s17, s27
	s_mul_hi_u32 s9, s26, s8
	s_addc_u32 s17, s29, s25
	s_addc_u32 s9, s9, 0
	s_mul_i32 s8, s26, s8
	s_add_u32 s8, s17, s8
	s_addc_u32 s17, 0, s9
	s_add_u32 s25, s28, s8
	s_cselect_b64 s[8:9], -1, 0
	s_cmp_lg_u64 s[8:9], 0
	s_addc_u32 s17, s26, s17
	s_ashr_i32 s8, s1, 31
	s_add_u32 s26, s16, s8
	s_mov_b32 s9, s8
	s_addc_u32 s27, s1, s8
	s_xor_b64 s[26:27], s[26:27], s[8:9]
	s_mul_i32 s28, s26, s17
	s_mul_hi_u32 s29, s26, s25
	s_mul_hi_u32 s1, s26, s17
	s_add_u32 s28, s29, s28
	s_addc_u32 s1, 0, s1
	s_mul_hi_u32 s30, s27, s25
	s_mul_i32 s25, s27, s25
	s_add_u32 s25, s28, s25
	s_mul_hi_u32 s29, s27, s17
	s_addc_u32 s1, s1, s30
	s_addc_u32 s25, s29, 0
	s_mul_i32 s17, s27, s17
	s_add_u32 s1, s1, s17
	s_addc_u32 s17, 0, s25
	s_mul_i32 s25, s2, s17
	s_mul_hi_u32 s28, s2, s1
	s_add_i32 s25, s28, s25
	s_mul_i32 s28, s3, s1
	s_add_i32 s25, s25, s28
	s_sub_i32 s30, s27, s25
	s_mul_i32 s28, s2, s1
	s_sub_u32 s26, s26, s28
	s_cselect_b64 s[28:29], -1, 0
	s_cmp_lg_u64 s[28:29], 0
	s_subb_u32 s33, s30, s3
	s_sub_u32 s34, s26, s2
	s_cselect_b64 s[30:31], -1, 0
	s_cmp_lg_u64 s[30:31], 0
	s_subb_u32 s30, s33, 0
	s_cmp_ge_u32 s30, s3
	s_cselect_b32 s31, -1, 0
	s_cmp_ge_u32 s34, s2
	s_cselect_b32 s33, -1, 0
	s_cmp_eq_u32 s30, s3
	s_cselect_b32 s30, s33, s31
	s_add_u32 s31, s1, 1
	s_addc_u32 s33, s17, 0
	s_add_u32 s34, s1, 2
	s_addc_u32 s35, s17, 0
	s_cmp_lg_u32 s30, 0
	s_cselect_b32 s30, s34, s31
	s_cselect_b32 s31, s35, s33
	s_cmp_lg_u64 s[28:29], 0
	s_subb_u32 s25, s27, s25
	s_cmp_ge_u32 s25, s3
	s_cselect_b32 s27, -1, 0
	s_cmp_ge_u32 s26, s2
	s_cselect_b32 s2, -1, 0
	s_cmp_eq_u32 s25, s3
	s_cselect_b32 s2, s2, s27
	s_cmp_lg_u32 s2, 0
	s_cselect_b32 s3, s31, s17
	s_cselect_b32 s2, s30, s1
	s_xor_b64 s[8:9], s[8:9], 0
	s_xor_b64 s[2:3], s[2:3], s[8:9]
	s_sub_u32 s8, s2, s8
	s_cbranch_execnz .LBB17_11
.LBB17_10:
	s_sub_i32 s1, 0, s22
	v_readfirstlane_b32 s2, v7
	s_mul_i32 s1, s1, s2
	s_mul_hi_u32 s1, s2, s1
	s_add_i32 s2, s2, s1
	s_mul_hi_u32 s1, s16, s2
	s_mul_i32 s3, s1, s22
	s_sub_i32 s3, s16, s3
	s_add_i32 s2, s1, 1
	s_sub_i32 s8, s3, s22
	s_cmp_ge_u32 s3, s22
	s_cselect_b32 s1, s2, s1
	s_cselect_b32 s3, s8, s3
	s_add_i32 s2, s1, 1
	s_cmp_ge_u32 s3, s22
	s_cselect_b32 s8, s2, s1
.LBB17_11:
	s_cmp_lg_u32 s6, s8
	s_cbranch_scc0 .LBB17_15
; %bb.12:
	s_add_i32 s1, s21, s22
	s_lshl_b32 s1, s1, 4
	s_add_i32 s2, s1, s15
	s_mov_b32 s3, s0
	s_lshl_b64 s[2:3], s[2:3], 3
	s_add_u32 s16, s18, s2
	s_mul_hi_u32 s1, s8, s12
	s_addc_u32 s17, s19, s3
	s_add_i32 s1, s1, s8
	s_lshr_b32 s1, s1, s13
	s_mul_i32 s2, s1, s14
	s_cmp_eq_u32 s2, s8
	s_cselect_b64 s[2:3], -1, 0
	s_cmp_lt_u32 s1, s7
	s_cselect_b64 s[26:27], -1, 0
	s_or_b64 s[26:27], s[26:27], s[2:3]
	s_mov_b64 s[2:3], -1
	s_and_b64 vcc, exec, s[26:27]
	s_mov_b32 s1, s21
	s_mov_b32 s25, s6
	s_cbranch_vccnz .LBB17_14
; %bb.13:
	s_add_i32 s1, s21, -1
	s_mov_b64 s[2:3], 0
	s_mov_b32 s25, s8
.LBB17_14:
	s_mul_i32 s8, s21, 0x600
	v_add_u32_e32 v4, s8, v6
	v_ashrrev_i32_e32 v5, 31, v4
	v_lshl_add_u64 v[4:5], v[4:5], 2, s[4:5]
	global_load_dword v5, v[4:5], off
	s_load_dwordx2 s[8:9], s[16:17], 0x0
	v_max_f32_e32 v4, v9, v9
	s_waitcnt lgkmcnt(0)
	v_max_f32_e64 v10, s8, s8
	v_max_f32_e32 v10, v4, v10
	v_sub_f32_e32 v11, v9, v10
	v_sub_f32_e32 v13, s8, v10
	v_mul_f32_e32 v4, 0x3fb8aa3b, v11
	v_mul_f32_e32 v12, 0x3fb8aa3b, v13
	v_fma_f32 v14, v11, s10, -v4
	v_rndne_f32_e32 v15, v4
	v_fma_f32 v16, v13, s10, -v12
	v_rndne_f32_e32 v17, v12
	v_fmac_f32_e32 v14, 0x32a5705f, v11
	v_sub_f32_e32 v4, v4, v15
	v_fmac_f32_e32 v16, 0x32a5705f, v13
	v_sub_f32_e32 v12, v12, v17
	v_add_f32_e32 v4, v4, v14
	v_cvt_i32_f32_e32 v15, v15
	v_add_f32_e32 v12, v12, v16
	v_exp_f32_e32 v14, v4
	v_cvt_i32_f32_e32 v17, v17
	v_exp_f32_e32 v12, v12
	v_cmp_ngt_f32_e32 vcc, s20, v11
	v_ldexp_f32 v14, v14, v15
	v_mov_b32_e32 v4, s9
	v_ldexp_f32 v12, v12, v17
	v_cndmask_b32_e32 v14, 0, v14, vcc
	v_cmp_ngt_f32_e32 vcc, s20, v13
	s_nop 1
	v_cndmask_b32_e32 v12, 0, v12, vcc
	v_cmp_nlt_f32_e32 vcc, s23, v11
	s_nop 1
	v_cndmask_b32_e32 v14, v8, v14, vcc
	v_cmp_nlt_f32_e32 vcc, s23, v13
	s_nop 1
	v_cndmask_b32_e32 v15, v8, v12, vcc
	v_cmp_le_f32_e32 vcc, s24, v11
	s_nop 1
	v_cndmask_b32_e32 v12, 0, v14, vcc
	v_cmp_le_f32_e32 vcc, s24, v13
	s_nop 1
	v_cndmask_b32_e32 v14, 0, v15, vcc
	s_waitcnt vmcnt(0)
	v_pk_mul_f32 v[4:5], v[4:5], v[14:15] op_sel_hi:[1,0]
	s_nop 0
	v_pk_fma_f32 v[4:5], v[0:1], v[12:13], v[4:5] op_sel_hi:[1,0,1]
	s_cbranch_execz .LBB17_16
	s_branch .LBB17_17
.LBB17_15:
                                        ; implicit-def: $vgpr4_vgpr5
                                        ; implicit-def: $sgpr2_sgpr3
                                        ; implicit-def: $vgpr10
                                        ; implicit-def: $sgpr1
                                        ; implicit-def: $sgpr25
.LBB17_16:
	s_add_i32 s1, s21, -1
	s_mov_b64 s[2:3], 0
	s_mov_b32 s25, s6
	v_mov_b32_e32 v10, v9
	s_waitcnt vmcnt(0)
	v_mov_b64_e32 v[4:5], v[0:1]
.LBB17_17:
	s_andn2_b64 vcc, exec, s[2:3]
	s_cbranch_vccz .LBB17_22
; %bb.18:
	s_mov_b32 s6, s25
	s_mov_b32 s21, s1
	v_mov_b32_e32 v9, v10
	s_waitcnt vmcnt(0)
	v_mov_b64_e32 v[0:1], v[4:5]
	s_mul_hi_i32 s1, s21, s11
	s_cmp_lg_u64 s[0:1], 0
	s_mul_i32 s16, s21, s11
	s_cbranch_scc1 .LBB17_9
.LBB17_19:
                                        ; implicit-def: $sgpr8_sgpr9
	s_branch .LBB17_10
.LBB17_20:
                                        ; implicit-def: $sgpr6_sgpr7
	s_load_dwordx4 s[12:15], s[0:1], 0x44
	s_branch .LBB17_2
.LBB17_21:
                                        ; implicit-def: $sgpr18_sgpr19
	s_branch .LBB17_5
.LBB17_22:
	v_div_scale_f32 v0, s[0:1], v4, v4, v5
	s_waitcnt vmcnt(0)
	v_rcp_f32_e32 v1, v0
	v_div_scale_f32 v6, vcc, v5, v4, v5
	v_fma_f32 v7, -v0, v1, 1.0
	v_fmac_f32_e32 v1, v7, v1
	v_mul_f32_e32 v7, v6, v1
	v_fma_f32 v8, -v0, v7, v6
	v_fmac_f32_e32 v7, v8, v1
	v_fma_f32 v0, -v0, v7, v6
	v_div_fmas_f32 v0, v0, v1, v7
	v_div_fixup_f32 v0, v0, v4, v5
	global_store_dword v[2:3], v0, off
.LBB17_23:
	s_endpgm
	.section	.rodata,"a",@progbits
	.p2align	6, 0x0
	.amdhsa_kernel _ZL33flash_attn_stream_k_fixup_generalILi96ELi16ELi1EEvPfPK15HIP_vector_typeIfLj2EEiiiiS1_IjLj3EES5_S5_S5_
		.amdhsa_group_segment_fixed_size 0
		.amdhsa_private_segment_fixed_size 0
		.amdhsa_kernarg_size 336
		.amdhsa_user_sgpr_count 2
		.amdhsa_user_sgpr_dispatch_ptr 0
		.amdhsa_user_sgpr_queue_ptr 0
		.amdhsa_user_sgpr_kernarg_segment_ptr 1
		.amdhsa_user_sgpr_dispatch_id 0
		.amdhsa_user_sgpr_kernarg_preload_length 0
		.amdhsa_user_sgpr_kernarg_preload_offset 0
		.amdhsa_user_sgpr_private_segment_size 0
		.amdhsa_uses_dynamic_stack 0
		.amdhsa_enable_private_segment 0
		.amdhsa_system_sgpr_workgroup_id_x 1
		.amdhsa_system_sgpr_workgroup_id_y 1
		.amdhsa_system_sgpr_workgroup_id_z 1
		.amdhsa_system_sgpr_workgroup_info 0
		.amdhsa_system_vgpr_workitem_id 0
		.amdhsa_next_free_vgpr 18
		.amdhsa_next_free_sgpr 36
		.amdhsa_accum_offset 20
		.amdhsa_reserve_vcc 1
		.amdhsa_float_round_mode_32 0
		.amdhsa_float_round_mode_16_64 0
		.amdhsa_float_denorm_mode_32 3
		.amdhsa_float_denorm_mode_16_64 3
		.amdhsa_dx10_clamp 1
		.amdhsa_ieee_mode 1
		.amdhsa_fp16_overflow 0
		.amdhsa_tg_split 0
		.amdhsa_exception_fp_ieee_invalid_op 0
		.amdhsa_exception_fp_denorm_src 0
		.amdhsa_exception_fp_ieee_div_zero 0
		.amdhsa_exception_fp_ieee_overflow 0
		.amdhsa_exception_fp_ieee_underflow 0
		.amdhsa_exception_fp_ieee_inexact 0
		.amdhsa_exception_int_div_zero 0
	.end_amdhsa_kernel
	.section	.text._ZL33flash_attn_stream_k_fixup_generalILi96ELi16ELi1EEvPfPK15HIP_vector_typeIfLj2EEiiiiS1_IjLj3EES5_S5_S5_,"axG",@progbits,_ZL33flash_attn_stream_k_fixup_generalILi96ELi16ELi1EEvPfPK15HIP_vector_typeIfLj2EEiiiiS1_IjLj3EES5_S5_S5_,comdat
.Lfunc_end17:
	.size	_ZL33flash_attn_stream_k_fixup_generalILi96ELi16ELi1EEvPfPK15HIP_vector_typeIfLj2EEiiiiS1_IjLj3EES5_S5_S5_, .Lfunc_end17-_ZL33flash_attn_stream_k_fixup_generalILi96ELi16ELi1EEvPfPK15HIP_vector_typeIfLj2EEiiiiS1_IjLj3EES5_S5_S5_
                                        ; -- End function
	.set _ZL33flash_attn_stream_k_fixup_generalILi96ELi16ELi1EEvPfPK15HIP_vector_typeIfLj2EEiiiiS1_IjLj3EES5_S5_S5_.num_vgpr, 18
	.set _ZL33flash_attn_stream_k_fixup_generalILi96ELi16ELi1EEvPfPK15HIP_vector_typeIfLj2EEiiiiS1_IjLj3EES5_S5_S5_.num_agpr, 0
	.set _ZL33flash_attn_stream_k_fixup_generalILi96ELi16ELi1EEvPfPK15HIP_vector_typeIfLj2EEiiiiS1_IjLj3EES5_S5_S5_.numbered_sgpr, 36
	.set _ZL33flash_attn_stream_k_fixup_generalILi96ELi16ELi1EEvPfPK15HIP_vector_typeIfLj2EEiiiiS1_IjLj3EES5_S5_S5_.num_named_barrier, 0
	.set _ZL33flash_attn_stream_k_fixup_generalILi96ELi16ELi1EEvPfPK15HIP_vector_typeIfLj2EEiiiiS1_IjLj3EES5_S5_S5_.private_seg_size, 0
	.set _ZL33flash_attn_stream_k_fixup_generalILi96ELi16ELi1EEvPfPK15HIP_vector_typeIfLj2EEiiiiS1_IjLj3EES5_S5_S5_.uses_vcc, 1
	.set _ZL33flash_attn_stream_k_fixup_generalILi96ELi16ELi1EEvPfPK15HIP_vector_typeIfLj2EEiiiiS1_IjLj3EES5_S5_S5_.uses_flat_scratch, 0
	.set _ZL33flash_attn_stream_k_fixup_generalILi96ELi16ELi1EEvPfPK15HIP_vector_typeIfLj2EEiiiiS1_IjLj3EES5_S5_S5_.has_dyn_sized_stack, 0
	.set _ZL33flash_attn_stream_k_fixup_generalILi96ELi16ELi1EEvPfPK15HIP_vector_typeIfLj2EEiiiiS1_IjLj3EES5_S5_S5_.has_recursion, 0
	.set _ZL33flash_attn_stream_k_fixup_generalILi96ELi16ELi1EEvPfPK15HIP_vector_typeIfLj2EEiiiiS1_IjLj3EES5_S5_S5_.has_indirect_call, 0
	.section	.AMDGPU.csdata,"",@progbits
; Kernel info:
; codeLenInByte = 2936
; TotalNumSgprs: 42
; NumVgprs: 18
; NumAgprs: 0
; TotalNumVgprs: 18
; ScratchSize: 0
; MemoryBound: 0
; FloatMode: 240
; IeeeMode: 1
; LDSByteSize: 0 bytes/workgroup (compile time only)
; SGPRBlocks: 5
; VGPRBlocks: 2
; NumSGPRsForWavesPerEU: 42
; NumVGPRsForWavesPerEU: 18
; AccumOffset: 20
; Occupancy: 8
; WaveLimiterHint : 0
; COMPUTE_PGM_RSRC2:SCRATCH_EN: 0
; COMPUTE_PGM_RSRC2:USER_SGPR: 2
; COMPUTE_PGM_RSRC2:TRAP_HANDLER: 0
; COMPUTE_PGM_RSRC2:TGID_X_EN: 1
; COMPUTE_PGM_RSRC2:TGID_Y_EN: 1
; COMPUTE_PGM_RSRC2:TGID_Z_EN: 1
; COMPUTE_PGM_RSRC2:TIDIG_COMP_CNT: 0
; COMPUTE_PGM_RSRC3_GFX90A:ACCUM_OFFSET: 4
; COMPUTE_PGM_RSRC3_GFX90A:TG_SPLIT: 0
	.section	.text._ZL26flash_attn_combine_resultsILi96EEvPKfPK15HIP_vector_typeIfLj2EEPfi,"axG",@progbits,_ZL26flash_attn_combine_resultsILi96EEvPKfPK15HIP_vector_typeIfLj2EEPfi,comdat
	.globl	_ZL26flash_attn_combine_resultsILi96EEvPKfPK15HIP_vector_typeIfLj2EEPfi ; -- Begin function _ZL26flash_attn_combine_resultsILi96EEvPKfPK15HIP_vector_typeIfLj2EEPfi
	.p2align	8
	.type	_ZL26flash_attn_combine_resultsILi96EEvPKfPK15HIP_vector_typeIfLj2EEPfi,@function
_ZL26flash_attn_combine_resultsILi96EEvPKfPK15HIP_vector_typeIfLj2EEPfi: ; @_ZL26flash_attn_combine_resultsILi96EEvPKfPK15HIP_vector_typeIfLj2EEPfi
; %bb.0:
	s_load_dwordx2 s[6:7], s[0:1], 0x20
	s_load_dword s25, s[0:1], 0x18
	s_load_dwordx4 s[16:19], s[0:1], 0x0
	s_load_dwordx2 s[14:15], s[0:1], 0x10
	s_waitcnt lgkmcnt(0)
	s_mul_i32 s0, s6, s4
	s_add_i32 s0, s0, s2
	s_mul_i32 s24, s0, s7
	s_add_i32 s24, s24, s3
	s_lshl_b32 s12, s25, 1
	s_mul_i32 s2, s24, s25
	v_cmp_gt_i32_e32 vcc, s12, v0
	s_and_saveexec_b64 s[0:1], vcc
	s_cbranch_execz .LBB18_13
; %bb.1:
	v_xad_u32 v1, v0, -1, s12
	s_movk_i32 s4, 0x5f
	s_ashr_i32 s3, s2, 31
	v_cmp_lt_u32_e32 vcc, s4, v1
	s_mov_b64 s[6:7], -1
	v_mov_b32_e32 v2, v0
	s_and_saveexec_b64 s[4:5], vcc
	s_cbranch_execz .LBB18_10
; %bb.2:
	s_mov_b32 s6, 0xaaaaaaab
	v_mul_hi_u32 v1, v1, s6
	v_lshrrev_b32_e32 v6, 6, v1
	s_lshl_b64 s[6:7], s[2:3], 3
	v_add_u32_e32 v2, -1, v6
	s_add_u32 s6, s18, s6
	v_add_u32_e32 v1, 0x60, v0
	v_lshrrev_b32_e32 v3, 1, v2
	s_addc_u32 s7, s19, s7
	v_add_u32_e32 v7, 1, v3
	v_cmp_lt_u32_e32 vcc, 13, v2
	v_mov_b32_e32 v4, 0
	v_mov_b64_e32 v[2:3], v[0:1]
	s_and_saveexec_b64 s[8:9], vcc
	s_cbranch_execz .LBB18_6
; %bb.3:
	v_and_b32_e32 v8, -8, v7
	s_mov_b32 s13, 0
	v_lshl_add_u32 v9, v0, 2, 0
	s_mov_b64 s[10:11], 0
	v_mov_b32_e32 v5, 0
	v_mov_b64_e32 v[2:3], v[0:1]
.LBB18_4:                               ; =>This Inner Loop Header: Depth=1
	v_mov_b32_e32 v4, v2
	v_lshl_add_u64 v[24:25], v[4:5], 2, s[6:7]
	v_mov_b32_e32 v4, v3
	v_add_u32_e32 v10, 0xc0, v3
	v_mov_b32_e32 v11, v5
	v_lshl_add_u64 v[26:27], v[4:5], 2, s[6:7]
	v_add_u32_e32 v4, 0xc0, v2
	v_lshl_add_u64 v[10:11], v[10:11], 2, s[6:7]
	global_load_dword v1, v[24:25], off
	v_lshl_add_u64 v[24:25], v[4:5], 2, s[6:7]
	v_add_u32_e32 v4, 0x180, v2
	global_load_dword v28, v[26:27], off
	global_load_dword v29, v[24:25], off
	;; [unrolled: 1-line block ×3, first 2 shown]
	v_lshl_add_u64 v[10:11], v[4:5], 2, s[6:7]
	v_add_u32_e32 v4, 0x240, v2
	v_add_u32_e32 v12, 0x180, v3
	v_mov_b32_e32 v13, v5
	v_add_u32_e32 v14, 0x240, v3
	v_mov_b32_e32 v15, v5
	v_lshl_add_u64 v[24:25], v[4:5], 2, s[6:7]
	v_add_u32_e32 v4, 0x300, v2
	v_lshl_add_u64 v[12:13], v[12:13], 2, s[6:7]
	v_lshl_add_u64 v[14:15], v[14:15], 2, s[6:7]
	global_load_dword v26, v[10:11], off
	global_load_dword v27, v[12:13], off
	;; [unrolled: 1-line block ×4, first 2 shown]
	v_lshl_add_u64 v[10:11], v[4:5], 2, s[6:7]
	v_add_u32_e32 v4, 0x3c0, v2
	v_add_u32_e32 v16, 0x300, v3
	v_mov_b32_e32 v17, v5
	v_add_u32_e32 v18, 0x3c0, v3
	v_mov_b32_e32 v19, v5
	v_lshl_add_u64 v[12:13], v[4:5], 2, s[6:7]
	v_add_u32_e32 v4, 0x480, v2
	v_add_u32_e32 v20, 0x480, v3
	v_mov_b32_e32 v21, v5
	v_add_u32_e32 v22, 0x540, v3
	v_mov_b32_e32 v23, v5
	v_lshl_add_u64 v[16:17], v[16:17], 2, s[6:7]
	v_lshl_add_u64 v[18:19], v[18:19], 2, s[6:7]
	global_load_dword v14, v[10:11], off
	global_load_dword v15, v[16:17], off
	;; [unrolled: 1-line block ×4, first 2 shown]
	v_lshl_add_u64 v[10:11], v[4:5], 2, s[6:7]
	v_add_u32_e32 v4, 0x540, v2
	v_lshl_add_u64 v[20:21], v[20:21], 2, s[6:7]
	v_lshl_add_u64 v[22:23], v[22:23], 2, s[6:7]
	v_lshl_add_u64 v[12:13], v[4:5], 2, s[6:7]
	global_load_dword v16, v[10:11], off
	global_load_dword v17, v[20:21], off
	;; [unrolled: 1-line block ×4, first 2 shown]
	v_add_u32_e32 v8, -8, v8
	s_add_i32 s13, s13, 16
	v_cmp_eq_u32_e32 vcc, 0, v8
	v_add_u32_e32 v10, 0x200, v9
	v_add_u32_e32 v11, 0x400, v9
	;; [unrolled: 1-line block ×8, first 2 shown]
	v_mov_b32_e32 v4, s13
	s_or_b64 s[10:11], vcc, s[10:11]
	v_add_u32_e32 v2, 0x600, v2
	s_waitcnt vmcnt(14)
	ds_write2_b32 v9, v1, v28 offset1:96
	v_add_u32_e32 v9, 0x1800, v9
	s_waitcnt vmcnt(12)
	ds_write2_b32 v10, v29, v30 offset0:64 offset1:160
	s_waitcnt vmcnt(10)
	ds_write2_b32 v11, v26, v27 offset0:128 offset1:224
	;; [unrolled: 2-line block ×3, first 2 shown]
	s_waitcnt vmcnt(6)
	ds_write2_b32 v13, v14, v15 offset1:96
	s_waitcnt vmcnt(4)
	ds_write2_b32 v20, v24, v25 offset0:64 offset1:160
	s_waitcnt vmcnt(2)
	ds_write2_b32 v21, v16, v17 offset0:128 offset1:224
	;; [unrolled: 2-line block ×3, first 2 shown]
	s_andn2_b64 exec, exec, s[10:11]
	s_cbranch_execnz .LBB18_4
; %bb.5:
	s_or_b64 exec, exec, s[10:11]
.LBB18_6:
	s_or_b64 exec, exec, s[8:9]
	v_and_b32_e32 v1, 7, v7
	v_cmp_ne_u32_e32 vcc, 0, v1
	s_and_saveexec_b64 s[8:9], vcc
	s_cbranch_execz .LBB18_9
; %bb.7:
	s_movk_i32 s10, 0x180
	v_mul_lo_u32 v4, v4, s10
	v_lshlrev_b32_e32 v5, 2, v0
	v_add3_u32 v7, v4, v5, 0
	s_mov_b64 s[10:11], 0
	v_mov_b32_e32 v5, 0
.LBB18_8:                               ; =>This Inner Loop Header: Depth=1
	v_mov_b32_e32 v4, v2
	v_lshl_add_u64 v[8:9], v[4:5], 2, s[6:7]
	v_mov_b32_e32 v4, v3
	v_lshl_add_u64 v[10:11], v[4:5], 2, s[6:7]
	global_load_dword v4, v[8:9], off
	global_load_dword v12, v[10:11], off
	v_add_u32_e32 v1, -1, v1
	v_cmp_eq_u32_e32 vcc, 0, v1
	v_add_u32_e32 v2, 0xc0, v2
	v_add_u32_e32 v3, 0xc0, v3
	s_or_b64 s[10:11], vcc, s[10:11]
	s_waitcnt vmcnt(0)
	ds_write2_b32 v7, v4, v12 offset1:96
	v_add_u32_e32 v7, 0x300, v7
	s_andn2_b64 exec, exec, s[10:11]
	s_cbranch_execnz .LBB18_8
.LBB18_9:
	s_or_b64 exec, exec, s[8:9]
	v_add_u32_e32 v1, 1, v6
	v_and_b32_e32 v4, 0x7fffffe, v1
	s_movk_i32 s6, 0x60
	v_mad_u64_u32 v[2:3], s[6:7], v4, s6, v[0:1]
	v_cmp_ne_u32_e32 vcc, v1, v4
	s_orn2_b64 s[6:7], vcc, exec
.LBB18_10:
	s_or_b64 exec, exec, s[4:5]
	s_and_b64 exec, exec, s[6:7]
	s_cbranch_execz .LBB18_13
; %bb.11:
	s_lshl_b64 s[4:5], s[2:3], 3
	s_add_u32 s4, s18, s4
	v_mov_b32_e32 v3, 0
	s_addc_u32 s5, s19, s5
	v_lshl_add_u64 v[4:5], v[2:3], 2, s[4:5]
	v_lshl_add_u32 v1, v2, 2, 0
	s_mov_b64 s[4:5], 0
	s_mov_b64 s[6:7], 0x180
.LBB18_12:                              ; =>This Inner Loop Header: Depth=1
	global_load_dword v3, v[4:5], off
	v_add_u32_e32 v2, 0x60, v2
	v_cmp_le_i32_e32 vcc, s12, v2
	v_lshl_add_u64 v[4:5], v[4:5], 0, s[6:7]
	s_or_b64 s[4:5], vcc, s[4:5]
	s_waitcnt vmcnt(0)
	ds_write_b32 v1, v3
	v_add_u32_e32 v1, 0x180, v1
	s_andn2_b64 exec, exec, s[4:5]
	s_cbranch_execnz .LBB18_12
.LBB18_13:
	s_or_b64 exec, exec, s[0:1]
	v_mov_b32_e32 v1, 0
	s_waitcnt lgkmcnt(0)
	s_barrier
	ds_read_b32 v1, v1
	s_cmp_lt_i32 s25, 2
	s_cbranch_scc1 .LBB18_21
; %bb.14:
	s_cmp_eq_u32 s25, 2
	s_cbranch_scc1 .LBB18_18
; %bb.15:
	s_add_i32 s3, s25, -1
	s_and_b32 s4, s3, -2
	s_add_i32 s6, 0, 8
	s_mov_b32 s5, 2
	s_waitcnt lgkmcnt(0)
	v_mov_b32_e32 v4, v1
.LBB18_16:                              ; =>This Inner Loop Header: Depth=1
	v_mov_b32_e32 v2, v1
	v_mov_b32_e32 v1, s6
	v_mov_b32_e32 v3, v4
	ds_read2_b32 v[4:5], v1 offset1:2
	s_cmp_lg_u32 s4, s5
	s_cselect_b64 s[8:9], -1, 0
	v_max_f32_e32 v1, v3, v3
	v_max_f32_e32 v6, v2, v2
	s_waitcnt lgkmcnt(0)
	v_cmp_u_f32_e32 vcc, v5, v5
	v_max_f32_e32 v7, v5, v5
	v_max_f32_e32 v8, v4, v4
	v_cndmask_b32_e64 v5, 0, 1, vcc
	v_cmp_u_f32_e32 vcc, v4, v4
	v_readfirstlane_b32 s0, v5
	s_lshl_b32 s0, s0, 1
	v_cndmask_b32_e64 v9, 0, 1, vcc
	v_max_f32_e32 v4, v1, v7
	v_readfirstlane_b32 s1, v9
	s_or_b32 s0, s1, s0
	s_and_b32 s7, s0, 3
	s_cmp_lg_u32 s7, 0
	s_cselect_b64 s[0:1], -1, 0
	s_cmp_eq_u32 s7, 0
	s_cselect_b64 s[10:11], -1, 0
	s_and_b64 s[8:9], s[10:11], s[8:9]
	v_max_f32_e32 v1, v6, v8
	s_add_i32 s5, s5, 2
	s_add_i32 s6, s6, 16
	s_and_b64 vcc, exec, s[8:9]
	s_cbranch_vccnz .LBB18_16
; %bb.17:
	s_add_i32 s5, s5, -4
	s_and_b64 s[6:7], s[0:1], exec
	s_cselect_b32 s5, s5, s3
	s_or_b32 s5, s5, 1
	v_cndmask_b32_e64 v1, v1, v2, s[0:1]
	v_cndmask_b32_e64 v2, v4, v3, s[0:1]
	s_cmp_lg_u32 s3, s4
	v_max_f32_e32 v2, v2, v2
	v_max_f32_e32 v1, v1, v1
	s_cselect_b64 s[6:7], -1, 0
	v_max_f32_e32 v1, v1, v2
	s_or_b64 s[0:1], s[6:7], s[0:1]
	s_and_b64 vcc, exec, s[0:1]
	s_cbranch_vccnz .LBB18_19
	s_branch .LBB18_21
.LBB18_18:
	s_mov_b32 s5, 1
	s_cbranch_execz .LBB18_21
.LBB18_19:
	s_lshl_b32 s1, s5, 3
	s_sub_i32 s0, s25, s5
	s_add_i32 s1, s1, 0
.LBB18_20:                              ; =>This Inner Loop Header: Depth=1
	v_mov_b32_e32 v2, s1
	ds_read_b32 v2, v2
	s_waitcnt lgkmcnt(1)
	v_max_f32_e32 v1, v1, v1
	s_add_i32 s0, s0, -1
	s_add_i32 s1, s1, 8
	s_cmp_eq_u32 s0, 0
	s_waitcnt lgkmcnt(0)
	v_max_f32_e32 v2, v2, v2
	v_max_f32_e32 v1, v1, v2
	s_cbranch_scc0 .LBB18_20
.LBB18_21:
	s_cmp_lt_i32 s25, 1
	s_cbranch_scc1 .LBB18_26
; %bb.22:
	s_mul_i32 s18, s2, 0x60
	s_ashr_i32 s19, s18, 31
	s_cmp_lt_u32 s25, 8
	s_cbranch_scc1 .LBB18_27
; %bb.23:
	s_lshl_b64 s[0:1], s[18:19], 2
	s_add_u32 s20, s16, s0
	s_addc_u32 s21, s17, s1
	v_lshlrev_b32_e32 v4, 2, v0
	v_mov_b32_e32 v5, 0
	v_lshl_add_u64 v[2:3], s[20:21], 0, v[4:5]
	s_mov_b64 s[0:1], 0x180
	s_and_b32 s26, s25, 0x7ffffff8
	v_lshl_add_u64 v[6:7], v[2:3], 0, s[0:1]
	v_add_u32_e32 v8, 0x2a0, v0
	s_mov_b32 s27, 0
	s_mov_b32 s28, 0x3fb8aa3b
	;; [unrolled: 1-line block ×4, first 2 shown]
	v_mov_b32_e32 v12, 0x7f800000
	s_mov_b64 s[22:23], 0xc00
	s_mov_b32 s31, 0
	v_mov_b32_e32 v2, v5
	v_mov_b32_e32 v3, v5
.LBB18_24:                              ; =>This Inner Loop Header: Depth=1
	v_add_u32_e32 v4, 0xfffffd60, v8
	v_mov_b32_e32 v10, s27
	v_lshl_add_u64 v[30:31], v[4:5], 2, s[20:21]
	v_add_u32_e32 v4, 0xfffffe20, v8
	global_load_dword v11, v[6:7], off
	ds_read2_b64 v[14:17], v10 offset1:1
	ds_read2_b64 v[18:21], v10 offset0:2 offset1:3
	ds_read2_b64 v[22:25], v10 offset0:4 offset1:5
	;; [unrolled: 1-line block ×3, first 2 shown]
	v_lshl_add_u64 v[34:35], v[4:5], 2, s[20:21]
	v_add_u32_e32 v4, 0xfffffe80, v8
	global_load_dword v37, v[30:31], off
	global_load_dword v39, v[34:35], off
	v_lshl_add_u64 v[30:31], v[4:5], 2, s[20:21]
	v_add_u32_e32 v4, 0xfffffee0, v8
	v_lshl_add_u64 v[34:35], v[4:5], 2, s[20:21]
	v_add_u32_e32 v4, 0xffffff40, v8
	global_load_dword v41, v[30:31], off
	global_load_dword v43, v[34:35], off
	v_lshl_add_u64 v[30:31], v[4:5], 2, s[20:21]
	v_add_u32_e32 v4, 0xffffffa0, v8
	s_waitcnt lgkmcnt(3)
	v_mov_b32_e32 v36, v15
	global_load_dword v15, v[30:31], off
	v_mov_b32_e32 v9, v5
	v_sub_f32_e32 v13, v16, v1
	v_mov_b32_e32 v10, v17
	v_lshl_add_u64 v[16:17], v[4:5], 2, s[20:21]
	v_lshl_add_u64 v[32:33], v[8:9], 2, s[20:21]
	s_waitcnt lgkmcnt(2)
	v_mov_b32_e32 v38, v19
	v_mov_b32_e32 v40, v21
	global_load_dword v19, v[16:17], off
	global_load_dword v21, v[32:33], off
	v_sub_f32_e32 v9, v14, v1
	v_sub_f32_e32 v34, v18, v1
	;; [unrolled: 1-line block ×3, first 2 shown]
	s_waitcnt lgkmcnt(1)
	v_sub_f32_e32 v22, v22, v1
	v_mov_b32_e32 v42, v23
	v_sub_f32_e32 v23, v24, v1
	v_mov_b32_e32 v14, v25
	s_waitcnt lgkmcnt(0)
	v_sub_f32_e32 v24, v26, v1
	v_sub_f32_e32 v4, v28, v1
	v_mul_f32_e32 v25, 0x3fb8aa3b, v9
	v_mov_b32_e32 v18, v27
	v_mov_b32_e32 v20, v29
	v_mul_f32_e32 v26, 0x3fb8aa3b, v13
	v_mul_f32_e32 v27, 0x3fb8aa3b, v34
	;; [unrolled: 1-line block ×7, first 2 shown]
	v_fma_f32 v16, v9, s28, -v25
	v_rndne_f32_e32 v17, v25
	v_fma_f32 v32, v13, s28, -v26
	v_rndne_f32_e32 v33, v26
	;; [unrolled: 2-line block ×8, first 2 shown]
	v_fmac_f32_e32 v16, 0x32a5705f, v9
	v_sub_f32_e32 v25, v25, v17
	v_fmac_f32_e32 v32, 0x32a5705f, v13
	v_sub_f32_e32 v26, v26, v33
	;; [unrolled: 2-line block ×8, first 2 shown]
	v_add_f32_e32 v16, v25, v16
	v_cvt_i32_f32_e32 v17, v17
	v_add_f32_e32 v25, v26, v32
	v_add_f32_e32 v26, v27, v45
	;; [unrolled: 1-line block ×7, first 2 shown]
	v_exp_f32_e32 v16, v16
	v_cvt_i32_f32_e32 v33, v33
	v_cvt_i32_f32_e32 v46, v46
	;; [unrolled: 1-line block ×7, first 2 shown]
	v_exp_f32_e32 v25, v25
	v_exp_f32_e32 v26, v26
	;; [unrolled: 1-line block ×7, first 2 shown]
	v_ldexp_f32 v16, v16, v17
	v_cmp_ngt_f32_e64 s[12:13], s29, v9
	v_ldexp_f32 v17, v25, v33
	v_cmp_ngt_f32_e32 vcc, s29, v13
	v_ldexp_f32 v25, v26, v46
	v_cmp_ngt_f32_e64 s[0:1], s29, v34
	v_ldexp_f32 v26, v27, v48
	v_cmp_ngt_f32_e64 s[2:3], s29, v35
	;; [unrolled: 2-line block ×6, first 2 shown]
	v_cndmask_b32_e64 v16, 0, v16, s[12:13]
	v_cmp_nlt_f32_e64 s[12:13], s30, v9
	v_cndmask_b32_e32 v17, 0, v17, vcc
	v_cmp_nlt_f32_e32 vcc, s30, v13
	v_cndmask_b32_e64 v13, 0, v25, s[0:1]
	v_cndmask_b32_e64 v25, 0, v26, s[2:3]
	;; [unrolled: 1-line block ×4, first 2 shown]
	v_cmp_nlt_f32_e64 s[6:7], s30, v23
	v_cndmask_b32_e64 v23, 0, v29, s[8:9]
	v_cndmask_b32_e64 v29, 0, v30, s[10:11]
	v_cmp_nlt_f32_e64 s[10:11], s30, v4
	v_cndmask_b32_e64 v4, v12, v16, s[12:13]
	v_cmp_nlt_f32_e64 s[0:1], s30, v34
	v_cndmask_b32_e32 v16, v12, v17, vcc
	s_waitcnt vmcnt(6)
	v_pk_fma_f32 v[2:3], v[4:5], v[36:37], v[2:3] op_sel_hi:[0,1,1]
	v_cmp_nlt_f32_e64 s[2:3], s30, v35
	v_cmp_nlt_f32_e64 s[4:5], s30, v22
	v_cndmask_b32_e64 v22, v12, v13, s[0:1]
	v_pk_fma_f32 v[2:3], v[16:17], v[10:11], v[2:3] op_sel_hi:[0,1,1]
	v_cmp_nlt_f32_e64 s[8:9], s30, v24
	v_cndmask_b32_e64 v24, v12, v25, s[2:3]
	s_waitcnt vmcnt(5)
	v_pk_fma_f32 v[2:3], v[22:23], v[38:39], v[2:3] op_sel_hi:[0,1,1]
	v_cndmask_b32_e64 v26, v12, v26, s[4:5]
	s_waitcnt vmcnt(4)
	v_pk_fma_f32 v[2:3], v[24:25], v[40:41], v[2:3] op_sel_hi:[0,1,1]
	;; [unrolled: 3-line block ×4, first 2 shown]
	s_add_i32 s31, s31, 8
	s_add_i32 s27, s27, 64
	v_cndmask_b32_e64 v32, v12, v29, s[10:11]
	s_waitcnt vmcnt(1)
	v_pk_fma_f32 v[2:3], v[30:31], v[18:19], v[2:3] op_sel_hi:[0,1,1]
	v_lshl_add_u64 v[6:7], v[6:7], 0, s[22:23]
	s_cmp_eq_u32 s26, s31
	v_add_u32_e32 v8, 0x300, v8
	s_waitcnt vmcnt(0)
	v_pk_fma_f32 v[2:3], v[32:33], v[20:21], v[2:3] op_sel_hi:[0,1,1]
	s_cbranch_scc0 .LBB18_24
; %bb.25:
	s_and_b32 s2, s25, 7
	s_cmp_eq_u32 s2, 0
	s_cbranch_scc0 .LBB18_28
	s_branch .LBB18_30
.LBB18_26:
	s_waitcnt lgkmcnt(0)
	v_mov_b32_e32 v1, 0x7fc00000
	s_branch .LBB18_31
.LBB18_27:
	v_mov_b32_e32 v2, 0
	s_mov_b32 s26, 0
	v_mov_b32_e32 v3, v2
	s_and_b32 s2, s25, 7
	s_cmp_eq_u32 s2, 0
	s_cbranch_scc1 .LBB18_30
.LBB18_28:
	s_lshl_b64 s[0:1], s[18:19], 2
	s_mul_i32 s3, s26, 0x60
	s_add_u32 s0, s16, s0
	v_add_u32_e32 v4, s3, v0
	v_mov_b32_e32 v5, 0
	s_addc_u32 s1, s17, s1
	v_lshl_add_u64 v[4:5], v[4:5], 2, s[0:1]
	s_lshl_b32 s0, s26, 3
	s_add_i32 s3, s0, 0
	s_mov_b32 s4, 0x3fb8aa3b
	s_mov_b32 s5, 0xc2ce8ed0
	;; [unrolled: 1-line block ×3, first 2 shown]
	v_mov_b32_e32 v6, 0x7f800000
	s_mov_b64 s[0:1], 0x180
.LBB18_29:                              ; =>This Inner Loop Header: Depth=1
	global_load_dword v9, v[4:5], off
	v_mov_b32_e32 v7, s3
	ds_read_b64 v[10:11], v7
	s_add_i32 s3, s3, 8
	s_add_i32 s2, s2, -1
	v_lshl_add_u64 v[4:5], v[4:5], 0, s[0:1]
	s_cmp_lg_u32 s2, 0
	s_waitcnt lgkmcnt(0)
	v_sub_f32_e32 v7, v10, v1
	v_mul_f32_e32 v8, 0x3fb8aa3b, v7
	v_fma_f32 v10, v7, s4, -v8
	v_rndne_f32_e32 v12, v8
	v_fmac_f32_e32 v10, 0x32a5705f, v7
	v_sub_f32_e32 v8, v8, v12
	v_add_f32_e32 v8, v8, v10
	v_cvt_i32_f32_e32 v12, v12
	v_exp_f32_e32 v10, v8
	v_cmp_ngt_f32_e32 vcc, s5, v7
	v_mov_b32_e32 v8, v11
	v_ldexp_f32 v10, v10, v12
	v_cndmask_b32_e32 v10, 0, v10, vcc
	v_cmp_nlt_f32_e32 vcc, s6, v7
	s_nop 1
	v_cndmask_b32_e32 v10, v6, v10, vcc
	s_waitcnt vmcnt(0)
	v_pk_fma_f32 v[2:3], v[10:11], v[8:9], v[2:3] op_sel_hi:[0,1,1]
	s_cbranch_scc1 .LBB18_29
.LBB18_30:
	s_waitcnt lgkmcnt(0)
	v_div_scale_f32 v1, s[0:1], v2, v2, v3
	v_rcp_f32_e32 v4, v1
	v_div_scale_f32 v5, vcc, v3, v2, v3
	v_fma_f32 v6, -v1, v4, 1.0
	v_fmac_f32_e32 v4, v6, v4
	v_mul_f32_e32 v6, v5, v4
	v_fma_f32 v7, -v1, v6, v5
	v_fmac_f32_e32 v6, v7, v4
	v_fma_f32 v1, -v1, v6, v5
	v_div_fmas_f32 v1, v1, v4, v6
	v_div_fixup_f32 v1, v1, v2, v3
.LBB18_31:
	s_mul_i32 s0, s24, 0x60
	s_ashr_i32 s1, s0, 31
	s_lshl_b64 s[0:1], s[0:1], 2
	s_add_u32 s0, s14, s0
	s_addc_u32 s1, s15, s1
	v_lshlrev_b32_e32 v0, 2, v0
	global_store_dword v0, v1, s[0:1]
	s_endpgm
	.section	.rodata,"a",@progbits
	.p2align	6, 0x0
	.amdhsa_kernel _ZL26flash_attn_combine_resultsILi96EEvPKfPK15HIP_vector_typeIfLj2EEPfi
		.amdhsa_group_segment_fixed_size 0
		.amdhsa_private_segment_fixed_size 0
		.amdhsa_kernarg_size 288
		.amdhsa_user_sgpr_count 2
		.amdhsa_user_sgpr_dispatch_ptr 0
		.amdhsa_user_sgpr_queue_ptr 0
		.amdhsa_user_sgpr_kernarg_segment_ptr 1
		.amdhsa_user_sgpr_dispatch_id 0
		.amdhsa_user_sgpr_kernarg_preload_length 0
		.amdhsa_user_sgpr_kernarg_preload_offset 0
		.amdhsa_user_sgpr_private_segment_size 0
		.amdhsa_uses_dynamic_stack 0
		.amdhsa_enable_private_segment 0
		.amdhsa_system_sgpr_workgroup_id_x 1
		.amdhsa_system_sgpr_workgroup_id_y 1
		.amdhsa_system_sgpr_workgroup_id_z 1
		.amdhsa_system_sgpr_workgroup_info 0
		.amdhsa_system_vgpr_workitem_id 0
		.amdhsa_next_free_vgpr 57
		.amdhsa_next_free_sgpr 32
		.amdhsa_accum_offset 60
		.amdhsa_reserve_vcc 1
		.amdhsa_float_round_mode_32 0
		.amdhsa_float_round_mode_16_64 0
		.amdhsa_float_denorm_mode_32 3
		.amdhsa_float_denorm_mode_16_64 3
		.amdhsa_dx10_clamp 1
		.amdhsa_ieee_mode 1
		.amdhsa_fp16_overflow 0
		.amdhsa_tg_split 0
		.amdhsa_exception_fp_ieee_invalid_op 0
		.amdhsa_exception_fp_denorm_src 0
		.amdhsa_exception_fp_ieee_div_zero 0
		.amdhsa_exception_fp_ieee_overflow 0
		.amdhsa_exception_fp_ieee_underflow 0
		.amdhsa_exception_fp_ieee_inexact 0
		.amdhsa_exception_int_div_zero 0
	.end_amdhsa_kernel
	.section	.text._ZL26flash_attn_combine_resultsILi96EEvPKfPK15HIP_vector_typeIfLj2EEPfi,"axG",@progbits,_ZL26flash_attn_combine_resultsILi96EEvPKfPK15HIP_vector_typeIfLj2EEPfi,comdat
.Lfunc_end18:
	.size	_ZL26flash_attn_combine_resultsILi96EEvPKfPK15HIP_vector_typeIfLj2EEPfi, .Lfunc_end18-_ZL26flash_attn_combine_resultsILi96EEvPKfPK15HIP_vector_typeIfLj2EEPfi
                                        ; -- End function
	.set _ZL26flash_attn_combine_resultsILi96EEvPKfPK15HIP_vector_typeIfLj2EEPfi.num_vgpr, 57
	.set _ZL26flash_attn_combine_resultsILi96EEvPKfPK15HIP_vector_typeIfLj2EEPfi.num_agpr, 0
	.set _ZL26flash_attn_combine_resultsILi96EEvPKfPK15HIP_vector_typeIfLj2EEPfi.numbered_sgpr, 32
	.set _ZL26flash_attn_combine_resultsILi96EEvPKfPK15HIP_vector_typeIfLj2EEPfi.num_named_barrier, 0
	.set _ZL26flash_attn_combine_resultsILi96EEvPKfPK15HIP_vector_typeIfLj2EEPfi.private_seg_size, 0
	.set _ZL26flash_attn_combine_resultsILi96EEvPKfPK15HIP_vector_typeIfLj2EEPfi.uses_vcc, 1
	.set _ZL26flash_attn_combine_resultsILi96EEvPKfPK15HIP_vector_typeIfLj2EEPfi.uses_flat_scratch, 0
	.set _ZL26flash_attn_combine_resultsILi96EEvPKfPK15HIP_vector_typeIfLj2EEPfi.has_dyn_sized_stack, 0
	.set _ZL26flash_attn_combine_resultsILi96EEvPKfPK15HIP_vector_typeIfLj2EEPfi.has_recursion, 0
	.set _ZL26flash_attn_combine_resultsILi96EEvPKfPK15HIP_vector_typeIfLj2EEPfi.has_indirect_call, 0
	.section	.AMDGPU.csdata,"",@progbits
; Kernel info:
; codeLenInByte = 3064
; TotalNumSgprs: 38
; NumVgprs: 57
; NumAgprs: 0
; TotalNumVgprs: 57
; ScratchSize: 0
; MemoryBound: 0
; FloatMode: 240
; IeeeMode: 1
; LDSByteSize: 0 bytes/workgroup (compile time only)
; SGPRBlocks: 4
; VGPRBlocks: 7
; NumSGPRsForWavesPerEU: 38
; NumVGPRsForWavesPerEU: 57
; AccumOffset: 60
; Occupancy: 8
; WaveLimiterHint : 0
; COMPUTE_PGM_RSRC2:SCRATCH_EN: 0
; COMPUTE_PGM_RSRC2:USER_SGPR: 2
; COMPUTE_PGM_RSRC2:TRAP_HANDLER: 0
; COMPUTE_PGM_RSRC2:TGID_X_EN: 1
; COMPUTE_PGM_RSRC2:TGID_Y_EN: 1
; COMPUTE_PGM_RSRC2:TGID_Z_EN: 1
; COMPUTE_PGM_RSRC2:TIDIG_COMP_CNT: 0
; COMPUTE_PGM_RSRC3_GFX90A:ACCUM_OFFSET: 14
; COMPUTE_PGM_RSRC3_GFX90A:TG_SPLIT: 0
	.section	.text._ZL18flash_attn_ext_f16ILi112ELi112ELi16ELi1ELb0ELb0EEvPKcS1_S1_S1_S1_PKiPfP15HIP_vector_typeIfLj2EEffffjfiS5_IjLj3EEiiiiiiiiiiiliiliiiiil,"axG",@progbits,_ZL18flash_attn_ext_f16ILi112ELi112ELi16ELi1ELb0ELb0EEvPKcS1_S1_S1_S1_PKiPfP15HIP_vector_typeIfLj2EEffffjfiS5_IjLj3EEiiiiiiiiiiiliiliiiiil,comdat
	.globl	_ZL18flash_attn_ext_f16ILi112ELi112ELi16ELi1ELb0ELb0EEvPKcS1_S1_S1_S1_PKiPfP15HIP_vector_typeIfLj2EEffffjfiS5_IjLj3EEiiiiiiiiiiiliiliiiiil ; -- Begin function _ZL18flash_attn_ext_f16ILi112ELi112ELi16ELi1ELb0ELb0EEvPKcS1_S1_S1_S1_PKiPfP15HIP_vector_typeIfLj2EEffffjfiS5_IjLj3EEiiiiiiiiiiiliiliiiiil
	.p2align	8
	.type	_ZL18flash_attn_ext_f16ILi112ELi112ELi16ELi1ELb0ELb0EEvPKcS1_S1_S1_S1_PKiPfP15HIP_vector_typeIfLj2EEffffjfiS5_IjLj3EEiiiiiiiiiiiliiliiiiil,@function
_ZL18flash_attn_ext_f16ILi112ELi112ELi16ELi1ELb0ELb0EEvPKcS1_S1_S1_S1_PKiPfP15HIP_vector_typeIfLj2EEffffjfiS5_IjLj3EEiiiiiiiiiiiliiliiiiil: ; @_ZL18flash_attn_ext_f16ILi112ELi112ELi16ELi1ELb0ELb0EEvPKcS1_S1_S1_S1_PKiPfP15HIP_vector_typeIfLj2EEffffjfiS5_IjLj3EEiiiiiiiiiiiliiliiiiil
; %bb.0:
	s_load_dwordx2 s[10:11], s[0:1], 0x80
	s_load_dwordx4 s[60:63], s[0:1], 0x64
	s_mov_b32 s68, s2
                                        ; implicit-def: $vgpr222 : SGPR spill to VGPR lane
	s_load_dword s69, s[0:1], 0xd0
	s_mov_b32 s4, 0
	s_waitcnt lgkmcnt(0)
	s_abs_i32 s2, s11
	v_cvt_f32_u32_e32 v1, s2
	s_sub_i32 s6, 0, s2
	s_abs_i32 s5, s61
	s_xor_b32 s3, s61, s11
	v_rcp_iflag_f32_e32 v1, v1
	s_ashr_i32 s3, s3, 31
	v_mul_f32_e32 v1, 0x4f7ffffe, v1
	v_cvt_u32_f32_e32 v1, v1
	s_nop 0
	v_readfirstlane_b32 s7, v1
	s_mul_i32 s6, s6, s7
	s_mul_hi_u32 s6, s7, s6
	s_add_i32 s7, s7, s6
	s_mul_hi_u32 s6, s5, s7
	s_mul_i32 s7, s6, s2
	s_sub_i32 s5, s5, s7
	s_add_i32 s8, s6, 1
	s_sub_i32 s7, s5, s2
	s_cmp_ge_u32 s5, s2
	s_cselect_b32 s6, s8, s6
	s_cselect_b32 s5, s7, s5
	s_add_i32 s7, s6, 1
	s_cmp_ge_u32 s5, s2
	s_cselect_b32 s2, s7, s6
	s_add_i32 s5, s10, 63
	s_xor_b32 s2, s2, s3
	s_ashr_i32 s6, s5, 31
	s_sub_i32 s3, s2, s3
	s_lshr_b32 s2, s6, 26
	s_add_i32 s5, s5, s2
	s_add_i32 s2, s60, 15
	s_lshr_b32 s2, s2, 4
	s_ashr_i32 s5, s5, 6
	v_writelane_b32 v222, s2, 0
	v_writelane_b32 v222, s5, 1
	s_mul_i32 s2, s2, s5
	v_writelane_b32 v222, s3, 2
	v_writelane_b32 v222, s2, 3
	s_mul_i32 s3, s2, s3
	s_mov_b32 s2, s10
	v_writelane_b32 v222, s2, 4
	s_nop 1
	v_writelane_b32 v222, s3, 5
	s_mul_i32 s2, s3, s11
	s_mul_i32 s8, s2, s62
	v_writelane_b32 v222, s3, 6
	s_ashr_i32 s9, s8, 31
	v_writelane_b32 v222, s2, 7
	s_mul_i32 s2, s9, s68
	s_mul_hi_u32 s3, s8, s68
	s_add_i32 s5, s3, s2
	s_cmp_lg_u64 s[4:5], 0
	s_mul_i32 s4, s8, s68
	s_cbranch_scc0 .LBB19_2
; %bb.1:
	s_add_u32 s2, s69, 0
	s_addc_u32 s3, 0, 0
	s_xor_b64 s[6:7], s[2:3], 0
	v_cvt_f32_u32_e32 v1, s6
	v_cvt_f32_u32_e32 v2, s7
	s_sub_u32 s12, 0, s6
	s_subb_u32 s13, 0, s7
	s_mov_b64 s[2:3], 0
	v_fmamk_f32 v1, v2, 0x4f800000, v1
	v_rcp_f32_e32 v1, v1
	s_nop 0
	v_mul_f32_e32 v1, 0x5f7ffffc, v1
	v_mul_f32_e32 v2, 0x2f800000, v1
	v_trunc_f32_e32 v2, v2
	v_fmamk_f32 v1, v2, 0xcf800000, v1
	v_cvt_u32_f32_e32 v2, v2
	v_cvt_u32_f32_e32 v1, v1
	v_readfirstlane_b32 s14, v2
	v_readfirstlane_b32 s10, v1
	s_mul_i32 s11, s12, s14
	s_mul_hi_u32 s16, s12, s10
	s_mul_i32 s15, s13, s10
	s_add_i32 s11, s16, s11
	s_add_i32 s11, s11, s15
	s_mul_i32 s17, s12, s10
	s_mul_i32 s16, s10, s11
	s_mul_hi_u32 s18, s10, s17
	s_mul_hi_u32 s15, s10, s11
	s_add_u32 s16, s18, s16
	s_addc_u32 s15, 0, s15
	s_mul_hi_u32 s19, s14, s17
	s_mul_i32 s17, s14, s17
	s_add_u32 s16, s16, s17
	s_mul_hi_u32 s18, s14, s11
	s_addc_u32 s15, s15, s19
	s_addc_u32 s16, s18, 0
	s_mul_i32 s11, s14, s11
	s_add_u32 s11, s15, s11
	s_addc_u32 s15, 0, s16
	s_add_u32 s16, s10, s11
	s_cselect_b64 s[10:11], -1, 0
	s_cmp_lg_u64 s[10:11], 0
	s_addc_u32 s14, s14, s15
	s_mul_i32 s10, s12, s14
	s_mul_hi_u32 s11, s12, s16
	s_add_i32 s10, s11, s10
	s_mul_i32 s13, s13, s16
	s_add_i32 s10, s10, s13
	s_mul_i32 s12, s12, s16
	s_mul_hi_u32 s13, s14, s12
	s_mul_i32 s15, s14, s12
	s_mul_i32 s18, s16, s10
	s_mul_hi_u32 s12, s16, s12
	s_mul_hi_u32 s17, s16, s10
	s_add_u32 s12, s12, s18
	s_addc_u32 s17, 0, s17
	s_add_u32 s12, s12, s15
	s_mul_hi_u32 s11, s14, s10
	s_addc_u32 s12, s17, s13
	s_addc_u32 s11, s11, 0
	s_mul_i32 s10, s14, s10
	s_add_u32 s10, s12, s10
	s_addc_u32 s12, 0, s11
	s_add_u32 s15, s16, s10
	s_cselect_b64 s[10:11], -1, 0
	s_cmp_lg_u64 s[10:11], 0
	s_addc_u32 s14, s14, s12
	s_ashr_i32 s10, s5, 31
	s_add_u32 s12, s4, s10
	s_mov_b32 s11, s10
	s_addc_u32 s13, s5, s10
	s_xor_b64 s[12:13], s[12:13], s[10:11]
	s_mul_i32 s16, s12, s14
	s_mul_hi_u32 s17, s12, s15
	s_mul_hi_u32 s5, s12, s14
	s_add_u32 s16, s17, s16
	s_addc_u32 s5, 0, s5
	s_mul_hi_u32 s18, s13, s15
	s_mul_i32 s15, s13, s15
	s_add_u32 s15, s16, s15
	s_mul_hi_u32 s17, s13, s14
	s_addc_u32 s5, s5, s18
	s_addc_u32 s15, s17, 0
	s_mul_i32 s14, s13, s14
	s_add_u32 s5, s5, s14
	s_addc_u32 s18, 0, s15
	s_mul_i32 s14, s6, s18
	s_mul_hi_u32 s15, s6, s5
	s_add_i32 s14, s15, s14
	s_mul_i32 s15, s7, s5
	s_add_i32 s19, s14, s15
	s_sub_i32 s16, s13, s19
	s_mul_i32 s14, s6, s5
	s_sub_u32 s12, s12, s14
	s_cselect_b64 s[14:15], -1, 0
	s_cmp_lg_u64 s[14:15], 0
	s_subb_u32 s20, s16, s7
	s_sub_u32 s21, s12, s6
	s_cselect_b64 s[16:17], -1, 0
	s_cmp_lg_u64 s[16:17], 0
	s_subb_u32 s16, s20, 0
	s_cmp_ge_u32 s16, s7
	s_cselect_b32 s17, -1, 0
	s_cmp_ge_u32 s21, s6
	s_cselect_b32 s20, -1, 0
	s_cmp_eq_u32 s16, s7
	s_cselect_b32 s16, s20, s17
	s_add_u32 s17, s5, 1
	s_addc_u32 s20, s18, 0
	s_add_u32 s21, s5, 2
	s_addc_u32 s22, s18, 0
	s_cmp_lg_u32 s16, 0
	s_cselect_b32 s16, s21, s17
	s_cselect_b32 s17, s22, s20
	s_cmp_lg_u64 s[14:15], 0
	s_subb_u32 s13, s13, s19
	s_cmp_ge_u32 s13, s7
	s_cselect_b32 s14, -1, 0
	s_cmp_ge_u32 s12, s6
	s_cselect_b32 s6, -1, 0
	s_cmp_eq_u32 s13, s7
	s_cselect_b32 s6, s6, s14
	s_cmp_lg_u32 s6, 0
	s_cselect_b32 s7, s17, s18
	s_cselect_b32 s6, s16, s5
	s_xor_b64 s[10:11], s[10:11], 0
	s_xor_b64 s[6:7], s[6:7], s[10:11]
	s_sub_u32 s86, s6, s10
	s_branch .LBB19_3
.LBB19_2:
	s_mov_b64 s[2:3], -1
                                        ; implicit-def: $sgpr86_sgpr87
.LBB19_3:
	s_load_dwordx2 s[6:7], s[0:1], 0x74
	v_cvt_f32_u32_e32 v1, s69
	s_andn2_b64 vcc, exec, s[2:3]
	s_waitcnt lgkmcnt(0)
	v_writelane_b32 v222, s6, 8
	s_nop 1
	v_writelane_b32 v222, s7, 9
	s_cbranch_vccnz .LBB19_5
; %bb.4:
	v_rcp_iflag_f32_e32 v2, v1
	s_sub_i32 s2, 0, s69
	v_mul_f32_e32 v2, 0x4f7ffffe, v2
	v_cvt_u32_f32_e32 v2, v2
	s_nop 0
	v_readfirstlane_b32 s3, v2
	s_mul_i32 s2, s2, s3
	s_mul_hi_u32 s2, s3, s2
	s_add_i32 s3, s3, s2
	s_mul_hi_u32 s2, s4, s3
	s_mul_i32 s5, s2, s69
	s_sub_i32 s4, s4, s5
	s_add_i32 s3, s2, 1
	s_sub_i32 s5, s4, s69
	s_cmp_ge_u32 s4, s69
	s_cselect_b32 s2, s3, s2
	s_cselect_b32 s4, s5, s4
	s_add_i32 s3, s2, 1
	s_cmp_ge_u32 s4, s69
	s_cselect_b32 s86, s3, s2
.LBB19_5:
	s_add_i32 s2, s68, 1
	s_mul_i32 s3, s9, s2
	s_mul_hi_u32 s4, s8, s2
	s_add_i32 s7, s4, s3
	s_mov_b32 s6, 0
	s_cmp_lg_u64 s[6:7], 0
	s_mul_i32 s6, s8, s2
	s_cbranch_scc0 .LBB19_291
; %bb.6:
	s_add_u32 s2, s69, 0
	s_addc_u32 s3, 0, 0
	s_xor_b64 s[4:5], s[2:3], 0
	v_cvt_f32_u32_e32 v2, s4
	v_cvt_f32_u32_e32 v3, s5
	s_sub_u32 s10, 0, s4
	s_subb_u32 s11, 0, s5
	v_fmamk_f32 v2, v3, 0x4f800000, v2
	v_rcp_f32_e32 v2, v2
	s_nop 0
	v_mul_f32_e32 v2, 0x5f7ffffc, v2
	v_mul_f32_e32 v3, 0x2f800000, v2
	v_trunc_f32_e32 v3, v3
	v_fmamk_f32 v2, v3, 0xcf800000, v2
	v_cvt_u32_f32_e32 v3, v3
	v_cvt_u32_f32_e32 v2, v2
	v_readfirstlane_b32 s12, v3
	v_readfirstlane_b32 s8, v2
	s_mul_i32 s9, s10, s12
	s_mul_hi_u32 s14, s10, s8
	s_mul_i32 s13, s11, s8
	s_add_i32 s9, s14, s9
	s_add_i32 s9, s9, s13
	s_mul_i32 s15, s10, s8
	s_mul_i32 s14, s8, s9
	s_mul_hi_u32 s16, s8, s15
	s_mul_hi_u32 s13, s8, s9
	s_add_u32 s14, s16, s14
	s_addc_u32 s13, 0, s13
	s_mul_hi_u32 s17, s12, s15
	s_mul_i32 s15, s12, s15
	s_add_u32 s14, s14, s15
	s_mul_hi_u32 s16, s12, s9
	s_addc_u32 s13, s13, s17
	s_addc_u32 s14, s16, 0
	s_mul_i32 s9, s12, s9
	s_add_u32 s9, s13, s9
	s_addc_u32 s13, 0, s14
	s_add_u32 s14, s8, s9
	s_cselect_b64 s[8:9], -1, 0
	s_cmp_lg_u64 s[8:9], 0
	s_addc_u32 s12, s12, s13
	s_mul_i32 s8, s10, s12
	s_mul_hi_u32 s9, s10, s14
	s_add_i32 s8, s9, s8
	s_mul_i32 s11, s11, s14
	s_add_i32 s8, s8, s11
	s_mul_i32 s10, s10, s14
	s_mul_hi_u32 s11, s12, s10
	s_mul_i32 s13, s12, s10
	s_mul_i32 s16, s14, s8
	s_mul_hi_u32 s10, s14, s10
	s_mul_hi_u32 s15, s14, s8
	s_add_u32 s10, s10, s16
	s_addc_u32 s15, 0, s15
	s_add_u32 s10, s10, s13
	s_mul_hi_u32 s9, s12, s8
	s_addc_u32 s10, s15, s11
	s_addc_u32 s9, s9, 0
	s_mul_i32 s8, s12, s8
	s_add_u32 s8, s10, s8
	s_addc_u32 s10, 0, s9
	s_add_u32 s13, s14, s8
	s_cselect_b64 s[8:9], -1, 0
	s_cmp_lg_u64 s[8:9], 0
	s_addc_u32 s12, s12, s10
	s_ashr_i32 s8, s7, 31
	s_add_u32 s10, s6, s8
	s_mov_b32 s9, s8
	s_addc_u32 s11, s7, s8
	s_xor_b64 s[10:11], s[10:11], s[8:9]
	s_mul_i32 s14, s10, s12
	s_mul_hi_u32 s15, s10, s13
	s_mul_hi_u32 s7, s10, s12
	s_add_u32 s14, s15, s14
	s_addc_u32 s7, 0, s7
	s_mul_hi_u32 s16, s11, s13
	s_mul_i32 s13, s11, s13
	s_add_u32 s13, s14, s13
	s_mul_hi_u32 s15, s11, s12
	s_addc_u32 s7, s7, s16
	s_addc_u32 s13, s15, 0
	s_mul_i32 s12, s11, s12
	s_add_u32 s7, s7, s12
	s_addc_u32 s16, 0, s13
	s_mul_i32 s12, s4, s16
	s_mul_hi_u32 s13, s4, s7
	s_add_i32 s12, s13, s12
	s_mul_i32 s13, s5, s7
	s_add_i32 s17, s12, s13
	s_sub_i32 s14, s11, s17
	s_mul_i32 s12, s4, s7
	s_sub_u32 s10, s10, s12
	s_cselect_b64 s[12:13], -1, 0
	s_cmp_lg_u64 s[12:13], 0
	s_subb_u32 s18, s14, s5
	s_sub_u32 s19, s10, s4
	s_cselect_b64 s[14:15], -1, 0
	s_cmp_lg_u64 s[14:15], 0
	s_subb_u32 s14, s18, 0
	s_cmp_ge_u32 s14, s5
	s_cselect_b32 s15, -1, 0
	s_cmp_ge_u32 s19, s4
	s_cselect_b32 s18, -1, 0
	s_cmp_eq_u32 s14, s5
	s_cselect_b32 s14, s18, s15
	s_add_u32 s15, s7, 1
	s_addc_u32 s18, s16, 0
	s_add_u32 s19, s7, 2
	s_addc_u32 s20, s16, 0
	s_cmp_lg_u32 s14, 0
	s_cselect_b32 s14, s19, s15
	s_cselect_b32 s15, s20, s18
	s_cmp_lg_u64 s[12:13], 0
	s_subb_u32 s11, s11, s17
	s_cmp_ge_u32 s11, s5
	s_cselect_b32 s12, -1, 0
	s_cmp_ge_u32 s10, s4
	s_cselect_b32 s4, -1, 0
	s_cmp_eq_u32 s11, s5
	s_cselect_b32 s4, s4, s12
	s_cmp_lg_u32 s4, 0
	s_cselect_b32 s5, s15, s16
	s_cselect_b32 s4, s14, s7
	s_xor_b64 s[8:9], s[8:9], 0
	s_xor_b64 s[4:5], s[4:5], s[8:9]
	s_sub_u32 s4, s4, s8
	v_writelane_b32 v222, s4, 10
	s_nop 1
	v_writelane_b32 v222, s5, 11
	s_load_dwordx2 s[76:77], s[0:1], 0x5c
	s_cbranch_execnz .LBB19_8
.LBB19_7:
	v_rcp_iflag_f32_e32 v1, v1
	s_sub_i32 s2, 0, s69
	v_mul_f32_e32 v1, 0x4f7ffffe, v1
	v_cvt_u32_f32_e32 v1, v1
	s_nop 0
	v_readfirstlane_b32 s3, v1
	s_mul_i32 s2, s2, s3
	s_mul_hi_u32 s2, s3, s2
	s_add_i32 s3, s3, s2
	s_mul_hi_u32 s2, s6, s3
	s_mul_i32 s4, s2, s69
	s_sub_i32 s4, s6, s4
	s_add_i32 s3, s2, 1
	s_sub_i32 s5, s4, s69
	s_cmp_ge_u32 s4, s69
	s_cselect_b32 s2, s3, s2
	s_cselect_b32 s4, s5, s4
	s_add_i32 s3, s2, 1
	s_cmp_ge_u32 s4, s69
	s_cselect_b32 s2, s3, s2
	v_writelane_b32 v222, s2, 10
	s_nop 1
	v_writelane_b32 v222, s3, 11
.LBB19_8:
	s_load_dwordx16 s[44:59], s[0:1], 0x0
	s_load_dwordx4 s[16:19], s[0:1], 0x40
	s_load_dword s2, s[0:1], 0x50
	v_bfe_u32 v104, v0, 10, 10
	s_mov_b32 s95, 0
	v_bfe_u32 v105, v0, 5, 5
	s_waitcnt lgkmcnt(0)
	v_cvt_f16_f32_e32 v39, s16
	v_writelane_b32 v222, s2, 12
	s_load_dwordx2 s[2:3], s[0:1], 0x8c
	s_load_dwordx4 s[8:11], s[0:1], 0x98
	s_load_dwordx2 s[4:5], s[0:1], 0xa8
	s_load_dwordx2 s[12:13], s[0:1], 0xb8
	s_nop 0
	s_load_dwordx2 s[0:1], s[0:1], 0xc8
	v_lshlrev_b32_e32 v35, 1, v104
	s_waitcnt lgkmcnt(0)
	s_ashr_i32 s74, s2, 2
	s_ashr_i32 s62, s10, 2
	v_writelane_b32 v222, s4, 13
	s_ashr_i32 s70, s13, 1
	v_and_b32_e32 v34, 31, v0
	v_writelane_b32 v222, s5, 14
	v_writelane_b32 v222, s0, 15
	v_lshlrev_b32_e32 v107, 2, v104
	v_lshlrev_b32_e32 v106, 4, v104
	v_writelane_b32 v222, s1, 16
	s_ashr_i32 s0, s63, 3
	v_readlane_b32 s6, v222, 1
	s_abs_i32 s33, s6
	v_cvt_f32_u32_e32 v1, s33
	v_writelane_b32 v222, s0, 17
	s_mov_b32 s1, s3
	v_writelane_b32 v222, s0, 18
	v_rcp_iflag_f32_e32 v1, v1
	s_mov_b32 s3, s11
	v_writelane_b32 v222, s1, 19
	s_mov_b64 s[0:1], s[8:9]
	v_mul_f32_e32 v1, 0x4f7ffffe, v1
	v_cvt_u32_f32_e32 v1, v1
	v_writelane_b32 v222, s0, 20
	v_mbcnt_lo_u32_b32 v108, -1, 0
	s_nop 0
	v_writelane_b32 v222, s1, 21
	v_writelane_b32 v222, s2, 22
	;; [unrolled: 1-line block ×3, first 2 shown]
	s_sub_i32 s2, 0, s33
	v_readfirstlane_b32 s3, v1
	s_mul_i32 s2, s2, s3
	s_ashr_i32 s1, s6, 31
	s_mul_hi_u32 s2, s3, s2
	v_writelane_b32 v222, s1, 24
	s_abs_i32 s1, s86
	s_add_i32 s66, s3, s2
	s_mul_hi_u32 s2, s1, s66
	s_mul_i32 s2, s2, s33
	s_sub_i32 s1, s1, s2
	s_ashr_i32 s0, s86, 31
	s_sub_i32 s2, s1, s33
	s_cmp_ge_u32 s1, s33
	s_cselect_b32 s1, s2, s1
	s_sub_i32 s2, s1, s33
	s_cmp_ge_u32 s1, s33
	s_cselect_b32 s1, s2, s1
	s_xor_b32 s1, s1, s0
	s_sub_i32 s36, s1, s0
	v_readlane_b32 s0, v222, 10
	s_mov_b32 s8, s0
	s_sub_i32 s0, s0, s86
	s_add_i32 s2, s0, s36
	s_min_i32 s87, s6, s2
	s_cmp_gt_i32 s8, s86
	v_readlane_b32 s1, v222, 11
	s_cselect_b64 s[4:5], -1, 0
	s_cmp_le_i32 s8, s86
	s_cselect_b64 s[0:1], -1, 0
	s_cmp_gt_i32 s6, s2
	s_cselect_b64 s[2:3], -1, 0
	s_or_b64 s[0:1], s[2:3], s[0:1]
	s_and_b64 vcc, exec, s[0:1]
	s_cbranch_vccz .LBB19_11
; %bb.9:
	s_andn2_b64 vcc, exec, s[4:5]
	s_cbranch_vccz .LBB19_254
.LBB19_10:
	s_endpgm
.LBB19_11:
	v_and_b32_e32 v36, 15, v0
	s_movk_i32 s0, 0xf0
	v_and_b32_e32 v3, 0x3f0, v107
	v_bfe_u32 v6, v0, 1, 9
	v_and_b32_e32 v38, 0x3ff, v0
	v_mad_u32_u24 v4, v3, s0, 0
	v_mul_u32_u24_e32 v5, 0xf0, v36
	v_and_b32_e32 v7, 0x78, v6
	v_lshl_add_u32 v43, v104, 5, v6
	v_bfe_u32 v6, v0, 2, 8
	v_lshlrev_b32_e32 v10, 2, v38
	v_add3_u32 v41, v4, v5, v7
	v_and_b32_e32 v4, 48, v106
	v_add_u32_e32 v49, v6, v106
	v_and_b32_e32 v40, 12, v10
	v_mad_u32_u24 v8, v4, s0, 0
	v_mad_u32_u24 v9, v49, s0, 0
	v_lshlrev_b32_e32 v11, 2, v40
	s_movk_i32 s1, 0x80
	v_and_b32_e32 v42, 4, v10
	v_add3_u32 v109, v9, v11, s1
	v_add3_u32 v110, v8, v5, v7
	v_mad_u32_u24 v5, v43, s0, 0
	v_lshlrev_b32_e32 v9, 2, v42
	s_movk_i32 s1, 0xc0
	v_add3_u32 v111, v5, v9, s1
	v_and_b32_e32 v5, 60, v6
	v_add_u32_e32 v112, v5, v4
	v_add_u16_e32 v4, v5, v4
	v_or_b32_e32 v3, v3, v36
	v_lshrrev_b16_e32 v4, 1, v4
	v_bfe_u32 v2, v0, 3, 7
	v_mul_u32_u24_e32 v3, 0x90, v3
	v_lshlrev_b32_e32 v4, 2, v4
	v_add3_u32 v113, 0, v3, v4
	v_lshlrev_b32_e32 v3, 1, v2
	v_or_b32_e32 v4, 3, v3
	v_or_b32_e32 v5, 2, v3
	v_and_b32_e32 v3, 60, v3
	v_mul_u32_u24_e32 v3, 0xf0, v3
	v_lshlrev_b32_e32 v6, 1, v36
	v_add3_u32 v114, v8, v3, v6
	v_bfe_u32 v3, v0, 10, 2
	v_writelane_b32 v222, s69, 25
	v_cmp_eq_u32_e64 s[2:3], 0, v3
	v_mul_u32_u24_e32 v4, 0xf0, v4
	v_mul_u32_u24_e32 v5, 0xf0, v5
	v_writelane_b32 v222, s2, 26
	v_add3_u32 v116, v8, v4, v6
	s_movk_i32 s1, 0x3c0
	v_writelane_b32 v222, s3, 27
	v_cmp_ne_u32_e64 s[2:3], 0, v3
	v_or_b32_e32 v3, v106, v36
	v_mul_u32_u24_e32 v3, 0xf0, v3
	v_add3_u32 v117, 0, v3, v7
	v_lshrrev_b32_e32 v3, 10, v0
	v_bfe_u32 v3, v3, 1, 9
	v_add_u32_e32 v118, v3, v105
	v_lshlrev_b32_e32 v3, 2, v118
	v_and_b32_e32 v4, 15, v118
	v_add_u32_e32 v121, 2, v118
	v_add3_u32 v115, v8, v5, v6
	v_and_or_b32 v3, v3, s1, v4
	v_lshlrev_b32_e32 v4, 2, v121
	v_and_b32_e32 v5, 15, v121
	s_movk_i32 s1, 0x7c0
	v_add_u32_e32 v122, 4, v118
	v_writelane_b32 v222, s2, 28
	v_and_or_b32 v4, v4, s1, v5
	v_lshlrev_b32_e32 v5, 2, v122
	v_and_b32_e32 v6, 15, v122
	v_add_u32_e32 v123, 6, v118
	s_cmp_lg_u64 s[50:51], 0
	v_writelane_b32 v222, s3, 29
	v_and_or_b32 v5, v5, s1, v6
	v_lshlrev_b32_e32 v6, 2, v123
	v_and_b32_e32 v7, 15, v123
	v_add_u32_e32 v124, 8, v118
	s_cselect_b64 s[2:3], -1, 0
	v_and_or_b32 v6, v6, s1, v7
	v_lshlrev_b32_e32 v7, 2, v124
	v_and_b32_e32 v8, 15, v124
	v_add_u32_e32 v125, 10, v118
	v_writelane_b32 v222, s2, 30
	s_cmp_eq_u64 s[52:53], 0
	v_and_or_b32 v7, v7, s1, v8
	v_lshlrev_b32_e32 v8, 2, v125
	v_and_b32_e32 v9, 15, v125
	v_add_u32_e32 v126, 12, v118
	v_writelane_b32 v222, s3, 31
	s_cselect_b64 s[2:3], -1, 0
	v_bfe_u32 v1, v0, 4, 6
	v_and_or_b32 v8, v8, s1, v9
	v_lshlrev_b32_e32 v9, 2, v126
	v_and_b32_e32 v11, 15, v126
	v_add_u32_e32 v127, 14, v118
	v_writelane_b32 v222, s2, 32
	s_cmp_lg_u64 s[54:55], 0
	v_add_u32_e32 v119, v1, v104
	v_and_or_b32 v9, v9, s1, v11
	v_lshlrev_b32_e32 v11, 2, v127
	v_and_b32_e32 v12, 15, v127
	v_writelane_b32 v222, s3, 33
	s_cselect_b64 s[2:3], -1, 0
	v_and_or_b32 v11, v11, s1, v12
	v_lshlrev_b32_e32 v12, 2, v119
	v_and_b32_e32 v13, 15, v119
	v_add_u32_e32 v128, 4, v119
	v_writelane_b32 v222, s2, 34
	v_and_or_b32 v12, v12, s1, v13
	v_lshlrev_b32_e32 v13, 2, v128
	v_and_b32_e32 v14, 15, v128
	s_movk_i32 s1, 0xfc0
	v_add_u32_e32 v129, 8, v119
	v_writelane_b32 v222, s3, 35
	s_lshl_b32 s94, s68, 4
	v_and_or_b32 v13, v13, s1, v14
	v_lshlrev_b32_e32 v14, 2, v129
	v_and_b32_e32 v15, 15, v129
	v_add_u32_e32 v130, 12, v119
	s_ashr_i32 s71, s70, 31
	s_ashr_i32 s75, s74, 31
	;; [unrolled: 1-line block ×3, first 2 shown]
	v_writelane_b32 v222, s68, 36
	s_lshl_b64 s[2:3], s[94:95], 3
	v_add_u32_e32 v120, v35, v2
	v_and_or_b32 v14, v14, s1, v15
	v_lshlrev_b32_e32 v15, 2, v130
	v_and_b32_e32 v16, 15, v130
	s_add_u32 s2, s58, s2
	v_readlane_b32 s15, v222, 7
	v_and_or_b32 v15, v15, s1, v16
	v_lshlrev_b32_e32 v16, 2, v120
	v_and_b32_e32 v17, 15, v120
	s_addc_u32 s3, s59, s3
	s_abs_i32 s16, s15
	v_and_or_b32 v16, v16, s1, v17
	v_cvt_f32_u32_e32 v17, s16
	v_add_u32_e32 v131, 8, v120
	s_movk_i32 s1, 0x1fc0
	v_lshlrev_b32_e32 v18, 2, v131
	v_rcp_iflag_f32_e32 v17, v17
	v_and_b32_e32 v20, 15, v131
	v_and_or_b32 v18, v18, s1, v20
	s_mov_b32 s4, s12
	v_mul_f32_e32 v17, 0x4f7ffffe, v17
	v_cvt_u32_f32_e32 v17, v17
	v_readlane_b32 s14, v222, 6
	v_readlane_b32 s13, v222, 3
	v_writelane_b32 v222, s4, 37
	v_readfirstlane_b32 s1, v17
	v_or_b32_e32 v17, v107, v38
	v_lshlrev_b32_e32 v44, 3, v17
	v_mov_b32_e32 v45, 0
	v_writelane_b32 v222, s5, 38
	v_lshl_add_u64 v[46:47], s[2:3], 0, v[44:45]
	s_mul_i32 s2, s60, s61
	v_writelane_b32 v222, s2, 39
	s_mov_b64 s[10:11], s[18:19]
	s_mov_b32 s9, s17
	s_abs_i32 s20, s14
	v_writelane_b32 v222, s8, 40
	v_cvt_f32_u32_e32 v19, s20
	v_cmp_nle_f32_e64 s[2:3], s17, 0
	v_writelane_b32 v222, s9, 41
	v_writelane_b32 v222, s10, 42
	;; [unrolled: 1-line block ×4, first 2 shown]
	v_lshl_add_u32 v133, v104, 3, v2
	v_rcp_iflag_f32_e32 v19, v19
	s_abs_i32 s21, s13
	v_writelane_b32 v222, s3, 45
	v_cmp_gt_u32_e64 s[6:7], 16, v133
	v_cvt_f32_u32_e32 v20, s21
	s_mul_i32 s3, s61, 56
	v_writelane_b32 v222, s6, 46
	s_abs_i32 s22, s12
	v_mul_f32_e32 v19, 0x4f7ffffe, v19
	v_writelane_b32 v222, s7, 47
	v_writelane_b32 v222, s3, 48
	s_ashr_i32 s3, s15, 31
	v_writelane_b32 v222, s3, 49
	s_sub_i32 s3, 0, s16
	v_cvt_f32_u32_e32 v21, s22
	v_rcp_iflag_f32_e32 v20, v20
	v_cvt_u32_f32_e32 v19, v19
	s_mul_i32 s3, s3, s1
	s_mul_hi_u32 s3, s1, s3
	v_writelane_b32 v222, s16, 50
	s_add_i32 s1, s1, s3
	v_writelane_b32 v222, s1, 51
	s_ashr_i32 s1, s14, 31
	v_rcp_iflag_f32_e32 v21, v21
	v_mul_f32_e32 v20, 0x4f7ffffe, v20
	v_readfirstlane_b32 s4, v19
	v_writelane_b32 v222, s1, 52
	s_sub_i32 s1, 0, s20
	v_cvt_u32_f32_e32 v20, v20
	s_mul_i32 s1, s1, s4
	s_mul_hi_u32 s1, s4, s1
	v_and_b32_e32 v48, 28, v10
	v_add_u32_e32 v134, 32, v133
	v_writelane_b32 v222, s20, 53
	s_add_i32 s1, s4, s1
	v_mul_f32_e32 v21, 0x4f7ffffe, v21
	v_add_u32_e32 v132, v107, v1
	v_lshlrev_b32_e32 v1, 2, v48
	v_mul_u32_u24_e32 v2, 0xf0, v134
	v_writelane_b32 v222, s1, 54
	s_ashr_i32 s1, s13, 31
	v_cvt_u32_f32_e32 v21, v21
	v_readfirstlane_b32 s5, v20
	v_add3_u32 v135, 0, v2, v1
	v_mad_u32_u24 v2, v133, s0, 0
	v_and_b32_e32 v50, 7, v0
	v_writelane_b32 v222, s1, 55
	s_sub_i32 s1, 0, s21
	v_add_u32_e32 v136, v2, v1
	v_lshlrev_b32_e32 v1, 2, v50
	s_mul_i32 s1, s1, s5
	v_and_b32_e32 v17, 1, v0
	v_add_u32_e32 v137, v2, v1
	v_mul_u32_u24_e32 v2, 0x90, v104
	v_lshlrev_b32_e32 v52, 1, v38
	v_mul_lo_u32 v62, s62, v43
	s_mul_hi_u32 s1, s5, s1
	v_lshlrev_b32_e32 v44, 4, v17
	v_add3_u32 v138, 0, v2, v52
	v_ashrrev_i32_e32 v63, 31, v62
	v_add_u32_e32 v2, v106, v38
	v_writelane_b32 v222, s21, 56
	s_add_i32 s1, s5, s1
	v_readfirstlane_b32 s12, v21
	v_mul_u32_u24_e32 v139, 0xf0, v2
	v_mul_u32_u24_e32 v141, 0xf0, v3
	v_writelane_b32 v222, s1, 57
	s_sub_i32 s1, 0, s22
	v_lshl_add_u64 v[2:3], v[62:63], 2, v[44:45]
	v_mul_lo_u32 v68, s62, v49
	v_add_u32_e32 v140, 0, v1
	s_mul_i32 s1, s1, s12
	v_lshl_add_u64 v[2:3], s[48:49], 0, v[2:3]
	s_mov_b64 s[4:5], 0xc0
	v_and_b32_e32 v1, 3, v0
	v_mul_lo_u32 v54, s74, v49
	v_ashrrev_i32_e32 v69, 31, v68
	s_mul_hi_u32 s1, s12, s1
	v_lshl_add_u64 v[70:71], v[2:3], 0, s[4:5]
	v_lshlrev_b32_e32 v2, 4, v1
	v_mov_b32_e32 v3, v45
	v_ashrrev_i32_e32 v55, 31, v54
	v_mul_u32_u24_e32 v142, 0xf0, v4
	v_mul_u32_u24_e32 v143, 0xf0, v5
	v_writelane_b32 v222, s22, 58
	s_add_i32 s1, s12, s1
	v_lshl_add_u64 v[4:5], v[68:69], 2, v[2:3]
	v_lshl_add_u32 v158, v36, 2, 0
	v_mul_lo_u32 v56, s74, v133
	v_writelane_b32 v222, s1, 59
	v_lshl_add_u64 v[4:5], s[48:49], 0, v[4:5]
	s_mov_b64 s[90:91], 0x80
	v_lshl_add_u64 v[2:3], v[54:55], 2, v[2:3]
	v_mad_u32_u24 v159, v132, s0, v158
	v_cmp_gt_u32_e64 s[0:1], 16, v38
	v_ashrrev_i32_e32 v57, 31, v56
	v_lshl_add_u32 v58, s74, 5, v56
	v_lshl_add_u64 v[72:73], v[4:5], 0, s[90:91]
	v_lshlrev_b32_e32 v4, 4, v50
	v_mov_b32_e32 v5, v45
	v_lshl_add_u64 v[2:3], s[46:47], 0, v[2:3]
	v_writelane_b32 v222, s0, 60
	v_ashrrev_i32_e32 v59, 31, v58
	v_mul_lo_u32 v60, s74, v43
	v_mul_lo_u32 v66, s62, v133
	v_lshl_add_u64 v[78:79], v[2:3], 0, s[90:91]
	v_lshl_add_u64 v[2:3], v[56:57], 2, v[4:5]
	v_writelane_b32 v222, s1, 61
	s_mov_b32 s0, s70
	v_ashrrev_i32_e32 v61, 31, v60
	v_mul_lo_u32 v64, s62, v134
	v_ashrrev_i32_e32 v67, 31, v66
	v_lshl_add_u64 v[80:81], s[46:47], 0, v[2:3]
	v_lshl_add_u64 v[2:3], v[58:59], 2, v[4:5]
	v_writelane_b32 v222, s0, 62
	v_ashrrev_i32_e32 v65, 31, v64
	v_mul_u32_u24_e32 v144, 0xf0, v6
	v_mul_u32_u24_e32 v145, 0xf0, v7
	v_lshl_add_u64 v[6:7], v[66:67], 2, v[4:5]
	v_lshl_add_u64 v[82:83], s[46:47], 0, v[2:3]
	;; [unrolled: 1-line block ×3, first 2 shown]
	v_writelane_b32 v222, s1, 63
	s_lshl_b64 s[0:1], s[70:71], 1
                                        ; implicit-def: $vgpr221 : SGPR spill to VGPR lane
	s_mov_b32 s2, 0x10001
	v_lshl_add_u64 v[74:75], s[48:49], 0, v[6:7]
	v_lshl_add_u64 v[6:7], v[64:65], 2, v[4:5]
	;; [unrolled: 1-line block ×3, first 2 shown]
	v_add_u32_e32 v156, v35, v105
	v_writelane_b32 v221, s0, 0
	s_mov_b64 s[96:97], src_private_base
	v_cmp_gt_u32_e64 s[6:7], 64, v38
	v_cmp_gt_u32_e64 s[8:9], 64, v43
	;; [unrolled: 1-line block ×3, first 2 shown]
	v_mul_u32_u24_e32 v146, 0xf0, v8
	v_mul_u32_u24_e32 v147, 0xf0, v9
	;; [unrolled: 1-line block ×9, first 2 shown]
	v_mov_b32_e32 v37, v45
	v_mov_b32_e32 v51, v45
	;; [unrolled: 1-line block ×3, first 2 shown]
	v_lshl_add_u64 v[76:77], s[48:49], 0, v[6:7]
	v_lshl_add_u64 v[84:85], v[2:3], 0, s[4:5]
	s_mov_b32 s61, 0x42b17218
	s_mov_b32 s88, 0x3fb8aa3b
	s_mov_b32 s89, 0xc2ce8ed0
	v_mov_b32_e32 v2, v45
	v_mov_b32_e32 v3, v45
	;; [unrolled: 1-line block ×3, first 2 shown]
	s_mov_b32 s78, 0xc1a00000
	v_mul_lo_u32 v155, v39, s2
	v_lshl_add_u32 v157, v34, 2, 0
	s_mov_b32 s79, 0x5040100
	v_add_u32_e32 v160, 4, v104
	v_add_u32_e32 v161, 0x240, v138
	;; [unrolled: 1-line block ×6, first 2 shown]
	v_or_b32_e32 v166, 1, v112
	v_or_b32_e32 v167, 2, v112
	;; [unrolled: 1-line block ×3, first 2 shown]
	v_mul_u32_u24_e32 v169, 0xf0, v156
	v_add_u32_e32 v170, 8, v156
	v_mov_b32_e32 v171, 0x3e91f4c4
	v_mov_b32_e32 v172, 0x37000000
	;; [unrolled: 1-line block ×4, first 2 shown]
	v_mbcnt_hi_u32_b32 v175, -1, v108
	v_mov_b32_e32 v176, 0
	v_cmp_gt_u32_e64 s[12:13], 64, v133
	v_cmp_gt_u32_e64 s[14:15], 32, v133
	;; [unrolled: 1-line block ×6, first 2 shown]
	v_writelane_b32 v221, s1, 1
	s_lshl_b64 s[2:3], s[62:63], 8
	s_lshl_b64 s[98:99], s[74:75], 8
                                        ; implicit-def: $vgpr1
	v_writelane_b32 v221, s66, 2
	s_branch .LBB19_14
.LBB19_12:                              ;   in Loop: Header=BB19_14 Depth=1
	s_or_b64 exec, exec, s[4:5]
	s_barrier
.LBB19_13:                              ;   in Loop: Header=BB19_14 Depth=1
	v_readlane_b32 s24, v222, 1
	s_add_i32 s0, s86, s24
	s_abs_i32 s4, s0
	v_readlane_b32 s66, v221, 2
	s_mul_hi_u32 s5, s4, s66
	s_mul_i32 s5, s5, s33
	s_sub_i32 s4, s4, s5
	s_ashr_i32 s1, s0, 31
	s_sub_i32 s5, s4, s33
	s_cmp_ge_u32 s4, s33
	s_cselect_b32 s4, s5, s4
	s_sub_i32 s5, s4, s33
	s_cmp_ge_u32 s4, s33
	s_cselect_b32 s4, s5, s4
	s_xor_b32 s4, s4, s1
	s_sub_i32 s1, s1, s4
	s_add_i32 s86, s0, s1
	v_readlane_b32 s0, v222, 10
	s_mov_b32 s4, s0
	s_sub_i32 s0, s0, s86
	s_min_i32 s87, s24, s0
	s_cmp_gt_i32 s4, s86
	v_readlane_b32 s1, v222, 11
	s_cselect_b64 s[4:5], -1, 0
	s_cmp_le_i32 s24, s0
	s_cselect_b64 s[0:1], -1, 0
	s_and_b64 s[0:1], s[0:1], s[4:5]
	s_mov_b32 s36, 0
	s_and_b64 vcc, exec, s[0:1]
	s_cbranch_vccz .LBB19_253
.LBB19_14:                              ; =>This Loop Header: Depth=1
                                        ;     Child Loop BB19_161 Depth 2
                                        ;     Child Loop BB19_40 Depth 2
	s_ashr_i32 s0, s86, 31
	v_readlane_b32 s1, v222, 49
	s_xor_b32 s0, s0, s1
	s_abs_i32 s1, s86
	v_readlane_b32 s4, v222, 51
	s_mul_hi_u32 s4, s1, s4
	v_readlane_b32 s25, v222, 50
	s_mul_i32 s5, s4, s25
	s_sub_i32 s1, s1, s5
	s_add_i32 s5, s4, 1
	s_sub_i32 s24, s1, s25
	s_cmp_ge_u32 s1, s25
	s_cselect_b32 s4, s5, s4
	s_cselect_b32 s1, s24, s1
	s_add_i32 s5, s4, 1
	s_cmp_ge_u32 s1, s25
	s_cselect_b32 s1, s5, s4
	s_xor_b32 s1, s1, s0
	v_readlane_b32 s4, v222, 30
	s_sub_i32 s0, s1, s0
	v_readlane_b32 s5, v222, 31
	s_ashr_i32 s1, s0, 31
	s_andn2_b64 vcc, exec, s[4:5]
	s_mov_b64 s[4:5], 0
	s_cbranch_vccnz .LBB19_16
; %bb.15:                               ;   in Loop: Header=BB19_14 Depth=1
	s_abs_i32 s4, s0
	v_readlane_b32 s5, v222, 59
	s_mul_hi_u32 s5, s4, s5
	v_readlane_b32 s24, v222, 58
	s_mul_i32 s5, s5, s24
	s_sub_i32 s4, s4, s5
	s_sub_i32 s5, s4, s24
	s_cmp_ge_u32 s4, s24
	s_cselect_b32 s4, s5, s4
	s_sub_i32 s5, s4, s24
	s_cmp_ge_u32 s4, s24
	s_cselect_b32 s4, s5, s4
	s_xor_b32 s4, s4, s1
	s_sub_i32 s4, s4, s1
	s_ashr_i32 s5, s4, 31
	v_readlane_b32 s26, v222, 15
	v_readlane_b32 s27, v222, 16
	s_mul_i32 s5, s26, s5
	s_mul_hi_u32 s24, s26, s4
	s_add_i32 s5, s24, s5
	s_mul_i32 s24, s27, s4
	s_add_i32 s5, s5, s24
	s_mul_i32 s4, s26, s4
	s_add_u32 s4, s50, s4
	s_addc_u32 s5, s51, s5
.LBB19_16:                              ;   in Loop: Header=BB19_14 Depth=1
	v_readlane_b32 s24, v222, 7
	s_mul_i32 s24, s0, s24
	s_sub_i32 s24, s86, s24
	s_ashr_i32 s25, s24, 31
	v_readlane_b32 s26, v222, 52
	s_xor_b32 s25, s25, s26
	s_abs_i32 s26, s24
	v_readlane_b32 s27, v222, 54
	s_mul_hi_u32 s27, s26, s27
	v_readlane_b32 s30, v222, 53
	s_mul_i32 s28, s27, s30
	s_sub_i32 s26, s26, s28
	s_add_i32 s28, s27, 1
	s_sub_i32 s29, s26, s30
	s_cmp_ge_u32 s26, s30
	s_cselect_b32 s27, s28, s27
	s_cselect_b32 s26, s29, s26
	s_add_i32 s28, s27, 1
	s_cmp_ge_u32 s26, s30
	s_cselect_b32 s26, s28, s27
	s_xor_b32 s26, s26, s25
	s_sub_i32 s30, s26, s25
	v_readlane_b32 s25, v222, 6
	s_mul_i32 s25, s30, s25
	s_sub_i32 s25, s24, s25
	s_ashr_i32 s24, s25, 31
	v_readlane_b32 s26, v222, 55
	s_xor_b32 s24, s24, s26
	s_abs_i32 s26, s25
	v_readlane_b32 s27, v222, 57
	s_mul_hi_u32 s27, s26, s27
	v_readlane_b32 s31, v222, 56
	s_mul_i32 s28, s27, s31
	s_sub_i32 s26, s26, s28
	s_add_i32 s28, s27, 1
	s_sub_i32 s29, s26, s31
	s_cmp_ge_u32 s26, s31
	s_cselect_b32 s27, s28, s27
	s_cselect_b32 s26, s29, s26
	s_add_i32 s28, s27, 1
	s_cmp_ge_u32 s26, s31
	s_cselect_b32 s26, s28, s27
	s_xor_b32 s26, s26, s24
	s_sub_i32 s31, s26, s24
	v_readlane_b32 s24, v222, 2
	v_readlane_b32 s26, v222, 44
	s_mul_i32 s24, s30, s24
	v_readlane_b32 s27, v222, 45
	s_add_i32 s24, s24, s31
	s_andn2_b64 vcc, exec, s[26:27]
	v_mov_b32_e32 v86, 1.0
	s_cbranch_vccnz .LBB19_18
; %bb.17:                               ;   in Loop: Header=BB19_14 Depth=1
	v_readlane_b32 s26, v222, 12
	v_readlane_b32 s40, v222, 40
	;; [unrolled: 1-line block ×3, first 2 shown]
	v_mov_b32_e32 v1, s26
	v_sub_co_u32_e32 v1, vcc, s24, v1
	s_add_i32 s26, s24, 1
	v_lshlrev_b32_e32 v1, 1, v1
	v_mov_b32_e32 v7, s26
	v_or_b32_e32 v1, 1, v1
	v_readlane_b32 s43, v222, 43
	v_cndmask_b32_e32 v1, v1, v7, vcc
	s_mov_b64 s[38:39], s[42:43]
	v_cvt_f32_i32_e32 v1, v1
	v_mov_b32_e32 v6, s39
	v_mov_b32_e32 v7, s38
	v_cndmask_b32_e32 v6, v6, v7, vcc
	v_cmp_neq_f32_e32 vcc, 1.0, v6
	s_mov_b32 s26, 0x3f2aaaab
	s_movk_i32 s28, 0x204
	v_cndmask_b32_e32 v1, 1.0, v1, vcc
	v_cmp_neq_f32_e32 vcc, 0, v1
	s_brev_b32 s37, -2
	v_readlane_b32 s41, v222, 41
	v_cndmask_b32_e32 v22, 1.0, v6, vcc
	v_frexp_mant_f32_e64 v6, |v22|
	v_cmp_gt_f32_e32 vcc, s26, v6
	s_mov_b32 s26, 0x3f317218
	v_cmp_class_f32_e64 s[34:35], v22, s28
	v_cndmask_b32_e64 v7, 1.0, 2.0, vcc
	v_mul_f32_e32 v6, v6, v7
	v_add_f32_e32 v9, 1.0, v6
	v_rcp_f32_e32 v14, v9
	v_add_f32_e32 v7, -1.0, v9
	v_sub_f32_e32 v11, v6, v7
	v_add_f32_e32 v7, -1.0, v6
	v_mul_f32_e32 v15, v7, v14
	v_mul_f32_e32 v8, v9, v15
	v_fma_f32 v10, v15, v9, -v8
	v_fmac_f32_e32 v10, v15, v11
	v_add_f32_e32 v6, v8, v10
	v_sub_f32_e32 v9, v7, v6
	v_pk_add_f32 v[12:13], v[6:7], v[8:9] neg_lo:[0,1] neg_hi:[0,1]
	v_mov_b32_e32 v11, v6
	v_pk_add_f32 v[6:7], v[12:13], v[10:11] neg_lo:[0,1] neg_hi:[0,1]
	s_nop 0
	v_add_f32_e32 v6, v6, v7
	v_add_f32_e32 v6, v9, v6
	v_mul_f32_e32 v7, v14, v6
	v_add_f32_e32 v6, v15, v7
	v_sub_f32_e32 v8, v6, v15
	v_sub_f32_e32 v16, v7, v8
	v_mul_f32_e32 v7, v6, v6
	v_fma_f32 v9, v6, v6, -v7
	v_add_f32_e32 v8, v16, v16
	v_fmac_f32_e32 v9, v6, v8
	v_add_f32_e32 v8, v7, v9
	v_fmamk_f32 v10, v8, 0x3e76c4e1, v171
	v_fmaak_f32 v10, v8, v10, 0x3ecccdef
	v_sub_f32_e32 v7, v8, v7
	v_sub_f32_e32 v17, v9, v7
	v_mul_f32_e32 v7, v8, v10
	v_fma_f32 v9, v8, v10, -v7
	v_fmac_f32_e32 v9, v17, v10
	v_add_f32_e32 v10, v7, v9
	v_add_f32_e32 v11, 0x3f2aaaaa, v10
	v_sub_f32_e32 v7, v10, v7
	v_sub_f32_e32 v7, v9, v7
	v_add_f32_e32 v9, 0xbf2aaaaa, v11
	v_add_f32_e32 v7, 0x31739010, v7
	v_sub_f32_e32 v9, v10, v9
	v_pk_mul_f32 v[12:13], v[6:7], v[8:9]
	v_pk_add_f32 v[14:15], v[6:7], v[8:9]
	v_fma_f32 v10, v8, v6, -v12
	v_fmac_f32_e32 v10, v8, v16
	v_mov_b32_e32 v13, v15
	v_fmac_f32_e32 v10, v17, v6
	v_pk_add_f32 v[8:9], v[12:13], v[10:11]
	v_ldexp_f32 v18, v16, 1
	v_sub_f32_e32 v7, v8, v12
	v_sub_f32_e32 v7, v10, v7
	;; [unrolled: 1-line block ×3, first 2 shown]
	v_add_f32_e32 v14, v15, v10
	v_pk_mul_f32 v[10:11], v[8:9], v[8:9] op_sel:[0,1] op_sel_hi:[1,0]
	v_cvt_f64_f32_e64 v[12:13], |v22|
	v_frexp_exp_i32_f64_e32 v11, v[12:13]
	v_subbrev_co_u32_e32 v11, vcc, 0, v11, vcc
	v_cvt_f32_i32_e32 v11, v11
	v_fma_f32 v12, v8, v9, -v10
	v_fmac_f32_e32 v12, v8, v14
	v_fmac_f32_e32 v12, v7, v9
	v_mul_f32_e32 v8, 0x3f317218, v11
	v_fma_f32 v14, v11, s26, -v8
	v_fmac_f32_e32 v14, 0xb102e308, v11
	v_ldexp_f32 v15, v6, 1
	v_add_f32_e32 v9, v10, v12
	v_pk_add_f32 v[6:7], v[8:9], v[14:15]
	v_mov_b32_e32 v16, v9
	v_mov_b32_e32 v17, v7
	;; [unrolled: 1-line block ×3, first 2 shown]
	v_pk_add_f32 v[10:11], v[16:17], v[10:11] neg_lo:[0,1] neg_hi:[0,1]
	v_mov_b32_e32 v13, v9
	v_pk_add_f32 v[10:11], v[12:13], v[10:11] neg_lo:[0,1] neg_hi:[0,1]
	v_mov_b32_e32 v15, v6
	v_add_f32_e32 v9, v18, v10
	v_add_f32_e32 v9, v9, v11
	v_pk_add_f32 v[10:11], v[6:7], v[8:9] neg_lo:[0,1] neg_hi:[0,1]
	v_pk_add_f32 v[12:13], v[6:7], v[8:9]
	v_mov_b32_e32 v20, v7
	v_mov_b32_e32 v11, v13
	v_pk_add_f32 v[16:17], v[14:15], v[10:11] neg_lo:[0,1] neg_hi:[0,1]
	v_pk_add_f32 v[10:11], v[14:15], v[10:11]
	v_mov_b32_e32 v8, v9
	v_pk_add_f32 v[14:15], v[10:11], v[6:7] op_sel:[1,0] op_sel_hi:[0,1] neg_lo:[0,1] neg_hi:[0,1]
	v_pk_add_f32 v[18:19], v[12:13], v[14:15] op_sel_hi:[1,0] neg_lo:[0,1] neg_hi:[0,1]
	v_mov_b32_e32 v12, v13
	v_mov_b32_e32 v13, v11
	;; [unrolled: 1-line block ×3, first 2 shown]
	v_pk_add_f32 v[12:13], v[12:13], v[20:21] neg_lo:[0,1] neg_hi:[0,1]
	v_mov_b32_e32 v9, v6
	v_pk_add_f32 v[6:7], v[8:9], v[12:13] neg_lo:[0,1] neg_hi:[0,1]
	v_mov_b32_e32 v18, v16
	v_pk_add_f32 v[8:9], v[18:19], v[6:7]
	v_mov_b32_e32 v17, v11
	v_pk_add_f32 v[12:13], v[8:9], v[8:9] op_sel:[0,1] op_sel_hi:[1,0]
	s_mov_b32 s26, 0x7f800000
	v_pk_add_f32 v[10:11], v[10:11], v[12:13] op_sel:[1,0] op_sel_hi:[0,1]
	v_mov_b32_e32 v9, v10
	v_pk_add_f32 v[14:15], v[8:9], v[16:17] neg_lo:[0,1] neg_hi:[0,1]
	v_mov_b32_e32 v7, v12
	v_sub_f32_e32 v8, v8, v14
	v_pk_add_f32 v[6:7], v[6:7], v[14:15] neg_lo:[0,1] neg_hi:[0,1]
	v_sub_f32_e32 v8, v16, v8
	v_add_f32_e32 v6, v6, v8
	v_add_f32_e32 v6, v6, v7
	;; [unrolled: 1-line block ×3, first 2 shown]
	v_sub_f32_e32 v8, v7, v10
	v_sub_f32_e32 v6, v6, v8
	v_mul_f32_e32 v8, v1, v7
	v_fma_f32 v7, v1, v7, -v8
	v_fmac_f32_e32 v7, v1, v6
	v_add_f32_e32 v6, v8, v7
	v_cmp_class_f32_e64 vcc, v8, s28
	v_sub_f32_e32 v9, v6, v8
	v_sub_f32_e32 v7, v7, v9
	v_cndmask_b32_e32 v6, v6, v8, vcc
	v_cmp_eq_f32_e32 vcc, s61, v6
	s_nop 1
	v_cndmask_b32_e32 v8, 0, v172, vcc
	v_sub_f32_e32 v9, v6, v8
	v_mul_f32_e32 v10, 0x3fb8aa3b, v9
	v_fma_f32 v11, v9, s88, -v10
	v_rndne_f32_e32 v12, v10
	v_fmac_f32_e32 v11, 0x32a5705f, v9
	v_sub_f32_e32 v10, v10, v12
	v_add_f32_e32 v10, v10, v11
	v_exp_f32_e32 v10, v10
	v_cvt_i32_f32_e32 v11, v12
	v_cmp_neq_f32_e64 vcc, |v6|, s26
	s_nop 1
	v_cndmask_b32_e32 v6, 0, v7, vcc
	v_ldexp_f32 v7, v10, v11
	v_cmp_ngt_f32_e32 vcc, s89, v9
	v_add_f32_e32 v6, v8, v6
	s_nop 0
	v_cndmask_b32_e32 v7, 0, v7, vcc
	v_cmp_nlt_f32_e32 vcc, s61, v9
	s_nop 1
	v_cndmask_b32_e32 v7, v173, v7, vcc
	v_fma_f32 v6, v7, v6, v7
	v_cmp_class_f32_e64 vcc, v7, s28
	v_cmp_gt_f32_e64 s[28:29], 0, v1
	s_nop 0
	v_cndmask_b32_e32 v6, v6, v7, vcc
	v_trunc_f32_e32 v7, v1
	v_cmp_eq_f32_e32 vcc, v7, v1
	v_mul_f32_e32 v7, 0.5, v1
	v_trunc_f32_e32 v8, v7
	v_cmp_neq_f32_e64 s[26:27], v8, v7
	s_and_b64 s[26:27], vcc, s[26:27]
	s_nop 0
	v_cndmask_b32_e64 v7, 1.0, v22, s[26:27]
	v_bfi_b32 v6, s37, v6, v7
	v_cndmask_b32_e32 v7, v174, v6, vcc
	v_cmp_gt_f32_e32 vcc, 0, v22
	s_nop 1
	v_cndmask_b32_e32 v6, v6, v7, vcc
	v_cmp_eq_f32_e32 vcc, 0, v22
	s_xor_b64 s[28:29], s[28:29], vcc
	v_cndmask_b32_e64 v1, v173, 0, s[28:29]
	v_cndmask_b32_e64 v7, 0, v22, s[26:27]
	v_bfi_b32 v1, s37, v1, v7
	s_or_b64 vcc, vcc, s[34:35]
	v_cndmask_b32_e32 v1, v6, v1, vcc
	v_cmp_o_f32_e32 vcc, v22, v22
	s_nop 1
	v_cndmask_b32_e32 v86, v174, v1, vcc
.LBB19_18:                              ;   in Loop: Header=BB19_14 Depth=1
	v_readlane_b32 s26, v222, 3
	s_mul_i32 s31, s31, s26
	s_sub_i32 s25, s25, s31
	s_ashr_i32 s26, s25, 31
	v_readlane_b32 s27, v222, 24
	s_abs_i32 s25, s25
	s_xor_b32 s26, s26, s27
	s_mul_hi_u32 s27, s25, s66
	s_mul_i32 s28, s27, s33
	s_sub_i32 s25, s25, s28
	s_add_i32 s28, s27, 1
	s_sub_i32 s29, s25, s33
	s_cmp_ge_u32 s25, s33
	s_cselect_b32 s27, s28, s27
	s_cselect_b32 s25, s29, s25
	s_add_i32 s28, s27, 1
	s_cmp_ge_u32 s25, s33
	s_cselect_b32 s25, s28, s27
	v_readlane_b32 s28, v222, 34
	s_xor_b32 s25, s25, s26
	v_readlane_b32 s29, v222, 35
	s_andn2_b64 vcc, exec, s[28:29]
	s_sub_i32 s82, s25, s26
	s_cbranch_vccnz .LBB19_20
; %bb.19:                               ;   in Loop: Header=BB19_14 Depth=1
	v_readlane_b32 s25, v222, 0
	s_mul_i32 s25, s0, s25
	s_add_i32 s26, s82, s25
	s_ashr_i32 s27, s26, 31
	s_lshl_b64 s[26:27], s[26:27], 2
	s_add_u32 s26, s54, s26
	s_addc_u32 s27, s55, s27
	global_load_dword v1, v45, s[26:27]
	s_waitcnt vmcnt(0)
	v_readfirstlane_b32 s25, v1
	s_ashr_i32 s26, s25, 31
	s_lshr_b32 s26, s26, 26
	s_add_i32 s25, s25, s26
	s_ashr_i32 s25, s25, 6
	s_min_i32 s87, s87, s25
.LBB19_20:                              ;   in Loop: Header=BB19_14 Depth=1
	v_readlane_b32 s25, v222, 39
	s_mul_i32 s25, s25, s0
	s_add_i32 s25, s24, s25
	s_mul_i32 s94, s25, 56
	s_lshl_b64 s[26:27], s[94:95], 3
	v_readlane_b32 s28, v222, 13
	s_add_u32 s42, s56, s26
	v_readlane_b32 s29, v222, 14
	s_mul_i32 s25, s28, s1
	s_mul_hi_u32 s26, s28, s0
	s_addc_u32 s43, s57, s27
	s_add_i32 s25, s26, s25
	s_mul_i32 s26, s29, s0
	v_readlane_b32 s64, v222, 20
	s_add_i32 s73, s25, s26
	s_mul_i32 s72, s28, s0
	v_readlane_b32 s67, v222, 23
	s_add_u32 s25, s48, s72
	s_mul_i32 s68, s30, s67
	s_addc_u32 s26, s49, s73
	s_ashr_i32 s69, s68, 31
	s_add_u32 s84, s25, s68
	s_addc_u32 s85, s26, s69
	s_ashr_i32 s25, s24, 31
	s_lshl_b64 s[26:27], s[24:25], 2
	s_add_u32 s25, s52, s26
	s_addc_u32 s28, s53, s27
	v_readlane_b32 s26, v222, 32
	v_readlane_b32 s27, v222, 33
	s_and_b64 s[26:27], s[26:27], exec
	s_cselect_b32 s41, 0, s28
	v_readlane_b32 s28, v222, 8
	v_readlane_b32 s29, v222, 9
	s_cselect_b32 s40, 0, s25
	s_mul_i32 s25, s0, s29
	s_ashr_i32 s26, s25, 31
	s_add_u32 s25, s44, s25
	s_mul_i32 s24, s24, s28
	s_addc_u32 s26, s45, s26
	s_ashr_i32 s27, s24, 31
	v_readlane_b32 s65, v222, 21
	s_add_u32 s80, s25, s24
	s_mul_i32 s1, s64, s1
	s_mul_hi_u32 s24, s64, s0
	s_addc_u32 s81, s26, s27
	s_add_i32 s1, s24, s1
	s_mul_i32 s24, s65, s0
	v_readlane_b32 s26, v222, 18
	s_add_i32 s25, s1, s24
	s_mul_i32 s24, s64, s0
	v_readlane_b32 s27, v222, 19
	s_add_u32 s0, s46, s24
	s_mul_i32 s70, s30, s27
	s_addc_u32 s1, s47, s25
	s_ashr_i32 s71, s70, 31
	v_readlane_b32 s66, v222, 22
	s_add_u32 s96, s0, s70
	s_addc_u32 s66, s1, s71
	s_cmp_lg_u32 s36, 0
	s_cbranch_scc0 .LBB19_52
; %bb.21:                               ;   in Loop: Header=BB19_14 Depth=1
	s_lshl_b32 s83, s82, 4
	v_add_u32_e32 v1, s83, v156
	v_cmp_le_i32_e32 vcc, s60, v1
	s_and_saveexec_b64 s[0:1], vcc
	s_xor_b64 s[0:1], exec, s[0:1]
; %bb.22:                               ;   in Loop: Header=BB19_14 Depth=1
	v_add_u32_e32 v1, v157, v169
	ds_write_b32 v1, v45
                                        ; implicit-def: $vgpr1
; %bb.23:                               ;   in Loop: Header=BB19_14 Depth=1
	s_andn2_saveexec_b64 s[0:1], s[0:1]
	s_cbranch_execz .LBB19_25
; %bb.24:                               ;   in Loop: Header=BB19_14 Depth=1
	v_readlane_b32 s26, v222, 17
	s_nop 1
	v_mad_u64_u32 v[6:7], s[26:27], v1, s26, v[34:35]
	v_ashrrev_i32_e32 v7, 31, v6
	v_lshl_add_u64 v[6:7], v[6:7], 3, s[80:81]
	global_load_dwordx2 v[6:7], v[6:7], off
	s_waitcnt vmcnt(0)
	v_cvt_pk_f16_f32 v1, v6, v7
	v_pk_mul_f16 v1, v1, v155
	v_add_u32_e32 v6, v157, v169
	ds_write_b32 v6, v1
.LBB19_25:                              ;   in Loop: Header=BB19_14 Depth=1
	s_or_b64 exec, exec, s[0:1]
	v_add_u32_e32 v1, s83, v170
	v_cmp_le_i32_e32 vcc, s60, v1
	s_and_saveexec_b64 s[0:1], vcc
	s_xor_b64 s[0:1], exec, s[0:1]
; %bb.26:                               ;   in Loop: Header=BB19_14 Depth=1
	v_add_u32_e32 v1, v157, v169
	ds_write_b32 v1, v45 offset:1920
                                        ; implicit-def: $vgpr1
; %bb.27:                               ;   in Loop: Header=BB19_14 Depth=1
	s_andn2_saveexec_b64 s[0:1], s[0:1]
	s_cbranch_execz .LBB19_29
; %bb.28:                               ;   in Loop: Header=BB19_14 Depth=1
	v_readlane_b32 s26, v222, 17
	s_nop 1
	v_mad_u64_u32 v[6:7], s[26:27], v1, s26, v[34:35]
	v_ashrrev_i32_e32 v7, 31, v6
	v_lshl_add_u64 v[6:7], v[6:7], 3, s[80:81]
	global_load_dwordx2 v[6:7], v[6:7], off
	s_waitcnt vmcnt(0)
	v_cvt_pk_f16_f32 v1, v6, v7
	v_pk_mul_f16 v1, v1, v155
	v_add_u32_e32 v6, v157, v169
	ds_write_b32 v6, v1 offset:1920
.LBB19_29:                              ;   in Loop: Header=BB19_14 Depth=1
	s_or_b64 exec, exec, s[0:1]
	v_add_u32_e32 v1, s83, v132
	v_cmp_le_i32_e32 vcc, s60, v1
	s_and_saveexec_b64 s[0:1], vcc
	s_xor_b64 s[0:1], exec, s[0:1]
; %bb.30:                               ;   in Loop: Header=BB19_14 Depth=1
	ds_write_b32 v159, v45 offset:128
                                        ; implicit-def: $vgpr1
; %bb.31:                               ;   in Loop: Header=BB19_14 Depth=1
	s_andn2_saveexec_b64 s[0:1], s[0:1]
	s_cbranch_execz .LBB19_33
; %bb.32:                               ;   in Loop: Header=BB19_14 Depth=1
	v_readlane_b32 s26, v222, 17
	s_nop 1
	v_mul_lo_u32 v6, v1, s26
	v_ashrrev_i32_e32 v7, 31, v6
	v_lshl_add_u64 v[6:7], v[6:7], 0, v[36:37]
	v_lshl_add_u64 v[6:7], v[6:7], 3, s[80:81]
	global_load_dwordx2 v[6:7], v[6:7], off offset:256
	s_waitcnt vmcnt(0)
	v_cvt_pk_f16_f32 v1, v6, v7
	v_pk_mul_f16 v1, v1, v155
	ds_write_b32 v159, v1 offset:128
.LBB19_33:                              ;   in Loop: Header=BB19_14 Depth=1
	s_or_b64 exec, exec, s[0:1]
	s_mov_b64 s[26:27], exec
	v_readlane_b32 s0, v222, 46
	v_readlane_b32 s1, v222, 47
	s_and_b64 s[0:1], s[26:27], s[0:1]
	s_mov_b64 exec, s[0:1]
	s_cbranch_execz .LBB19_38
; %bb.34:                               ;   in Loop: Header=BB19_14 Depth=1
	v_or_b32_e32 v1, s83, v133
	v_cmp_le_i32_e32 vcc, s60, v1
	s_and_saveexec_b64 s[0:1], vcc
	s_xor_b64 s[0:1], exec, s[0:1]
; %bb.35:                               ;   in Loop: Header=BB19_14 Depth=1
	ds_write_b32 v137, v45 offset:192
                                        ; implicit-def: $vgpr1
; %bb.36:                               ;   in Loop: Header=BB19_14 Depth=1
	s_andn2_saveexec_b64 s[0:1], s[0:1]
	s_cbranch_execz .LBB19_38
; %bb.37:                               ;   in Loop: Header=BB19_14 Depth=1
	v_readlane_b32 s0, v222, 17
	s_nop 1
	v_mul_lo_u32 v6, v1, s0
	v_ashrrev_i32_e32 v7, 31, v6
	v_lshl_add_u64 v[6:7], v[6:7], 0, v[50:51]
	v_lshl_add_u64 v[6:7], v[6:7], 3, s[80:81]
	global_load_dwordx2 v[6:7], v[6:7], off offset:384
	s_waitcnt vmcnt(0)
	v_cvt_pk_f16_f32 v1, v6, v7
	v_pk_mul_f16 v1, v1, v155
	ds_write_b32 v137, v1 offset:192
.LBB19_38:                              ;   in Loop: Header=BB19_14 Depth=1
	s_or_b64 exec, exec, s[26:27]
	s_waitcnt lgkmcnt(0)
	s_barrier
	ds_read2_b64 v[14:17], v41 offset1:4
	ds_read2_b64 v[10:13], v41 offset0:8 offset1:12
	ds_read2_b64 v[6:9], v41 offset0:16 offset1:20
	ds_read_b64 v[24:25], v41 offset:192
	s_add_i32 s37, s87, -1
	s_cmp_ge_i32 s36, s37
	s_waitcnt lgkmcnt(0)
	s_barrier
	s_cbranch_scc1 .LBB19_53
; %bb.39:                               ;   in Loop: Header=BB19_14 Depth=1
	v_add_u32_e32 v1, s83, v104
	v_mul_hi_u32 v18, s76, v1
	v_add_u32_e32 v18, v1, v18
	v_lshrrev_b32_e32 v18, s77, v18
	v_mul_lo_u32 v18, v18, s60
	v_readlane_b32 s0, v222, 62
	v_sub_u32_e32 v1, v1, v18
	v_readlane_b32 s1, v222, 63
	s_mov_b32 s26, s0
	v_mad_i64_i32 v[28:29], s[0:1], v1, s26, 0
	v_add_u32_e32 v1, s83, v160
	v_mul_hi_u32 v18, s76, v1
	v_add_u32_e32 v18, v1, v18
	v_lshrrev_b32_e32 v18, s77, v18
	v_mul_lo_u32 v18, v18, s60
	v_sub_u32_e32 v1, v1, v18
	v_mad_i64_i32 v[30:31], s[0:1], v1, s26, 0
	v_add_u32_e32 v1, s83, v162
	v_mul_hi_u32 v18, s76, v1
	v_add_u32_e32 v18, v1, v18
	v_lshrrev_b32_e32 v18, s77, v18
	v_mul_lo_u32 v18, v18, s60
	v_sub_u32_e32 v1, v1, v18
	v_mad_i64_i32 v[32:33], s[0:1], v1, s26, 0
	v_add_u32_e32 v1, s83, v164
	v_mul_hi_u32 v18, s76, v1
	v_add_u32_e32 v18, v1, v18
	v_lshrrev_b32_e32 v18, s77, v18
	v_mul_lo_u32 v18, v18, s60
	v_sub_u32_e32 v1, v1, v18
	v_mad_i64_i32 v[88:89], s[0:1], v1, s26, 0
	v_and_b32_e32 v1, 64, v175
	v_add_u32_e32 v1, 64, v1
	v_xor_b32_e32 v18, 32, v175
	v_cmp_lt_i32_e32 vcc, v18, v1
	s_cmp_lg_u64 s[4:5], 0
	v_lshlrev_b32_e32 v44, 1, v38
	v_cndmask_b32_e32 v18, v175, v18, vcc
	v_lshlrev_b32_e32 v182, 2, v18
	v_xor_b32_e32 v18, 16, v175
	v_cmp_lt_i32_e32 vcc, v18, v1
	s_cselect_b64 s[28:29], -1, 0
	v_lshl_add_u64 v[26:27], s[4:5], 0, v[44:45]
	v_cndmask_b32_e32 v1, v175, v18, vcc
	v_lshlrev_b32_e32 v183, 2, v1
	v_mov_b32_e32 v90, v86
	v_mov_b32_e32 v91, v86
	s_lshl_b32 s30, s36, 6
	v_mov_b32_e32 v94, 0
	v_mov_b32_e32 v185, 0xfeffffff
	;; [unrolled: 1-line block ×16, first 2 shown]
.LBB19_40:                              ;   Parent Loop BB19_14 Depth=1
                                        ; =>  This Inner Loop Header: Depth=2
	v_cndmask_b32_e64 v1, 0, 1, s[28:29]
	v_cmp_ne_u32_e64 s[26:27], 1, v1
	s_andn2_b64 vcc, exec, s[28:29]
	s_ashr_i32 s31, s30, 31
	s_cbranch_vccnz .LBB19_44
; %bb.41:                               ;   in Loop: Header=BB19_40 Depth=2
	v_mov_b32_e32 v1, 0
	v_mov_b32_e32 v18, 0
	;; [unrolled: 1-line block ×4, first 2 shown]
	s_and_saveexec_b64 s[34:35], s[6:7]
	s_cbranch_execz .LBB19_43
; %bb.42:                               ;   in Loop: Header=BB19_40 Depth=2
	v_lshl_add_u64 v[20:21], s[30:31], 1, v[26:27]
	v_lshl_add_u64 v[18:19], v[28:29], 1, v[20:21]
	global_load_ushort v1, v[18:19], off
	v_lshl_add_u64 v[18:19], v[30:31], 1, v[20:21]
	v_lshl_add_u64 v[22:23], v[32:33], 1, v[20:21]
	;; [unrolled: 1-line block ×3, first 2 shown]
	global_load_ushort v18, v[18:19], off
	s_nop 0
	global_load_ushort v20, v[20:21], off
	s_nop 0
	global_load_ushort v19, v[22:23], off
.LBB19_43:                              ;   in Loop: Header=BB19_40 Depth=2
	s_or_b64 exec, exec, s[34:35]
	s_waitcnt vmcnt(3)
	ds_write_b16 v138, v1 offset:15360
	s_waitcnt vmcnt(2)
	ds_write_b16 v161, v18 offset:15360
	;; [unrolled: 2-line block ×3, first 2 shown]
	ds_write_b16 v165, v20 offset:15360
.LBB19_44:                              ;   in Loop: Header=BB19_40 Depth=2
	s_mul_hi_i32 s1, s30, s74
	s_mul_i32 s0, s30, s74
	s_lshl_b64 s[0:1], s[0:1], 2
	s_add_u32 s34, s96, s0
	s_addc_u32 s35, s66, s1
	scratch_store_dwordx4 off, v[2:5], off
	s_and_saveexec_b64 s[0:1], s[8:9]
	s_cbranch_execz .LBB19_46
; %bb.45:                               ;   in Loop: Header=BB19_40 Depth=2
	v_lshl_add_u64 v[18:19], v[60:61], 2, s[34:35]
	v_lshlrev_b32_e32 v44, 2, v42
	v_lshl_add_u64 v[18:19], v[18:19], 0, v[44:45]
	global_load_dwordx4 v[18:21], v[18:19], off offset:192
	s_waitcnt vmcnt(0)
	ds_write_b128 v111, v[18:21]
.LBB19_46:                              ;   in Loop: Header=BB19_40 Depth=2
	s_or_b64 exec, exec, s[0:1]
	v_lshl_add_u64 v[18:19], v[54:55], 2, s[34:35]
	v_lshlrev_b32_e32 v44, 2, v40
	v_lshl_add_u64 v[18:19], v[18:19], 0, v[44:45]
	v_lshl_add_u64 v[18:19], v[18:19], 0, s[90:91]
	v_mov_b32_e32 v1, s97
	v_cndmask_b32_e64 v19, v1, v19, s[10:11]
	v_cndmask_b32_e64 v18, v176, v18, s[10:11]
	flat_load_dwordx4 v[18:21], v[18:19]
	v_lshl_add_u64 v[22:23], v[56:57], 2, s[34:35]
	v_lshlrev_b32_e32 v92, 2, v48
	v_mov_b32_e32 v93, v45
	v_lshl_add_u64 v[22:23], v[22:23], 0, v[92:93]
	v_cndmask_b32_e64 v23, v1, v23, s[12:13]
	v_cndmask_b32_e64 v22, v176, v22, s[12:13]
	s_and_b64 vcc, exec, s[26:27]
	s_waitcnt vmcnt(0) lgkmcnt(0)
	ds_write_b128 v109, v[18:21]
	flat_load_dwordx4 v[18:21], v[22:23]
	v_lshl_add_u64 v[22:23], v[58:59], 2, s[34:35]
	v_lshl_add_u64 v[22:23], v[22:23], 0, v[92:93]
	v_cndmask_b32_e64 v23, v1, v23, s[14:15]
	v_cndmask_b32_e64 v22, v176, v22, s[14:15]
	s_waitcnt vmcnt(0) lgkmcnt(0)
	ds_write_b128 v136, v[18:21]
	flat_load_dwordx4 v[18:21], v[22:23]
	s_waitcnt vmcnt(0) lgkmcnt(0)
	ds_write_b128 v135, v[18:21]
	s_waitcnt lgkmcnt(0)
	s_barrier
	ds_read2_b64 v[18:21], v110 offset1:4
	ds_read_b64 v[22:23], v110 offset:192
	s_waitcnt lgkmcnt(1)
	v_mfma_f32_16x16x16_f16 v[186:189], v[18:19], v[14:15], 0
	v_mfma_f32_16x16x16_f16 v[18:21], v[20:21], v[16:17], v[186:189]
	s_nop 6
	ds_read2_b64 v[186:189], v110 offset0:8 offset1:12
	s_waitcnt lgkmcnt(0)
	v_mfma_f32_16x16x16_f16 v[18:21], v[186:187], v[10:11], v[18:21]
	v_mfma_f32_16x16x16_f16 v[18:21], v[188:189], v[12:13], v[18:21]
	ds_read2_b64 v[186:189], v110 offset0:16 offset1:20
	s_waitcnt lgkmcnt(0)
	s_barrier
	v_mfma_f32_16x16x16_f16 v[18:21], v[186:187], v[6:7], v[18:21]
	v_mfma_f32_16x16x16_f16 v[18:21], v[188:189], v[8:9], v[18:21]
	;; [unrolled: 1-line block ×3, first 2 shown]
	s_cbranch_vccnz .LBB19_48
; %bb.47:                               ;   in Loop: Header=BB19_40 Depth=2
	v_add_u32_e32 v1, 0x3c00, v113
	ds_read2_b32 v[22:23], v1 offset1:1
	v_mov_b32_e32 v87, v86
	s_waitcnt lgkmcnt(0)
	v_cvt_f32_f16_e32 v186, v22
	v_cvt_f32_f16_e32 v188, v23
	v_cvt_f32_f16_sdwa v189, v23 dst_sel:DWORD dst_unused:UNUSED_PAD src0_sel:WORD_1
	v_cvt_f32_f16_sdwa v187, v22 dst_sel:DWORD dst_unused:UNUSED_PAD src0_sel:WORD_1
	v_pk_fma_f32 v[20:21], v[86:87], v[188:189], v[20:21]
	v_pk_fma_f32 v[18:19], v[90:91], v[186:187], v[18:19]
.LBB19_48:                              ;   in Loop: Header=BB19_40 Depth=2
	s_nop 0
	v_add_f32_e32 v1, 0x40051340, v18
	v_max_f32_e32 v22, v185, v185
	v_max_f32_e32 v1, v22, v1
	v_cndmask_b32_e64 v1, v185, v1, s[16:17]
	v_add_f32_e32 v22, 0x40051340, v19
	v_max_f32_e32 v23, v1, v1
	v_max_f32_e32 v22, v23, v22
	v_cndmask_b32_e64 v1, v1, v22, s[18:19]
	;; [unrolled: 4-line block ×4, first 2 shown]
	ds_bpermute_b32 v22, v182, v1
	v_max_f32_e32 v1, v1, v1
	s_mul_hi_i32 s1, s30, s62
	s_mul_i32 s0, s30, s62
	s_lshl_b64 s[0:1], s[0:1], 2
	s_waitcnt lgkmcnt(0)
	v_max_f32_e32 v22, v22, v22
	v_max_f32_e32 v1, v1, v22
	ds_bpermute_b32 v22, v183, v1
	s_add_u32 s26, s84, s0
	s_addc_u32 s27, s85, s1
	scratch_store_dwordx4 off, v[2:5], off
	s_and_saveexec_b64 s[0:1], s[8:9]
	s_cbranch_execz .LBB19_50
; %bb.49:                               ;   in Loop: Header=BB19_40 Depth=2
	v_lshl_add_u64 v[186:187], v[62:63], 2, s[26:27]
	v_lshlrev_b32_e32 v188, 2, v42
	v_mov_b32_e32 v189, v45
	v_lshl_add_u64 v[186:187], v[186:187], 0, v[188:189]
	global_load_dwordx4 v[186:189], v[186:187], off offset:192
	s_waitcnt vmcnt(0)
	ds_write_b128 v111, v[186:189]
.LBB19_50:                              ;   in Loop: Header=BB19_40 Depth=2
	s_or_b64 exec, exec, s[0:1]
	v_lshl_add_u64 v[186:187], v[68:69], 2, s[26:27]
	v_lshl_add_u64 v[186:187], v[186:187], 0, v[44:45]
	;; [unrolled: 1-line block ×3, first 2 shown]
	v_mov_b32_e32 v44, s97
	v_cndmask_b32_e64 v187, v44, v187, s[10:11]
	v_cndmask_b32_e64 v186, v176, v186, s[10:11]
	flat_load_dwordx4 v[186:189], v[186:187]
	v_lshl_add_u64 v[190:191], v[66:67], 2, s[26:27]
	v_mov_b32_e32 v93, v45
	v_lshl_add_u64 v[190:191], v[190:191], 0, v[92:93]
	v_cndmask_b32_e64 v191, v44, v191, s[12:13]
	v_cndmask_b32_e64 v190, v176, v190, s[12:13]
	s_waitcnt lgkmcnt(0)
	v_max_f32_e32 v87, v22, v22
	v_max_f32_e32 v181, v1, v1
	;; [unrolled: 1-line block ×3, first 2 shown]
	v_sub_f32_e32 v87, v18, v181
	v_sub_f32_e32 v20, v20, v181
	;; [unrolled: 1-line block ×4, first 2 shown]
	v_mul_f32_e32 v192, 0x3fb8aa3b, v185
	v_fma_f32 v201, v185, s88, -v192
	v_rndne_f32_e32 v202, v192
	v_fmac_f32_e32 v201, 0x32a5705f, v185
	v_sub_f32_e32 v192, v192, v202
	v_add_f32_e32 v192, v192, v201
	v_cvt_i32_f32_e32 v202, v202
	v_exp_f32_e32 v192, v192
	v_cmp_ngt_f32_e32 vcc, s89, v87
	v_mov_b32_e32 v1, s95
	v_mov_b32_e32 v22, s95
	;; [unrolled: 1-line block ×3, first 2 shown]
	s_add_i32 s36, s36, 1
	s_add_i32 s30, s30, 64
	s_cmp_lt_i32 s36, s37
	s_waitcnt vmcnt(0)
	ds_write_b128 v109, v[186:189]
	flat_load_dwordx4 v[186:189], v[190:191]
	v_lshl_add_u64 v[190:191], v[64:65], 2, s[26:27]
	v_lshl_add_u64 v[92:93], v[190:191], 0, v[92:93]
	v_sub_f32_e32 v190, v19, v181
	v_cndmask_b32_e64 v19, v44, v93, s[14:15]
	v_cndmask_b32_e64 v18, v176, v92, s[14:15]
	v_mul_f32_e32 v44, 0x3fb8aa3b, v87
	v_mul_f32_e32 v92, 0x3fb8aa3b, v190
	v_fma_f32 v193, v87, s88, -v44
	v_rndne_f32_e32 v194, v44
	v_mul_f32_e32 v93, 0x3fb8aa3b, v20
	v_fma_f32 v195, v190, s88, -v92
	v_rndne_f32_e32 v196, v92
	v_fmac_f32_e32 v193, 0x32a5705f, v87
	v_sub_f32_e32 v44, v44, v194
	v_mul_f32_e32 v191, 0x3fb8aa3b, v21
	v_fma_f32 v197, v20, s88, -v93
	v_rndne_f32_e32 v198, v93
	v_fmac_f32_e32 v195, 0x32a5705f, v190
	v_sub_f32_e32 v92, v92, v196
	v_add_f32_e32 v44, v44, v193
	v_fma_f32 v199, v21, s88, -v191
	v_rndne_f32_e32 v200, v191
	v_cvt_i32_f32_e32 v194, v194
	v_fmac_f32_e32 v197, 0x32a5705f, v20
	v_sub_f32_e32 v93, v93, v198
	v_add_f32_e32 v92, v92, v195
	v_exp_f32_e32 v44, v44
	v_cvt_i32_f32_e32 v196, v196
	v_fmac_f32_e32 v199, 0x32a5705f, v21
	v_sub_f32_e32 v191, v191, v200
	v_add_f32_e32 v93, v93, v197
	v_exp_f32_e32 v92, v92
	v_cvt_i32_f32_e32 v198, v198
	v_add_f32_e32 v191, v191, v199
	v_exp_f32_e32 v93, v93
	v_cvt_i32_f32_e32 v200, v200
	v_exp_f32_e32 v191, v191
	s_waitcnt vmcnt(0) lgkmcnt(0)
	ds_write_b128 v136, v[186:189]
	flat_load_dwordx4 v[186:189], v[18:19]
	v_ldexp_f32 v18, v44, v194
	v_ldexp_f32 v19, v92, v196
	v_cndmask_b32_e32 v18, 0, v18, vcc
	v_cmp_ngt_f32_e32 vcc, s89, v190
	v_ldexp_f32 v44, v93, v198
	v_ldexp_f32 v92, v191, v200
	v_cndmask_b32_e32 v19, 0, v19, vcc
	v_cmp_ngt_f32_e32 vcc, s89, v20
	v_ldexp_f32 v93, v192, v202
	s_waitcnt vmcnt(0) lgkmcnt(0)
	ds_write_b128 v135, v[186:189]
	v_cndmask_b32_e32 v44, 0, v44, vcc
	v_cmp_ngt_f32_e32 vcc, s89, v21
	s_waitcnt lgkmcnt(0)
	s_barrier
	v_cndmask_b32_e32 v92, 0, v92, vcc
	v_cmp_ngt_f32_e32 vcc, s89, v185
	s_nop 1
	v_cndmask_b32_e32 v93, 0, v93, vcc
	v_cmp_nlt_f32_e32 vcc, s61, v87
	s_nop 1
	v_cndmask_b32_e32 v18, v173, v18, vcc
	v_cmp_nlt_f32_e32 vcc, s61, v190
	v_cndmask_b32_e64 v18, 0, v18, s[16:17]
	s_nop 0
	v_cndmask_b32_e32 v19, v173, v19, vcc
	v_cmp_nlt_f32_e32 vcc, s61, v20
	v_cndmask_b32_e64 v1, v1, v19, s[18:19]
	v_add_f32_e32 v19, v19, v18
	v_cndmask_b32_e32 v44, v173, v44, vcc
	v_cmp_nlt_f32_e32 vcc, s61, v21
	v_cndmask_b32_e64 v20, v22, v44, s[20:21]
	s_nop 0
	v_cndmask_b32_e32 v21, v173, v92, vcc
	v_cmp_nlt_f32_e32 vcc, s61, v185
	v_cndmask_b32_e64 v22, v23, v21, s[22:23]
	v_cvt_pk_f16_f32 v23, v20, v22
	v_cndmask_b32_e32 v87, v173, v93, vcc
	v_cmp_le_f32_e32 vcc, s78, v185
	v_cvt_pk_f16_f32 v22, v18, v1
	v_cndmask_b32_e64 v1, v18, v19, s[18:19]
	v_cndmask_b32_e32 v87, 0, v87, vcc
	v_cvt_f16_f32_e32 v92, v87
	v_add_f32_e32 v18, v1, v44
	v_cndmask_b32_e64 v1, v1, v18, s[20:21]
	v_add_f32_e32 v18, v1, v21
	v_mul_u32_u24_e32 v19, 0x10001, v92
	v_cndmask_b32_e64 v20, v1, v18, s[22:23]
	v_pk_mul_f16 v1, v180, v19
	v_pk_mul_f16 v18, v179, v19
	;; [unrolled: 1-line block ×14, first 2 shown]
	v_fmac_f32_e32 v20, v184, v87
	v_cvt_f32_f16_e32 v92, v1
	v_cvt_f32_f16_sdwa v93, v1 dst_sel:DWORD dst_unused:UNUSED_PAD src0_sel:WORD_1
	v_cvt_f32_f16_e32 v94, v18
	v_cvt_f32_f16_sdwa v95, v18 dst_sel:DWORD dst_unused:UNUSED_PAD src0_sel:WORD_1
	;; [unrolled: 2-line block ×10, first 2 shown]
	ds_read_u16 v1, v114 offset:240
	ds_read_u16 v18, v114
	ds_read_u16 v21, v114 offset:32
	ds_read_u16 v44, v114 offset:64
	;; [unrolled: 1-line block ×6, first 2 shown]
	ds_read_u16 v19, v115
	ds_read_u16 v178, v115 offset:32
	ds_read_u16 v185, v114 offset:272
	ds_read_u16 v186, v114 offset:304
	ds_read_u16 v187, v114 offset:336
	ds_read_u16 v188, v114 offset:368
	ds_read_u16 v189, v114 offset:400
	ds_read_u16 v217, v114 offset:432
	ds_read_u16 v179, v116
	ds_read_u16 v202, v116 offset:32
	ds_read_u16 v206, v115 offset:64
	;; [unrolled: 1-line block ×7, first 2 shown]
	s_waitcnt lgkmcnt(7)
	v_perm_b32 v19, v179, v19, s79
	v_perm_b32 v18, v1, v18, s79
	s_waitcnt lgkmcnt(6)
	v_perm_b32 v179, v202, v178, s79
	ds_read_u16 v1, v116 offset:96
	v_mfma_f32_16x16x16_f16 v[202:205], v[18:19], v[22:23], v[92:95]
	s_waitcnt lgkmcnt(5)
	v_perm_b32 v19, v207, v206, s79
	v_perm_b32 v18, v186, v44, s79
	;; [unrolled: 1-line block ×3, first 2 shown]
	ds_read_u16 v21, v116 offset:128
	ds_read_u16 v44, v116 offset:160
	;; [unrolled: 1-line block ×3, first 2 shown]
	s_waitcnt lgkmcnt(3)
	v_perm_b32 v93, v1, v210, s79
	v_perm_b32 v92, v187, v87, s79
	v_mfma_f32_16x16x16_f16 v[210:213], v[18:19], v[22:23], v[100:103]
	s_waitcnt lgkmcnt(2)
	v_perm_b32 v19, v21, v218, s79
	v_perm_b32 v18, v188, v177, s79
	v_cvt_f32_f16_e32 v198, v199
	v_mfma_f32_16x16x16_f16 v[100:103], v[92:93], v[22:23], v[190:193]
	s_waitcnt lgkmcnt(1)
	v_perm_b32 v93, v44, v219, s79
	v_perm_b32 v92, v189, v180, s79
	v_cvt_f32_f16_sdwa v199, v199 dst_sel:DWORD dst_unused:UNUSED_PAD src0_sel:WORD_1
	v_mfma_f32_16x16x16_f16 v[188:191], v[18:19], v[22:23], v[194:197]
	s_waitcnt lgkmcnt(0)
	v_perm_b32 v19, v94, v220, s79
	v_perm_b32 v18, v217, v216, s79
	v_cvt_f32_f16_e32 v200, v201
	v_cvt_f32_f16_sdwa v201, v201 dst_sel:DWORD dst_unused:UNUSED_PAD src0_sel:WORD_1
	v_cvt_f32_f16_e32 v184, v214
	v_cvt_f32_f16_sdwa v185, v214 dst_sel:DWORD dst_unused:UNUSED_PAD src0_sel:WORD_1
	;; [unrolled: 2-line block ×3, first 2 shown]
	v_mfma_f32_16x16x16_f16 v[206:209], v[178:179], v[22:23], v[96:99]
	v_cvt_pk_f16_f32 v101, v100, v101
	v_cvt_pk_f16_f32 v100, v102, v103
	;; [unrolled: 1-line block ×3, first 2 shown]
	v_mfma_f32_16x16x16_f16 v[94:97], v[92:93], v[22:23], v[198:201]
	v_cvt_pk_f16_f32 v98, v188, v189
	v_cvt_pk_f16_f32 v102, v212, v213
	s_nop 1
	v_cvt_pk_f16_f32 v178, v206, v207
	v_mfma_f32_16x16x16_f16 v[184:187], v[18:19], v[22:23], v[184:187]
	v_cvt_pk_f16_f32 v177, v208, v209
	s_nop 0
	v_cvt_pk_f16_f32 v94, v94, v95
	v_cvt_pk_f16_f32 v95, v96, v97
	;; [unrolled: 1-line block ×5, first 2 shown]
	s_nop 0
	v_cvt_pk_f16_f32 v99, v184, v185
	v_cvt_pk_f16_f32 v97, v186, v187
	s_barrier
	s_cbranch_scc0 .LBB19_54
; %bb.51:                               ;   in Loop: Header=BB19_40 Depth=2
	v_mov_b32_e32 v184, v20
	v_mov_b32_e32 v185, v181
	s_branch .LBB19_40
.LBB19_52:                              ;   in Loop: Header=BB19_14 Depth=1
	s_cbranch_execz .LBB19_13
	s_branch .LBB19_139
.LBB19_53:                              ;   in Loop: Header=BB19_14 Depth=1
	v_mov_b32_e32 v181, 0xfeffffff
	v_mov_b32_e32 v20, 0
	;; [unrolled: 1-line block ×16, first 2 shown]
.LBB19_54:                              ;   in Loop: Header=BB19_14 Depth=1
	s_lshl_b32 s92, s36, 6
	v_readlane_b32 s0, v222, 4
	s_sub_i32 s94, s0, s92
	s_cmp_lg_u64 s[4:5], 0
	s_cselect_b64 s[26:27], -1, 0
	s_ashr_i32 s93, s92, 31
	s_cmp_eq_u64 s[4:5], 0
	v_readlane_b32 s1, v222, 5
	s_cbranch_scc1 .LBB19_60
; %bb.55:                               ;   in Loop: Header=BB19_14 Depth=1
	v_cmp_le_i32_e32 vcc, s94, v38
	s_and_saveexec_b64 s[0:1], vcc
	s_xor_b64 s[0:1], exec, s[0:1]
	s_cbranch_execz .LBB19_57
; %bb.56:                               ;   in Loop: Header=BB19_14 Depth=1
	ds_write_b16 v138, v45 offset:15360
	ds_write_b16 v161, v45 offset:15360
.LBB19_57:                              ;   in Loop: Header=BB19_14 Depth=1
	s_or_saveexec_b64 s[28:29], s[0:1]
	v_mov_b32_e32 v1, 0
	v_mov_b32_e32 v18, 0
	s_xor_b64 exec, exec, s[28:29]
	s_cbranch_execz .LBB19_59
; %bb.58:                               ;   in Loop: Header=BB19_14 Depth=1
	v_add_u32_e32 v1, s83, v104
	s_lshl_b64 s[0:1], s[92:93], 1
	v_mul_hi_u32 v21, s76, v1
	s_add_u32 s0, s4, s0
	v_add_u32_e32 v21, v1, v21
	s_addc_u32 s1, s5, s1
	v_lshlrev_b32_e32 v44, 1, v38
	v_lshrrev_b32_e32 v21, s77, v21
	v_lshl_add_u64 v[18:19], s[0:1], 0, v[44:45]
	v_mul_lo_u32 v21, v21, s60
	v_readlane_b32 s0, v222, 62
	v_sub_u32_e32 v1, v1, v21
	v_readlane_b32 s1, v222, 63
	s_mov_b32 s30, s0
	v_mad_i64_i32 v[22:23], s[0:1], v1, s30, 0
	v_lshl_add_u64 v[22:23], v[22:23], 1, v[18:19]
	v_add_u32_e32 v21, s83, v160
	global_load_ushort v1, v[22:23], off
	v_mul_hi_u32 v22, s76, v21
	v_add_u32_e32 v22, v21, v22
	v_lshrrev_b32_e32 v22, s77, v22
	v_mul_lo_u32 v22, v22, s60
	v_sub_u32_e32 v21, v21, v22
	v_mad_i64_i32 v[22:23], s[0:1], v21, s30, 0
	v_lshl_add_u64 v[22:23], v[22:23], 1, v[18:19]
	global_load_ushort v21, v[22:23], off
	s_waitcnt vmcnt(1)
	ds_write_b16 v138, v1 offset:15360
	s_waitcnt vmcnt(0)
	ds_write_b16 v161, v21 offset:15360
	v_add_u32_e32 v1, s83, v162
	v_mul_hi_u32 v21, s76, v1
	v_add_u32_e32 v21, v1, v21
	v_lshrrev_b32_e32 v21, s77, v21
	v_mul_lo_u32 v21, v21, s60
	v_sub_u32_e32 v1, v1, v21
	v_mad_i64_i32 v[22:23], s[0:1], v1, s30, 0
	v_lshl_add_u64 v[22:23], v[22:23], 1, v[18:19]
	v_add_u32_e32 v21, s83, v164
	global_load_ushort v1, v[22:23], off
	v_mul_hi_u32 v22, s76, v21
	v_add_u32_e32 v22, v21, v22
	v_lshrrev_b32_e32 v22, s77, v22
	v_mul_lo_u32 v22, v22, s60
	v_sub_u32_e32 v21, v21, v22
	v_mad_i64_i32 v[22:23], s[0:1], v21, s30, 0
	v_lshl_add_u64 v[18:19], v[22:23], 1, v[18:19]
	global_load_ushort v18, v[18:19], off
.LBB19_59:                              ;   in Loop: Header=BB19_14 Depth=1
	s_or_b64 exec, exec, s[28:29]
	s_waitcnt vmcnt(1)
	ds_write_b16 v163, v1 offset:15360
	s_waitcnt vmcnt(0)
	ds_write_b16 v165, v18 offset:15360
.LBB19_60:                              ;   in Loop: Header=BB19_14 Depth=1
	s_mul_hi_i32 s1, s92, s74
	s_mul_i32 s0, s92, s74
	s_lshl_b64 s[0:1], s[0:1], 2
	s_add_u32 s28, s96, s0
	s_addc_u32 s29, s66, s1
	scratch_store_dwordx4 off, v[2:5], off
	s_and_saveexec_b64 s[30:31], s[8:9]
	s_cbranch_execz .LBB19_62
; %bb.61:                               ;   in Loop: Header=BB19_14 Depth=1
	v_lshl_add_u64 v[18:19], v[60:61], 2, s[28:29]
	v_lshlrev_b32_e32 v44, 2, v42
	v_lshl_add_u64 v[18:19], v[18:19], 0, v[44:45]
	s_mov_b64 s[0:1], 0xc0
	v_lshl_add_u64 v[18:19], v[18:19], 0, s[0:1]
	v_mov_b32_e32 v1, s97
	v_cmp_gt_i32_e32 vcc, s94, v43
	s_nop 1
	v_cndmask_b32_e32 v19, v1, v19, vcc
	v_cndmask_b32_e32 v18, v176, v18, vcc
	flat_load_dwordx4 v[26:29], v[18:19]
	s_waitcnt vmcnt(0) lgkmcnt(0)
	ds_write_b128 v111, v[26:29]
.LBB19_62:                              ;   in Loop: Header=BB19_14 Depth=1
	s_or_b64 exec, exec, s[30:31]
	v_lshl_add_u64 v[18:19], v[54:55], 2, s[28:29]
	v_lshlrev_b32_e32 v44, 2, v40
	v_lshl_add_u64 v[18:19], v[18:19], 0, v[44:45]
	v_lshl_add_u64 v[18:19], v[18:19], 0, s[90:91]
	v_mov_b32_e32 v1, s97
	v_cmp_gt_i32_e64 s[36:37], s94, v49
	v_lshl_add_u64 v[22:23], v[56:57], 2, s[28:29]
	v_cmp_gt_i32_e64 s[38:39], s94, v133
	v_cndmask_b32_e64 v19, v1, v19, s[36:37]
	v_cndmask_b32_e64 v18, v176, v18, s[36:37]
	flat_load_dwordx4 v[26:29], v[18:19]
	v_lshlrev_b32_e32 v18, 2, v48
	v_mov_b32_e32 v19, v45
	v_lshl_add_u64 v[22:23], v[22:23], 0, v[18:19]
	v_cndmask_b32_e64 v23, v1, v23, s[38:39]
	v_cndmask_b32_e64 v22, v176, v22, s[38:39]
	v_cmp_gt_i32_e64 s[34:35], s94, v134
	s_andn2_b64 vcc, exec, s[26:27]
	s_mov_b64 s[64:65], s[42:43]
	s_waitcnt vmcnt(0) lgkmcnt(0)
	ds_write_b128 v109, v[26:29]
	flat_load_dwordx4 v[26:29], v[22:23]
	v_lshl_add_u64 v[22:23], v[58:59], 2, s[28:29]
	v_lshl_add_u64 v[22:23], v[22:23], 0, v[18:19]
	v_cndmask_b32_e64 v23, v1, v23, s[34:35]
	v_cndmask_b32_e64 v22, v176, v22, s[34:35]
	s_waitcnt vmcnt(0) lgkmcnt(0)
	ds_write_b128 v136, v[26:29]
	flat_load_dwordx4 v[26:29], v[22:23]
	s_waitcnt vmcnt(0) lgkmcnt(0)
	ds_write_b128 v135, v[26:29]
	s_waitcnt lgkmcnt(0)
	s_barrier
	ds_read2_b64 v[26:29], v110 offset1:4
	s_waitcnt lgkmcnt(0)
	v_mfma_f32_16x16x16_f16 v[30:33], v[26:27], v[14:15], 0
	v_mfma_f32_16x16x16_f16 v[14:17], v[28:29], v[16:17], v[30:33]
	ds_read2_b64 v[26:29], v110 offset0:8 offset1:12
	s_waitcnt lgkmcnt(0)
	v_mfma_f32_16x16x16_f16 v[14:17], v[26:27], v[10:11], v[14:17]
	v_mfma_f32_16x16x16_f16 v[10:13], v[28:29], v[12:13], v[14:17]
	s_nop 6
	ds_read2_b64 v[14:17], v110 offset0:16 offset1:20
	s_waitcnt lgkmcnt(0)
	v_mfma_f32_16x16x16_f16 v[10:13], v[14:15], v[6:7], v[10:13]
	v_mfma_f32_16x16x16_f16 v[6:9], v[16:17], v[8:9], v[10:13]
	s_nop 6
	ds_read_b64 v[10:11], v110 offset:192
	s_waitcnt lgkmcnt(0)
	v_mfma_f32_16x16x16_f16 v[6:9], v[10:11], v[24:25], v[6:9]
	s_barrier
	s_cbranch_vccnz .LBB19_64
; %bb.63:                               ;   in Loop: Header=BB19_14 Depth=1
	v_add_u32_e32 v1, 0x3c00, v113
	ds_read2_b32 v[10:11], v1 offset1:1
	s_waitcnt lgkmcnt(0)
	v_cvt_f32_f16_e32 v12, v10
	v_cvt_f32_f16_e32 v14, v11
	v_cvt_f32_f16_sdwa v15, v11 dst_sel:DWORD dst_unused:UNUSED_PAD src0_sel:WORD_1
	v_cvt_f32_f16_sdwa v13, v10 dst_sel:DWORD dst_unused:UNUSED_PAD src0_sel:WORD_1
	v_pk_fma_f32 v[8:9], v[86:87], v[14:15], v[8:9] op_sel_hi:[0,1,1]
	v_pk_fma_f32 v[6:7], v[86:87], v[12:13], v[6:7] op_sel_hi:[0,1,1]
.LBB19_64:                              ;   in Loop: Header=BB19_14 Depth=1
	v_add_f32_e32 v1, 0x40051340, v6
	v_max_f32_e32 v10, v181, v181
	v_max_f32_e32 v1, v10, v1
	v_cmp_gt_u32_e64 s[30:31], s94, v112
	v_add_f32_e32 v10, 0x40051340, v7
	v_cmp_gt_u32_e32 vcc, s94, v166
	v_cndmask_b32_e64 v1, v181, v1, s[30:31]
	v_max_f32_e32 v11, v1, v1
	v_max_f32_e32 v10, v11, v10
	v_cndmask_b32_e32 v1, v1, v10, vcc
	v_add_f32_e32 v10, 0x40051340, v8
	v_max_f32_e32 v11, v1, v1
	v_max_f32_e32 v10, v11, v10
	v_cmp_gt_u32_e64 s[26:27], s94, v167
	v_cmp_gt_u32_e64 s[28:29], s94, v168
	s_mul_hi_i32 s1, s92, s62
	v_cndmask_b32_e64 v1, v1, v10, s[26:27]
	v_add_f32_e32 v10, 0x40051340, v9
	v_max_f32_e32 v11, v1, v1
	v_max_f32_e32 v10, v11, v10
	v_cndmask_b32_e64 v1, v1, v10, s[28:29]
	v_and_b32_e32 v10, 64, v175
	v_add_u32_e32 v10, 64, v10
	v_xor_b32_e32 v11, 32, v175
	v_cmp_lt_i32_e64 s[42:43], v11, v10
	s_mul_i32 s0, s92, s62
	s_lshl_b64 s[0:1], s[0:1], 2
	v_cndmask_b32_e64 v11, v175, v11, s[42:43]
	v_lshlrev_b32_e32 v87, 2, v11
	ds_bpermute_b32 v11, v87, v1
	v_max_f32_e32 v1, v1, v1
	s_add_u32 s92, s84, s0
	s_addc_u32 s93, s85, s1
	scratch_store_dwordx4 off, v[2:5], off
	s_waitcnt lgkmcnt(0)
	v_max_f32_e32 v11, v11, v11
	v_max_f32_e32 v1, v1, v11
	v_xor_b32_e32 v11, 16, v175
	v_cmp_lt_i32_e64 s[42:43], v11, v10
	s_nop 1
	v_cndmask_b32_e64 v10, v175, v11, s[42:43]
	v_lshlrev_b32_e32 v90, 2, v10
	ds_bpermute_b32 v10, v90, v1
	s_and_saveexec_b64 s[0:1], s[8:9]
	s_cbranch_execz .LBB19_66
; %bb.65:                               ;   in Loop: Header=BB19_14 Depth=1
	v_lshl_add_u64 v[12:13], v[62:63], 2, s[92:93]
	v_lshlrev_b32_e32 v14, 2, v42
	v_mov_b32_e32 v15, v45
	v_lshl_add_u64 v[12:13], v[12:13], 0, v[14:15]
	s_mov_b64 s[42:43], 0xc0
	v_lshl_add_u64 v[12:13], v[12:13], 0, s[42:43]
	v_mov_b32_e32 v11, s97
	v_cmp_gt_i32_e64 s[42:43], s94, v43
	s_nop 1
	v_cndmask_b32_e64 v13, v11, v13, s[42:43]
	v_cndmask_b32_e64 v12, v176, v12, s[42:43]
	flat_load_dwordx4 v[12:15], v[12:13]
	s_waitcnt vmcnt(0) lgkmcnt(0)
	ds_write_b128 v111, v[12:15]
.LBB19_66:                              ;   in Loop: Header=BB19_14 Depth=1
	s_or_b64 exec, exec, s[0:1]
	v_lshl_add_u64 v[12:13], v[68:69], 2, s[92:93]
	v_lshl_add_u64 v[12:13], v[12:13], 0, v[44:45]
	;; [unrolled: 1-line block ×3, first 2 shown]
	v_mov_b32_e32 v21, s97
	v_cndmask_b32_e64 v13, v21, v13, s[36:37]
	v_cndmask_b32_e64 v12, v176, v12, s[36:37]
	flat_load_dwordx4 v[12:15], v[12:13]
	v_lshl_add_u64 v[16:17], v[66:67], 2, s[92:93]
	v_mov_b32_e32 v19, v45
	v_lshl_add_u64 v[16:17], v[16:17], 0, v[18:19]
	v_cndmask_b32_e64 v17, v21, v17, s[38:39]
	v_cndmask_b32_e64 v16, v176, v16, s[38:39]
	s_waitcnt lgkmcnt(0)
	v_max_f32_e32 v22, v10, v10
	v_max_f32_e32 v23, v1, v1
	;; [unrolled: 1-line block ×3, first 2 shown]
	v_sub_f32_e32 v22, v8, v88
	v_sub_f32_e32 v23, v9, v88
	;; [unrolled: 1-line block ×3, first 2 shown]
	s_cmp_lg_u64 s[40:41], 0
	s_cselect_b64 s[0:1], -1, 0
	v_mov_b32_e32 v1, s95
	v_mov_b32_e32 v10, s95
	;; [unrolled: 1-line block ×3, first 2 shown]
	s_waitcnt vmcnt(0)
	ds_write_b128 v109, v[12:15]
	flat_load_dwordx4 v[12:15], v[16:17]
	v_lshl_add_u64 v[16:17], v[64:65], 2, s[92:93]
	v_lshl_add_u64 v[16:17], v[16:17], 0, v[18:19]
	v_sub_f32_e32 v18, v6, v88
	v_sub_f32_e32 v19, v7, v88
	v_mul_f32_e32 v8, 0x3fb8aa3b, v18
	v_mul_f32_e32 v9, 0x3fb8aa3b, v19
	v_fma_f32 v25, v18, s88, -v8
	v_rndne_f32_e32 v26, v8
	v_fma_f32 v27, v19, s88, -v9
	v_rndne_f32_e32 v28, v9
	v_fmac_f32_e32 v25, 0x32a5705f, v18
	v_sub_f32_e32 v8, v8, v26
	v_fmac_f32_e32 v27, 0x32a5705f, v19
	v_sub_f32_e32 v9, v9, v28
	v_add_f32_e32 v8, v8, v25
	v_add_f32_e32 v9, v9, v27
	v_cvt_i32_f32_e32 v26, v26
	v_cvt_i32_f32_e32 v28, v28
	v_exp_f32_e32 v8, v8
	v_exp_f32_e32 v9, v9
	v_cndmask_b32_e64 v7, v21, v17, s[34:35]
	v_cndmask_b32_e64 v6, v176, v16, s[34:35]
	v_ldexp_f32 v25, v8, v26
	v_ldexp_f32 v26, v9, v28
	v_mul_f32_e32 v16, 0x3fb8aa3b, v22
	v_mul_f32_e32 v17, 0x3fb8aa3b, v23
	v_fma_f32 v29, v22, s88, -v16
	v_rndne_f32_e32 v30, v16
	v_mul_f32_e32 v21, 0x3fb8aa3b, v24
	v_fma_f32 v31, v23, s88, -v17
	v_rndne_f32_e32 v32, v17
	v_fmac_f32_e32 v29, 0x32a5705f, v22
	v_sub_f32_e32 v16, v16, v30
	v_fma_f32 v33, v24, s88, -v21
	v_rndne_f32_e32 v44, v21
	v_fmac_f32_e32 v31, 0x32a5705f, v23
	v_sub_f32_e32 v17, v17, v32
	v_add_f32_e32 v16, v16, v29
	v_readlane_b32 s34, v222, 26
	v_cvt_i32_f32_e32 v30, v30
	v_fmac_f32_e32 v33, 0x32a5705f, v24
	v_sub_f32_e32 v21, v21, v44
	v_add_f32_e32 v17, v17, v31
	v_exp_f32_e32 v16, v16
	v_readlane_b32 s35, v222, 27
	v_cvt_i32_f32_e32 v32, v32
	v_add_f32_e32 v21, v21, v33
	v_exp_f32_e32 v17, v17
	s_and_b64 s[36:37], s[34:35], s[0:1]
	v_cvt_i32_f32_e32 v44, v44
	v_exp_f32_e32 v21, v21
	v_cmp_ngt_f32_e64 s[34:35], s89, v18
	v_ldexp_f32 v16, v16, v30
	v_ldexp_f32 v17, v17, v32
	s_waitcnt vmcnt(0) lgkmcnt(0)
	ds_write_b128 v136, v[12:15]
	flat_load_dwordx4 v[6:9], v[6:7]
	v_cndmask_b32_e64 v13, 0, v25, s[34:35]
	v_cmp_ngt_f32_e64 s[34:35], s89, v19
	v_ldexp_f32 v12, v21, v44
	s_waitcnt vmcnt(0) lgkmcnt(0)
	ds_write_b128 v135, v[6:9]
	v_cndmask_b32_e64 v14, 0, v26, s[34:35]
	v_cmp_ngt_f32_e64 s[34:35], s89, v22
	s_waitcnt lgkmcnt(0)
	s_barrier
	v_cndmask_b32_e64 v15, 0, v16, s[34:35]
	v_cmp_ngt_f32_e64 s[34:35], s89, v23
	s_nop 1
	v_cndmask_b32_e64 v16, 0, v17, s[34:35]
	v_cmp_ngt_f32_e64 s[34:35], s89, v24
	s_nop 1
	v_cndmask_b32_e64 v12, 0, v12, s[34:35]
	v_cmp_nlt_f32_e64 s[34:35], s61, v18
	s_nop 1
	v_cndmask_b32_e64 v13, v173, v13, s[34:35]
	v_cmp_nlt_f32_e64 s[34:35], s61, v19
	;; [unrolled: 3-line block ×3, first 2 shown]
	v_cndmask_b32_e32 v1, v1, v14, vcc
	s_nop 0
	v_cndmask_b32_e64 v15, v173, v15, s[34:35]
	v_cmp_nlt_f32_e64 s[34:35], s61, v23
	v_cndmask_b32_e64 v10, v10, v15, s[26:27]
	s_nop 0
	v_cndmask_b32_e64 v16, v173, v16, s[34:35]
	v_cmp_nlt_f32_e64 s[34:35], s61, v24
	v_cndmask_b32_e64 v11, v11, v16, s[28:29]
	v_cvt_pk_f16_f32 v183, v10, v11
	v_cndmask_b32_e64 v17, v173, v12, s[34:35]
	v_cndmask_b32_e64 v12, 0, v13, s[30:31]
	v_cmp_le_f32_e64 s[30:31], s78, v24
	v_add_f32_e32 v14, v14, v12
	v_cvt_pk_f16_f32 v182, v12, v1
	v_cndmask_b32_e64 v13, 0, v17, s[30:31]
	v_cvt_f16_f32_e32 v17, v13
	v_cndmask_b32_e32 v1, v12, v14, vcc
	v_add_f32_e32 v10, v1, v15
	v_cndmask_b32_e64 v1, v1, v10, s[26:27]
	v_add_f32_e32 v10, v1, v16
	v_mul_u32_u24_e32 v11, 0x10001, v17
	v_cndmask_b32_e64 v1, v1, v10, s[28:29]
	v_pk_mul_f16 v44, v99, v11
	v_fmac_f32_e32 v1, v20, v13
	v_cvt_f32_f16_e32 v92, v44
	v_cvt_f32_f16_sdwa v93, v44 dst_sel:DWORD dst_unused:UNUSED_PAD src0_sel:WORD_1
	ds_bpermute_b32 v44, v87, v1
	v_pk_mul_f16 v12, v180, v11
	v_pk_mul_f16 v14, v179, v11
	;; [unrolled: 1-line block ×13, first 2 shown]
	ds_read_u16 v6, v114 offset:240
	ds_read_u16 v8, v114
	ds_read_u16 v9, v114 offset:32
	ds_read_u16 v91, v114 offset:64
	;; [unrolled: 1-line block ×6, first 2 shown]
	ds_read_u16 v7, v115
	ds_read_u16 v96, v115 offset:32
	ds_read_u16 v98, v114 offset:272
	;; [unrolled: 1-line block ×7, first 2 shown]
	ds_read_u16 v94, v116
	ds_read_u16 v97, v116 offset:32
	ds_read_u16 v99, v115 offset:64
	;; [unrolled: 1-line block ×7, first 2 shown]
	s_waitcnt lgkmcnt(7)
	v_perm_b32 v7, v94, v7, s79
	v_perm_b32 v6, v6, v8, s79
	v_add_f32_e32 v1, v1, v44
	s_waitcnt lgkmcnt(6)
	v_perm_b32 v97, v97, v96, s79
	v_perm_b32 v96, v98, v9, s79
	ds_read_u16 v44, v116 offset:96
	s_waitcnt lgkmcnt(5)
	v_perm_b32 v99, v181, v99, s79
	v_perm_b32 v98, v103, v91, s79
	v_cvt_f32_f16_e32 v10, v12
	v_cvt_f32_f16_sdwa v11, v12 dst_sel:DWORD dst_unused:UNUSED_PAD src0_sel:WORD_1
	v_cvt_f32_f16_e32 v12, v14
	v_cvt_f32_f16_sdwa v13, v14 dst_sel:DWORD dst_unused:UNUSED_PAD src0_sel:WORD_1
	;; [unrolled: 2-line block ×6, first 2 shown]
	ds_read_u16 v91, v116 offset:128
	ds_read_u16 v103, v116 offset:160
	;; [unrolled: 1-line block ×3, first 2 shown]
	v_mfma_f32_16x16x16_f16 v[6:9], v[6:7], v[182:183], v[10:13]
	v_cvt_f32_f16_e32 v22, v23
	v_cvt_f32_f16_sdwa v23, v23 dst_sel:DWORD dst_unused:UNUSED_PAD src0_sel:WORD_1
	v_cvt_f32_f16_e32 v24, v25
	v_mfma_f32_16x16x16_f16 v[10:13], v[96:97], v[182:183], v[14:17]
	s_waitcnt lgkmcnt(3)
	v_perm_b32 v97, v44, v184, s79
	v_perm_b32 v96, v177, v95, s79
	v_cvt_f32_f16_sdwa v25, v25 dst_sel:DWORD dst_unused:UNUSED_PAD src0_sel:WORD_1
	v_mfma_f32_16x16x16_f16 v[14:17], v[98:99], v[182:183], v[18:21]
	s_waitcnt lgkmcnt(2)
	v_perm_b32 v99, v91, v185, s79
	v_perm_b32 v98, v178, v100, s79
	v_cvt_f32_f16_e32 v26, v27
	v_cvt_f32_f16_sdwa v27, v27 dst_sel:DWORD dst_unused:UNUSED_PAD src0_sel:WORD_1
	v_cvt_f32_f16_e32 v28, v29
	v_cvt_f32_f16_sdwa v29, v29 dst_sel:DWORD dst_unused:UNUSED_PAD src0_sel:WORD_1
	v_mfma_f32_16x16x16_f16 v[18:21], v[96:97], v[182:183], v[22:25]
	s_waitcnt lgkmcnt(1)
	v_perm_b32 v97, v103, v186, s79
	v_perm_b32 v96, v179, v101, s79
	v_cvt_f32_f16_e32 v30, v31
	v_mfma_f32_16x16x16_f16 v[22:25], v[98:99], v[182:183], v[26:29]
	s_waitcnt lgkmcnt(0)
	v_perm_b32 v99, v181, v187, s79
	v_perm_b32 v98, v180, v102, s79
	v_cvt_f32_f16_sdwa v31, v31 dst_sel:DWORD dst_unused:UNUSED_PAD src0_sel:WORD_1
	v_cvt_f32_f16_e32 v32, v33
	v_cvt_f32_f16_sdwa v33, v33 dst_sel:DWORD dst_unused:UNUSED_PAD src0_sel:WORD_1
	v_cvt_f32_f16_e32 v94, v89
	v_cvt_f32_f16_sdwa v95, v89 dst_sel:DWORD dst_unused:UNUSED_PAD src0_sel:WORD_1
	ds_bpermute_b32 v44, v90, v1
	v_mfma_f32_16x16x16_f16 v[26:29], v[96:97], v[182:183], v[30:33]
	v_cvt_f16_f32_e32 v91, v7
	v_cvt_f16_f32_e32 v12, v12
	;; [unrolled: 1-line block ×3, first 2 shown]
	v_mfma_f32_16x16x16_f16 v[30:33], v[98:99], v[182:183], v[92:95]
	s_waitcnt lgkmcnt(0)
	v_add_f32_e32 v89, v1, v44
	v_cvt_f16_f32_e32 v44, v6
	v_cvt_f16_f32_e32 v1, v8
	;; [unrolled: 1-line block ×25, first 2 shown]
	v_perm_b32 v20, v8, v1, s79
	v_perm_b32 v17, v13, v12, s79
	;; [unrolled: 1-line block ×14, first 2 shown]
	s_barrier
	s_and_saveexec_b64 s[26:27], s[36:37]
	s_cbranch_execz .LBB19_68
; %bb.67:                               ;   in Loop: Header=BB19_14 Depth=1
	v_cvt_pk_f16_f32 v8, v10, v11
	v_cvt_pk_f16_f32 v10, v18, v19
	global_load_dword v18, v45, s[40:41]
	v_cvt_pk_f16_f32 v7, v6, v7
	v_max_f32_e32 v19, v88, v88
	v_cvt_pk_f16_f32 v11, v22, v23
	v_cvt_pk_f16_f32 v9, v14, v15
	;; [unrolled: 1-line block ×4, first 2 shown]
	s_waitcnt vmcnt(0)
	v_max_f32_e32 v6, v18, v18
	v_max_f32_e32 v6, v19, v6
	v_sub_f32_e32 v19, v88, v6
	v_mul_f32_e32 v22, 0x3fb8aa3b, v19
	v_fma_f32 v23, v19, s88, -v22
	v_rndne_f32_e32 v24, v22
	v_fmac_f32_e32 v23, 0x32a5705f, v19
	v_sub_f32_e32 v22, v22, v24
	v_add_f32_e32 v22, v22, v23
	v_exp_f32_e32 v22, v22
	v_cvt_i32_f32_e32 v23, v24
	v_cmp_ngt_f32_e32 vcc, s89, v19
	v_sub_f32_e32 v18, v18, v6
	v_ldexp_f32 v22, v22, v23
	v_cndmask_b32_e32 v22, 0, v22, vcc
	v_cmp_nlt_f32_e32 vcc, s61, v19
	s_nop 1
	v_cndmask_b32_e32 v22, v173, v22, vcc
	v_cmp_le_f32_e32 vcc, s78, v19
	s_nop 1
	v_cndmask_b32_e32 v19, 0, v22, vcc
	v_cvt_f16_f32_e32 v22, v19
	v_cmp_ngt_f32_e32 vcc, s89, v18
	v_mul_u32_u24_e32 v22, 0x10001, v22
	v_pk_mul_f16 v33, v7, v22
	v_mul_f32_e32 v7, 0x3fb8aa3b, v18
	v_pk_mul_f16 v32, v8, v22
	v_pk_mul_f16 v29, v9, v22
	v_fma_f32 v8, v18, s88, -v7
	v_rndne_f32_e32 v9, v7
	v_fmac_f32_e32 v8, 0x32a5705f, v18
	v_sub_f32_e32 v7, v7, v9
	v_add_f32_e32 v7, v7, v8
	v_exp_f32_e32 v7, v7
	v_cvt_i32_f32_e32 v8, v9
	v_pk_mul_f16 v20, v20, v22
	v_pk_mul_f16 v17, v17, v22
	;; [unrolled: 1-line block ×3, first 2 shown]
	v_ldexp_f32 v7, v7, v8
	v_cndmask_b32_e32 v7, 0, v7, vcc
	v_cmp_nlt_f32_e32 vcc, s61, v18
	v_pk_mul_f16 v28, v10, v22
	v_pk_mul_f16 v13, v13, v22
	v_cndmask_b32_e32 v7, v173, v7, vcc
	v_fmac_f32_e32 v7, v89, v19
	v_pk_mul_f16 v25, v11, v22
	v_pk_mul_f16 v12, v12, v22
	;; [unrolled: 1-line block ×6, first 2 shown]
	v_mov_b64_e32 v[88:89], v[6:7]
.LBB19_68:                              ;   in Loop: Header=BB19_14 Depth=1
	s_or_b64 exec, exec, s[26:27]
	s_mov_b64 s[0:1], exec
	v_readlane_b32 s26, v222, 60
	v_readlane_b32 s27, v222, 61
	s_and_b64 s[26:27], s[0:1], s[26:27]
	s_mov_b64 s[42:43], s[64:65]
	s_mov_b64 exec, s[26:27]
; %bb.69:                               ;   in Loop: Header=BB19_14 Depth=1
	v_add_u32_e32 v6, 0, v139
	ds_write2_b32 v6, v88, v89 offset0:56 offset1:57
; %bb.70:                               ;   in Loop: Header=BB19_14 Depth=1
	s_or_b64 exec, exec, s[0:1]
	s_waitcnt lgkmcnt(0)
	s_barrier
	s_mov_b64 s[0:1], exec
	v_readlane_b32 s26, v222, 28
	v_readlane_b32 s27, v222, 29
	s_and_b64 s[26:27], s[0:1], s[26:27]
	s_xor_b64 s[0:1], s[26:27], s[0:1]
	s_mov_b64 exec, s[26:27]
	s_cbranch_execz .LBB19_72
; %bb.71:                               ;   in Loop: Header=BB19_14 Depth=1
	s_barrier
                                        ; implicit-def: $vgpr87
                                        ; implicit-def: $vgpr90
.LBB19_72:                              ;   in Loop: Header=BB19_14 Depth=1
	s_andn2_saveexec_b64 s[26:27], s[0:1]
	s_cbranch_execz .LBB19_76
; %bb.73:                               ;   in Loop: Header=BB19_14 Depth=1
	v_add_u32_e32 v7, 0, v139
	ds_read_b64 v[8:9], v7 offset:224
	s_waitcnt lgkmcnt(0)
	s_barrier
	ds_bpermute_b32 v6, v87, v8
	v_max_f32_e32 v10, v8, v8
	s_waitcnt lgkmcnt(0)
	v_max_f32_e32 v6, v6, v6
	v_max_f32_e32 v6, v10, v6
	ds_bpermute_b32 v10, v90, v6
	s_waitcnt lgkmcnt(0)
	v_max_f32_e32 v10, v10, v10
	v_max_f32_e32 v6, v6, v10
	v_sub_f32_e32 v8, v8, v6
	v_mul_f32_e32 v10, 0x3fb8aa3b, v8
	v_fma_f32 v11, v8, s88, -v10
	v_rndne_f32_e32 v14, v10
	v_fmac_f32_e32 v11, 0x32a5705f, v8
	v_sub_f32_e32 v10, v10, v14
	v_add_f32_e32 v10, v10, v11
	v_cvt_i32_f32_e32 v14, v14
	v_exp_f32_e32 v10, v10
	v_cmp_ngt_f32_e32 vcc, s89, v8
	v_ldexp_f32 v10, v10, v14
	s_nop 0
	v_cndmask_b32_e32 v10, 0, v10, vcc
	v_cmp_nlt_f32_e32 vcc, s61, v8
	s_nop 1
	v_cndmask_b32_e32 v8, v173, v10, vcc
	v_mul_f32_e32 v10, v9, v8
	ds_bpermute_b32 v10, v87, v10
	s_waitcnt lgkmcnt(0)
	v_fmac_f32_e32 v10, v9, v8
	ds_bpermute_b32 v9, v90, v10
	s_waitcnt lgkmcnt(0)
	v_add_f32_e32 v9, v10, v9
	ds_write_b64 v7, v[8:9] offset:224
	s_mov_b64 s[0:1], exec
	v_readlane_b32 s28, v222, 60
	v_readlane_b32 s29, v222, 61
	s_and_b64 s[28:29], s[0:1], s[28:29]
	s_mov_b64 exec, s[28:29]
	s_cbranch_execz .LBB19_75
; %bb.74:                               ;   in Loop: Header=BB19_14 Depth=1
	v_mov_b32_e32 v7, v9
	global_store_dwordx2 v[46:47], v[6:7], off
.LBB19_75:                              ;   in Loop: Header=BB19_14 Depth=1
	s_or_b64 exec, exec, s[0:1]
.LBB19_76:                              ;   in Loop: Header=BB19_14 Depth=1
	s_or_b64 exec, exec, s[26:27]
	ds_write2_b32 v117, v33, v20 offset1:1
	ds_write2_b32 v117, v32, v17 offset0:8 offset1:9
	ds_write2_b32 v117, v29, v16 offset0:16 offset1:17
	;; [unrolled: 1-line block ×6, first 2 shown]
	s_waitcnt lgkmcnt(0)
	s_barrier
	s_mov_b64 s[26:27], exec
	v_readlane_b32 s0, v222, 26
	v_readlane_b32 s1, v222, 27
	s_and_b64 s[0:1], s[26:27], s[0:1]
	s_mov_b64 exec, s[0:1]
	s_cbranch_execz .LBB19_138
; %bb.77:                               ;   in Loop: Header=BB19_14 Depth=1
	v_add_u32_e32 v1, s83, v118
	v_cmp_gt_i32_e32 vcc, s60, v1
	v_mov_b32_e32 v6, 0x47
	s_and_saveexec_b64 s[28:29], vcc
	s_cbranch_execz .LBB19_79
; %bb.78:                               ;   in Loop: Header=BB19_14 Depth=1
	v_add_u32_e32 v6, 0, v141
	v_add_u32_e32 v10, 0xe0, v6
	;; [unrolled: 1-line block ×3, first 2 shown]
	ds_read2st64_b32 v[6:7], v10 offset1:15
	ds_read2st64_b32 v[8:9], v12 offset1:15
	ds_read2st64_b32 v[10:11], v10 offset0:30 offset1:45
	ds_read2st64_b32 v[12:13], v12 offset0:30 offset1:45
	v_readlane_b32 s0, v222, 48
	s_waitcnt lgkmcnt(2)
	v_cvt_f32_f16_e32 v16, v8
	v_cvt_f32_f16_sdwa v17, v8 dst_sel:DWORD dst_unused:UNUSED_PAD src0_sel:WORD_1
	v_cvt_f32_f16_e32 v8, v9
	v_cvt_f32_f16_sdwa v9, v9 dst_sel:DWORD dst_unused:UNUSED_PAD src0_sel:WORD_1
	v_mad_u64_u32 v[14:15], s[0:1], v1, s0, v[34:35]
	v_pk_fma_f32 v[16:17], v[6:7], v[16:17], 0 op_sel_hi:[0,1,0]
	v_mov_b32_e32 v6, v7
	v_pk_fma_f32 v[6:7], v[6:7], v[8:9], v[16:17] op_sel_hi:[0,1,1]
	s_waitcnt lgkmcnt(0)
	v_cvt_f32_f16_e32 v8, v12
	v_cvt_f32_f16_sdwa v9, v12 dst_sel:DWORD dst_unused:UNUSED_PAD src0_sel:WORD_1
	v_ashrrev_i32_e32 v15, 31, v14
	v_lshl_add_u64 v[14:15], v[14:15], 3, s[42:43]
	v_pk_fma_f32 v[6:7], v[10:11], v[8:9], v[6:7] op_sel_hi:[0,1,1]
	v_cvt_f32_f16_e32 v8, v13
	v_cvt_f32_f16_sdwa v9, v13 dst_sel:DWORD dst_unused:UNUSED_PAD src0_sel:WORD_1
	v_mov_b32_e32 v10, v11
	v_pk_fma_f32 v[6:7], v[10:11], v[8:9], v[6:7] op_sel_hi:[0,1,1]
	global_store_dwordx2 v[14:15], v[6:7], off
	v_mov_b32_e32 v6, 0
.LBB19_79:                              ;   in Loop: Header=BB19_14 Depth=1
	s_or_b64 exec, exec, s[28:29]
	s_movk_i32 s0, 0x47
	v_cmp_gt_i32_e32 vcc, s0, v6
	s_mov_b64 s[0:1], -1
	s_and_saveexec_b64 s[28:29], vcc
; %bb.80:                               ;   in Loop: Header=BB19_14 Depth=1
	v_cmp_eq_u32_e32 vcc, 0, v6
	s_orn2_b64 s[0:1], vcc, exec
; %bb.81:                               ;   in Loop: Header=BB19_14 Depth=1
	s_or_b64 exec, exec, s[28:29]
	s_and_saveexec_b64 s[28:29], s[0:1]
	s_cbranch_execz .LBB19_114
; %bb.82:                               ;   in Loop: Header=BB19_14 Depth=1
	v_add_u32_e32 v1, s83, v121
	v_cmp_gt_i32_e32 vcc, s60, v1
	v_mov_b32_e32 v6, 0x47
	s_and_saveexec_b64 s[30:31], vcc
	s_cbranch_execz .LBB19_84
; %bb.83:                               ;   in Loop: Header=BB19_14 Depth=1
	v_add_u32_e32 v6, 0, v142
	v_add_u32_e32 v10, 0xe0, v6
	v_add_u32_e32 v12, v157, v142
	ds_read2st64_b32 v[6:7], v10 offset1:15
	ds_read2st64_b32 v[8:9], v12 offset1:15
	ds_read2st64_b32 v[10:11], v10 offset0:30 offset1:45
	ds_read2st64_b32 v[12:13], v12 offset0:30 offset1:45
	v_readlane_b32 s0, v222, 48
	s_waitcnt lgkmcnt(2)
	v_cvt_f32_f16_e32 v16, v8
	v_cvt_f32_f16_sdwa v17, v8 dst_sel:DWORD dst_unused:UNUSED_PAD src0_sel:WORD_1
	v_cvt_f32_f16_e32 v8, v9
	v_cvt_f32_f16_sdwa v9, v9 dst_sel:DWORD dst_unused:UNUSED_PAD src0_sel:WORD_1
	v_mad_u64_u32 v[14:15], s[0:1], v1, s0, v[34:35]
	v_pk_fma_f32 v[16:17], v[6:7], v[16:17], 0 op_sel_hi:[0,1,0]
	v_mov_b32_e32 v6, v7
	v_pk_fma_f32 v[6:7], v[6:7], v[8:9], v[16:17] op_sel_hi:[0,1,1]
	s_waitcnt lgkmcnt(0)
	v_cvt_f32_f16_e32 v8, v12
	v_cvt_f32_f16_sdwa v9, v12 dst_sel:DWORD dst_unused:UNUSED_PAD src0_sel:WORD_1
	v_ashrrev_i32_e32 v15, 31, v14
	v_lshl_add_u64 v[14:15], v[14:15], 3, s[42:43]
	v_pk_fma_f32 v[6:7], v[10:11], v[8:9], v[6:7] op_sel_hi:[0,1,1]
	v_cvt_f32_f16_e32 v8, v13
	v_cvt_f32_f16_sdwa v9, v13 dst_sel:DWORD dst_unused:UNUSED_PAD src0_sel:WORD_1
	v_mov_b32_e32 v10, v11
	v_pk_fma_f32 v[6:7], v[10:11], v[8:9], v[6:7] op_sel_hi:[0,1,1]
	global_store_dwordx2 v[14:15], v[6:7], off
	v_mov_b32_e32 v6, 0
.LBB19_84:                              ;   in Loop: Header=BB19_14 Depth=1
	s_or_b64 exec, exec, s[30:31]
	s_movk_i32 s0, 0x47
	v_cmp_gt_i32_e32 vcc, s0, v6
	s_mov_b64 s[0:1], -1
	s_and_saveexec_b64 s[30:31], vcc
; %bb.85:                               ;   in Loop: Header=BB19_14 Depth=1
	v_cmp_eq_u32_e32 vcc, 0, v6
	s_orn2_b64 s[0:1], vcc, exec
; %bb.86:                               ;   in Loop: Header=BB19_14 Depth=1
	s_or_b64 exec, exec, s[30:31]
	s_and_b64 exec, exec, s[0:1]
	s_cbranch_execz .LBB19_114
; %bb.87:                               ;   in Loop: Header=BB19_14 Depth=1
	v_add_u32_e32 v1, s83, v122
	v_cmp_gt_i32_e32 vcc, s60, v1
	v_mov_b32_e32 v6, 0x47
	s_and_saveexec_b64 s[30:31], vcc
	s_cbranch_execz .LBB19_89
; %bb.88:                               ;   in Loop: Header=BB19_14 Depth=1
	v_add_u32_e32 v6, 0, v143
	v_add_u32_e32 v10, 0xe0, v6
	v_add_u32_e32 v12, v157, v143
	ds_read2st64_b32 v[6:7], v10 offset1:15
	ds_read2st64_b32 v[8:9], v12 offset1:15
	ds_read2st64_b32 v[10:11], v10 offset0:30 offset1:45
	ds_read2st64_b32 v[12:13], v12 offset0:30 offset1:45
	v_readlane_b32 s0, v222, 48
	s_waitcnt lgkmcnt(2)
	v_cvt_f32_f16_e32 v16, v8
	v_cvt_f32_f16_sdwa v17, v8 dst_sel:DWORD dst_unused:UNUSED_PAD src0_sel:WORD_1
	v_cvt_f32_f16_e32 v8, v9
	v_cvt_f32_f16_sdwa v9, v9 dst_sel:DWORD dst_unused:UNUSED_PAD src0_sel:WORD_1
	v_mad_u64_u32 v[14:15], s[0:1], v1, s0, v[34:35]
	v_pk_fma_f32 v[16:17], v[6:7], v[16:17], 0 op_sel_hi:[0,1,0]
	v_mov_b32_e32 v6, v7
	v_pk_fma_f32 v[6:7], v[6:7], v[8:9], v[16:17] op_sel_hi:[0,1,1]
	s_waitcnt lgkmcnt(0)
	v_cvt_f32_f16_e32 v8, v12
	v_cvt_f32_f16_sdwa v9, v12 dst_sel:DWORD dst_unused:UNUSED_PAD src0_sel:WORD_1
	v_ashrrev_i32_e32 v15, 31, v14
	v_lshl_add_u64 v[14:15], v[14:15], 3, s[42:43]
	v_pk_fma_f32 v[6:7], v[10:11], v[8:9], v[6:7] op_sel_hi:[0,1,1]
	v_cvt_f32_f16_e32 v8, v13
	v_cvt_f32_f16_sdwa v9, v13 dst_sel:DWORD dst_unused:UNUSED_PAD src0_sel:WORD_1
	v_mov_b32_e32 v10, v11
	v_pk_fma_f32 v[6:7], v[10:11], v[8:9], v[6:7] op_sel_hi:[0,1,1]
	global_store_dwordx2 v[14:15], v[6:7], off
	v_mov_b32_e32 v6, 0
.LBB19_89:                              ;   in Loop: Header=BB19_14 Depth=1
	s_or_b64 exec, exec, s[30:31]
	s_movk_i32 s0, 0x47
	v_cmp_gt_i32_e32 vcc, s0, v6
	s_mov_b64 s[0:1], -1
	s_and_saveexec_b64 s[30:31], vcc
; %bb.90:                               ;   in Loop: Header=BB19_14 Depth=1
	v_cmp_eq_u32_e32 vcc, 0, v6
	s_orn2_b64 s[0:1], vcc, exec
; %bb.91:                               ;   in Loop: Header=BB19_14 Depth=1
	s_or_b64 exec, exec, s[30:31]
	s_and_b64 exec, exec, s[0:1]
	s_cbranch_execz .LBB19_114
; %bb.92:                               ;   in Loop: Header=BB19_14 Depth=1
	v_add_u32_e32 v1, s83, v123
	v_cmp_gt_i32_e32 vcc, s60, v1
	v_mov_b32_e32 v6, 0x47
	s_and_saveexec_b64 s[30:31], vcc
	s_cbranch_execz .LBB19_94
; %bb.93:                               ;   in Loop: Header=BB19_14 Depth=1
	v_add_u32_e32 v6, 0, v144
	v_add_u32_e32 v10, 0xe0, v6
	v_add_u32_e32 v12, v157, v144
	ds_read2st64_b32 v[6:7], v10 offset1:15
	ds_read2st64_b32 v[8:9], v12 offset1:15
	ds_read2st64_b32 v[10:11], v10 offset0:30 offset1:45
	ds_read2st64_b32 v[12:13], v12 offset0:30 offset1:45
	v_readlane_b32 s0, v222, 48
	s_waitcnt lgkmcnt(2)
	v_cvt_f32_f16_e32 v16, v8
	v_cvt_f32_f16_sdwa v17, v8 dst_sel:DWORD dst_unused:UNUSED_PAD src0_sel:WORD_1
	v_cvt_f32_f16_e32 v8, v9
	v_cvt_f32_f16_sdwa v9, v9 dst_sel:DWORD dst_unused:UNUSED_PAD src0_sel:WORD_1
	v_mad_u64_u32 v[14:15], s[0:1], v1, s0, v[34:35]
	v_pk_fma_f32 v[16:17], v[6:7], v[16:17], 0 op_sel_hi:[0,1,0]
	v_mov_b32_e32 v6, v7
	v_pk_fma_f32 v[6:7], v[6:7], v[8:9], v[16:17] op_sel_hi:[0,1,1]
	s_waitcnt lgkmcnt(0)
	v_cvt_f32_f16_e32 v8, v12
	v_cvt_f32_f16_sdwa v9, v12 dst_sel:DWORD dst_unused:UNUSED_PAD src0_sel:WORD_1
	v_ashrrev_i32_e32 v15, 31, v14
	v_lshl_add_u64 v[14:15], v[14:15], 3, s[42:43]
	v_pk_fma_f32 v[6:7], v[10:11], v[8:9], v[6:7] op_sel_hi:[0,1,1]
	v_cvt_f32_f16_e32 v8, v13
	v_cvt_f32_f16_sdwa v9, v13 dst_sel:DWORD dst_unused:UNUSED_PAD src0_sel:WORD_1
	v_mov_b32_e32 v10, v11
	v_pk_fma_f32 v[6:7], v[10:11], v[8:9], v[6:7] op_sel_hi:[0,1,1]
	global_store_dwordx2 v[14:15], v[6:7], off
	v_mov_b32_e32 v6, 0
.LBB19_94:                              ;   in Loop: Header=BB19_14 Depth=1
	s_or_b64 exec, exec, s[30:31]
	s_movk_i32 s0, 0x47
	v_cmp_gt_i32_e32 vcc, s0, v6
	s_mov_b64 s[0:1], -1
	s_and_saveexec_b64 s[30:31], vcc
; %bb.95:                               ;   in Loop: Header=BB19_14 Depth=1
	v_cmp_eq_u32_e32 vcc, 0, v6
	s_orn2_b64 s[0:1], vcc, exec
; %bb.96:                               ;   in Loop: Header=BB19_14 Depth=1
	s_or_b64 exec, exec, s[30:31]
	s_and_b64 exec, exec, s[0:1]
	s_cbranch_execz .LBB19_114
; %bb.97:                               ;   in Loop: Header=BB19_14 Depth=1
	v_add_u32_e32 v1, s83, v124
	v_cmp_gt_i32_e32 vcc, s60, v1
	v_mov_b32_e32 v6, 0x47
	s_and_saveexec_b64 s[30:31], vcc
	s_cbranch_execz .LBB19_99
; %bb.98:                               ;   in Loop: Header=BB19_14 Depth=1
	v_add_u32_e32 v6, 0, v145
	v_add_u32_e32 v10, 0xe0, v6
	;; [unrolled: 1-line block ×3, first 2 shown]
	ds_read2st64_b32 v[6:7], v10 offset1:15
	ds_read2st64_b32 v[8:9], v12 offset1:15
	ds_read2st64_b32 v[10:11], v10 offset0:30 offset1:45
	ds_read2st64_b32 v[12:13], v12 offset0:30 offset1:45
	v_readlane_b32 s0, v222, 48
	s_waitcnt lgkmcnt(2)
	v_cvt_f32_f16_e32 v16, v8
	v_cvt_f32_f16_sdwa v17, v8 dst_sel:DWORD dst_unused:UNUSED_PAD src0_sel:WORD_1
	v_cvt_f32_f16_e32 v8, v9
	v_cvt_f32_f16_sdwa v9, v9 dst_sel:DWORD dst_unused:UNUSED_PAD src0_sel:WORD_1
	v_mad_u64_u32 v[14:15], s[0:1], v1, s0, v[34:35]
	v_pk_fma_f32 v[16:17], v[6:7], v[16:17], 0 op_sel_hi:[0,1,0]
	v_mov_b32_e32 v6, v7
	v_pk_fma_f32 v[6:7], v[6:7], v[8:9], v[16:17] op_sel_hi:[0,1,1]
	s_waitcnt lgkmcnt(0)
	v_cvt_f32_f16_e32 v8, v12
	v_cvt_f32_f16_sdwa v9, v12 dst_sel:DWORD dst_unused:UNUSED_PAD src0_sel:WORD_1
	v_ashrrev_i32_e32 v15, 31, v14
	v_lshl_add_u64 v[14:15], v[14:15], 3, s[42:43]
	v_pk_fma_f32 v[6:7], v[10:11], v[8:9], v[6:7] op_sel_hi:[0,1,1]
	v_cvt_f32_f16_e32 v8, v13
	v_cvt_f32_f16_sdwa v9, v13 dst_sel:DWORD dst_unused:UNUSED_PAD src0_sel:WORD_1
	v_mov_b32_e32 v10, v11
	v_pk_fma_f32 v[6:7], v[10:11], v[8:9], v[6:7] op_sel_hi:[0,1,1]
	global_store_dwordx2 v[14:15], v[6:7], off
	v_mov_b32_e32 v6, 0
.LBB19_99:                              ;   in Loop: Header=BB19_14 Depth=1
	s_or_b64 exec, exec, s[30:31]
	s_movk_i32 s0, 0x47
	v_cmp_gt_i32_e32 vcc, s0, v6
	s_mov_b64 s[0:1], -1
	s_and_saveexec_b64 s[30:31], vcc
; %bb.100:                              ;   in Loop: Header=BB19_14 Depth=1
	v_cmp_eq_u32_e32 vcc, 0, v6
	s_orn2_b64 s[0:1], vcc, exec
; %bb.101:                              ;   in Loop: Header=BB19_14 Depth=1
	s_or_b64 exec, exec, s[30:31]
	s_and_b64 exec, exec, s[0:1]
	s_cbranch_execz .LBB19_114
; %bb.102:                              ;   in Loop: Header=BB19_14 Depth=1
	v_add_u32_e32 v1, s83, v125
	v_cmp_gt_i32_e32 vcc, s60, v1
	v_mov_b32_e32 v6, 0x47
	s_and_saveexec_b64 s[30:31], vcc
	s_cbranch_execz .LBB19_104
; %bb.103:                              ;   in Loop: Header=BB19_14 Depth=1
	v_add_u32_e32 v6, 0, v146
	v_add_u32_e32 v10, 0xe0, v6
	;; [unrolled: 1-line block ×3, first 2 shown]
	ds_read2st64_b32 v[6:7], v10 offset1:15
	ds_read2st64_b32 v[8:9], v12 offset1:15
	ds_read2st64_b32 v[10:11], v10 offset0:30 offset1:45
	ds_read2st64_b32 v[12:13], v12 offset0:30 offset1:45
	v_readlane_b32 s0, v222, 48
	s_waitcnt lgkmcnt(2)
	v_cvt_f32_f16_e32 v16, v8
	v_cvt_f32_f16_sdwa v17, v8 dst_sel:DWORD dst_unused:UNUSED_PAD src0_sel:WORD_1
	v_cvt_f32_f16_e32 v8, v9
	v_cvt_f32_f16_sdwa v9, v9 dst_sel:DWORD dst_unused:UNUSED_PAD src0_sel:WORD_1
	v_mad_u64_u32 v[14:15], s[0:1], v1, s0, v[34:35]
	v_pk_fma_f32 v[16:17], v[6:7], v[16:17], 0 op_sel_hi:[0,1,0]
	v_mov_b32_e32 v6, v7
	v_pk_fma_f32 v[6:7], v[6:7], v[8:9], v[16:17] op_sel_hi:[0,1,1]
	s_waitcnt lgkmcnt(0)
	v_cvt_f32_f16_e32 v8, v12
	v_cvt_f32_f16_sdwa v9, v12 dst_sel:DWORD dst_unused:UNUSED_PAD src0_sel:WORD_1
	v_ashrrev_i32_e32 v15, 31, v14
	v_lshl_add_u64 v[14:15], v[14:15], 3, s[42:43]
	v_pk_fma_f32 v[6:7], v[10:11], v[8:9], v[6:7] op_sel_hi:[0,1,1]
	v_cvt_f32_f16_e32 v8, v13
	v_cvt_f32_f16_sdwa v9, v13 dst_sel:DWORD dst_unused:UNUSED_PAD src0_sel:WORD_1
	v_mov_b32_e32 v10, v11
	v_pk_fma_f32 v[6:7], v[10:11], v[8:9], v[6:7] op_sel_hi:[0,1,1]
	global_store_dwordx2 v[14:15], v[6:7], off
	v_mov_b32_e32 v6, 0
.LBB19_104:                             ;   in Loop: Header=BB19_14 Depth=1
	s_or_b64 exec, exec, s[30:31]
	s_movk_i32 s0, 0x47
	v_cmp_gt_i32_e32 vcc, s0, v6
	s_mov_b64 s[0:1], -1
	s_and_saveexec_b64 s[30:31], vcc
; %bb.105:                              ;   in Loop: Header=BB19_14 Depth=1
	v_cmp_eq_u32_e32 vcc, 0, v6
	s_orn2_b64 s[0:1], vcc, exec
; %bb.106:                              ;   in Loop: Header=BB19_14 Depth=1
	s_or_b64 exec, exec, s[30:31]
	s_and_b64 exec, exec, s[0:1]
	s_cbranch_execz .LBB19_114
; %bb.107:                              ;   in Loop: Header=BB19_14 Depth=1
	v_add_u32_e32 v1, s83, v126
	v_cmp_gt_i32_e32 vcc, s60, v1
	v_mov_b32_e32 v6, 0x47
	s_and_saveexec_b64 s[30:31], vcc
	s_cbranch_execz .LBB19_109
; %bb.108:                              ;   in Loop: Header=BB19_14 Depth=1
	v_add_u32_e32 v6, 0, v147
	v_add_u32_e32 v10, 0xe0, v6
	;; [unrolled: 1-line block ×3, first 2 shown]
	ds_read2st64_b32 v[6:7], v10 offset1:15
	ds_read2st64_b32 v[8:9], v12 offset1:15
	ds_read2st64_b32 v[10:11], v10 offset0:30 offset1:45
	ds_read2st64_b32 v[12:13], v12 offset0:30 offset1:45
	v_readlane_b32 s0, v222, 48
	s_waitcnt lgkmcnt(2)
	v_cvt_f32_f16_e32 v16, v8
	v_cvt_f32_f16_sdwa v17, v8 dst_sel:DWORD dst_unused:UNUSED_PAD src0_sel:WORD_1
	v_cvt_f32_f16_e32 v8, v9
	v_cvt_f32_f16_sdwa v9, v9 dst_sel:DWORD dst_unused:UNUSED_PAD src0_sel:WORD_1
	v_mad_u64_u32 v[14:15], s[0:1], v1, s0, v[34:35]
	v_pk_fma_f32 v[16:17], v[6:7], v[16:17], 0 op_sel_hi:[0,1,0]
	v_mov_b32_e32 v6, v7
	v_pk_fma_f32 v[6:7], v[6:7], v[8:9], v[16:17] op_sel_hi:[0,1,1]
	s_waitcnt lgkmcnt(0)
	v_cvt_f32_f16_e32 v8, v12
	v_cvt_f32_f16_sdwa v9, v12 dst_sel:DWORD dst_unused:UNUSED_PAD src0_sel:WORD_1
	v_ashrrev_i32_e32 v15, 31, v14
	v_lshl_add_u64 v[14:15], v[14:15], 3, s[42:43]
	v_pk_fma_f32 v[6:7], v[10:11], v[8:9], v[6:7] op_sel_hi:[0,1,1]
	v_cvt_f32_f16_e32 v8, v13
	v_cvt_f32_f16_sdwa v9, v13 dst_sel:DWORD dst_unused:UNUSED_PAD src0_sel:WORD_1
	v_mov_b32_e32 v10, v11
	v_pk_fma_f32 v[6:7], v[10:11], v[8:9], v[6:7] op_sel_hi:[0,1,1]
	global_store_dwordx2 v[14:15], v[6:7], off
	v_mov_b32_e32 v6, 0
.LBB19_109:                             ;   in Loop: Header=BB19_14 Depth=1
	s_or_b64 exec, exec, s[30:31]
	s_movk_i32 s0, 0x47
	v_cmp_gt_i32_e32 vcc, s0, v6
	s_mov_b64 s[0:1], -1
	s_and_saveexec_b64 s[30:31], vcc
; %bb.110:                              ;   in Loop: Header=BB19_14 Depth=1
	v_cmp_eq_u32_e32 vcc, 0, v6
	s_orn2_b64 s[0:1], vcc, exec
; %bb.111:                              ;   in Loop: Header=BB19_14 Depth=1
	s_or_b64 exec, exec, s[30:31]
	s_and_b64 exec, exec, s[0:1]
	s_cbranch_execz .LBB19_114
; %bb.112:                              ;   in Loop: Header=BB19_14 Depth=1
	v_add_u32_e32 v1, s83, v127
	v_cmp_gt_i32_e32 vcc, s60, v1
	s_and_b64 exec, exec, vcc
	s_cbranch_execz .LBB19_114
; %bb.113:                              ;   in Loop: Header=BB19_14 Depth=1
	v_add_u32_e32 v6, 0, v148
	v_add_u32_e32 v10, 0xe0, v6
	;; [unrolled: 1-line block ×3, first 2 shown]
	ds_read2st64_b32 v[6:7], v10 offset1:15
	ds_read2st64_b32 v[8:9], v12 offset1:15
	ds_read2st64_b32 v[10:11], v10 offset0:30 offset1:45
	ds_read2st64_b32 v[12:13], v12 offset0:30 offset1:45
	v_readlane_b32 s0, v222, 48
	s_waitcnt lgkmcnt(2)
	v_cvt_f32_f16_e32 v16, v8
	v_cvt_f32_f16_sdwa v17, v8 dst_sel:DWORD dst_unused:UNUSED_PAD src0_sel:WORD_1
	v_cvt_f32_f16_e32 v8, v9
	v_cvt_f32_f16_sdwa v9, v9 dst_sel:DWORD dst_unused:UNUSED_PAD src0_sel:WORD_1
	v_mad_u64_u32 v[14:15], s[0:1], v1, s0, v[34:35]
	v_pk_fma_f32 v[16:17], v[6:7], v[16:17], 0 op_sel_hi:[0,1,0]
	v_mov_b32_e32 v6, v7
	v_pk_fma_f32 v[6:7], v[6:7], v[8:9], v[16:17] op_sel_hi:[0,1,1]
	s_waitcnt lgkmcnt(0)
	v_cvt_f32_f16_e32 v8, v12
	v_cvt_f32_f16_sdwa v9, v12 dst_sel:DWORD dst_unused:UNUSED_PAD src0_sel:WORD_1
	v_ashrrev_i32_e32 v15, 31, v14
	v_lshl_add_u64 v[14:15], v[14:15], 3, s[42:43]
	v_pk_fma_f32 v[6:7], v[10:11], v[8:9], v[6:7] op_sel_hi:[0,1,1]
	v_cvt_f32_f16_e32 v8, v13
	v_cvt_f32_f16_sdwa v9, v13 dst_sel:DWORD dst_unused:UNUSED_PAD src0_sel:WORD_1
	v_mov_b32_e32 v10, v11
	v_pk_fma_f32 v[6:7], v[10:11], v[8:9], v[6:7] op_sel_hi:[0,1,1]
	global_store_dwordx2 v[14:15], v[6:7], off
.LBB19_114:                             ;   in Loop: Header=BB19_14 Depth=1
	s_or_b64 exec, exec, s[28:29]
	v_add_u32_e32 v6, s83, v119
	v_cmp_gt_i32_e32 vcc, s60, v6
	v_mov_b32_e32 v1, 0x47
	s_and_saveexec_b64 s[28:29], vcc
	s_cbranch_execz .LBB19_116
; %bb.115:                              ;   in Loop: Header=BB19_14 Depth=1
	v_add_u32_e32 v1, 0, v149
	v_add_u32_e32 v7, v158, v149
	;; [unrolled: 1-line block ×4, first 2 shown]
	ds_read2st64_b32 v[8:9], v1 offset1:15
	ds_read2st64_b32 v[10:11], v7 offset1:15
	ds_read2st64_b32 v[12:13], v1 offset0:30 offset1:45
	ds_read2st64_b32 v[14:15], v7 offset0:30 offset1:45
	v_readlane_b32 s0, v222, 48
	v_mov_b32_e32 v1, 0
	s_waitcnt lgkmcnt(2)
	v_cvt_f32_f16_e32 v16, v10
	v_cvt_f32_f16_sdwa v17, v10 dst_sel:DWORD dst_unused:UNUSED_PAD src0_sel:WORD_1
	v_cvt_f32_f16_e32 v10, v11
	v_cvt_f32_f16_sdwa v11, v11 dst_sel:DWORD dst_unused:UNUSED_PAD src0_sel:WORD_1
	v_mul_lo_u32 v6, v6, s0
	v_pk_fma_f32 v[16:17], v[8:9], v[16:17], 0 op_sel_hi:[0,1,0]
	v_mov_b32_e32 v8, v9
	v_pk_fma_f32 v[8:9], v[8:9], v[10:11], v[16:17] op_sel_hi:[0,1,1]
	s_waitcnt lgkmcnt(0)
	v_cvt_f32_f16_e32 v10, v14
	v_cvt_f32_f16_sdwa v11, v14 dst_sel:DWORD dst_unused:UNUSED_PAD src0_sel:WORD_1
	v_ashrrev_i32_e32 v7, 31, v6
	v_lshl_add_u64 v[6:7], v[6:7], 0, v[36:37]
	v_lshl_add_u64 v[6:7], v[6:7], 3, s[42:43]
	v_pk_fma_f32 v[8:9], v[12:13], v[10:11], v[8:9] op_sel_hi:[0,1,1]
	v_cvt_f32_f16_e32 v10, v15
	v_cvt_f32_f16_sdwa v11, v15 dst_sel:DWORD dst_unused:UNUSED_PAD src0_sel:WORD_1
	v_mov_b32_e32 v12, v13
	v_pk_fma_f32 v[8:9], v[12:13], v[10:11], v[8:9] op_sel_hi:[0,1,1]
	global_store_dwordx2 v[6:7], v[8:9], off offset:256
.LBB19_116:                             ;   in Loop: Header=BB19_14 Depth=1
	s_or_b64 exec, exec, s[28:29]
	s_movk_i32 s0, 0x47
	v_cmp_gt_i32_e32 vcc, s0, v1
	s_mov_b64 s[0:1], -1
	s_and_saveexec_b64 s[28:29], vcc
; %bb.117:                              ;   in Loop: Header=BB19_14 Depth=1
	v_cmp_eq_u32_e32 vcc, 0, v1
	s_orn2_b64 s[0:1], vcc, exec
; %bb.118:                              ;   in Loop: Header=BB19_14 Depth=1
	s_or_b64 exec, exec, s[28:29]
	s_and_saveexec_b64 s[28:29], s[0:1]
	s_cbranch_execz .LBB19_131
; %bb.119:                              ;   in Loop: Header=BB19_14 Depth=1
	v_add_u32_e32 v6, s83, v128
	v_cmp_gt_i32_e32 vcc, s60, v6
	v_mov_b32_e32 v1, 0x47
	s_and_saveexec_b64 s[30:31], vcc
	s_cbranch_execz .LBB19_121
; %bb.120:                              ;   in Loop: Header=BB19_14 Depth=1
	v_add_u32_e32 v1, 0, v150
	v_add_u32_e32 v7, v158, v150
	;; [unrolled: 1-line block ×4, first 2 shown]
	ds_read2st64_b32 v[8:9], v1 offset1:15
	ds_read2st64_b32 v[10:11], v7 offset1:15
	ds_read2st64_b32 v[12:13], v1 offset0:30 offset1:45
	ds_read2st64_b32 v[14:15], v7 offset0:30 offset1:45
	v_readlane_b32 s0, v222, 48
	v_mov_b32_e32 v1, 0
	s_waitcnt lgkmcnt(2)
	v_cvt_f32_f16_e32 v16, v10
	v_cvt_f32_f16_sdwa v17, v10 dst_sel:DWORD dst_unused:UNUSED_PAD src0_sel:WORD_1
	v_cvt_f32_f16_e32 v10, v11
	v_cvt_f32_f16_sdwa v11, v11 dst_sel:DWORD dst_unused:UNUSED_PAD src0_sel:WORD_1
	v_mul_lo_u32 v6, v6, s0
	v_pk_fma_f32 v[16:17], v[8:9], v[16:17], 0 op_sel_hi:[0,1,0]
	v_mov_b32_e32 v8, v9
	v_pk_fma_f32 v[8:9], v[8:9], v[10:11], v[16:17] op_sel_hi:[0,1,1]
	s_waitcnt lgkmcnt(0)
	v_cvt_f32_f16_e32 v10, v14
	v_cvt_f32_f16_sdwa v11, v14 dst_sel:DWORD dst_unused:UNUSED_PAD src0_sel:WORD_1
	v_ashrrev_i32_e32 v7, 31, v6
	v_lshl_add_u64 v[6:7], v[6:7], 0, v[36:37]
	v_lshl_add_u64 v[6:7], v[6:7], 3, s[42:43]
	v_pk_fma_f32 v[8:9], v[12:13], v[10:11], v[8:9] op_sel_hi:[0,1,1]
	v_cvt_f32_f16_e32 v10, v15
	v_cvt_f32_f16_sdwa v11, v15 dst_sel:DWORD dst_unused:UNUSED_PAD src0_sel:WORD_1
	v_mov_b32_e32 v12, v13
	v_pk_fma_f32 v[8:9], v[12:13], v[10:11], v[8:9] op_sel_hi:[0,1,1]
	global_store_dwordx2 v[6:7], v[8:9], off offset:256
.LBB19_121:                             ;   in Loop: Header=BB19_14 Depth=1
	s_or_b64 exec, exec, s[30:31]
	s_movk_i32 s0, 0x47
	v_cmp_gt_i32_e32 vcc, s0, v1
	s_mov_b64 s[0:1], -1
	s_and_saveexec_b64 s[30:31], vcc
; %bb.122:                              ;   in Loop: Header=BB19_14 Depth=1
	v_cmp_eq_u32_e32 vcc, 0, v1
	s_orn2_b64 s[0:1], vcc, exec
; %bb.123:                              ;   in Loop: Header=BB19_14 Depth=1
	s_or_b64 exec, exec, s[30:31]
	s_and_b64 exec, exec, s[0:1]
	s_cbranch_execz .LBB19_131
; %bb.124:                              ;   in Loop: Header=BB19_14 Depth=1
	v_add_u32_e32 v6, s83, v129
	v_cmp_gt_i32_e32 vcc, s60, v6
	v_mov_b32_e32 v1, 0x47
	s_and_saveexec_b64 s[30:31], vcc
	s_cbranch_execz .LBB19_126
; %bb.125:                              ;   in Loop: Header=BB19_14 Depth=1
	v_add_u32_e32 v1, 0, v151
	v_add_u32_e32 v7, v158, v151
	;; [unrolled: 1-line block ×4, first 2 shown]
	ds_read2st64_b32 v[8:9], v1 offset1:15
	ds_read2st64_b32 v[10:11], v7 offset1:15
	ds_read2st64_b32 v[12:13], v1 offset0:30 offset1:45
	ds_read2st64_b32 v[14:15], v7 offset0:30 offset1:45
	v_readlane_b32 s0, v222, 48
	v_mov_b32_e32 v1, 0
	s_waitcnt lgkmcnt(2)
	v_cvt_f32_f16_e32 v16, v10
	v_cvt_f32_f16_sdwa v17, v10 dst_sel:DWORD dst_unused:UNUSED_PAD src0_sel:WORD_1
	v_cvt_f32_f16_e32 v10, v11
	v_cvt_f32_f16_sdwa v11, v11 dst_sel:DWORD dst_unused:UNUSED_PAD src0_sel:WORD_1
	v_mul_lo_u32 v6, v6, s0
	v_pk_fma_f32 v[16:17], v[8:9], v[16:17], 0 op_sel_hi:[0,1,0]
	v_mov_b32_e32 v8, v9
	v_pk_fma_f32 v[8:9], v[8:9], v[10:11], v[16:17] op_sel_hi:[0,1,1]
	s_waitcnt lgkmcnt(0)
	v_cvt_f32_f16_e32 v10, v14
	v_cvt_f32_f16_sdwa v11, v14 dst_sel:DWORD dst_unused:UNUSED_PAD src0_sel:WORD_1
	v_ashrrev_i32_e32 v7, 31, v6
	v_lshl_add_u64 v[6:7], v[6:7], 0, v[36:37]
	v_lshl_add_u64 v[6:7], v[6:7], 3, s[42:43]
	v_pk_fma_f32 v[8:9], v[12:13], v[10:11], v[8:9] op_sel_hi:[0,1,1]
	v_cvt_f32_f16_e32 v10, v15
	v_cvt_f32_f16_sdwa v11, v15 dst_sel:DWORD dst_unused:UNUSED_PAD src0_sel:WORD_1
	v_mov_b32_e32 v12, v13
	v_pk_fma_f32 v[8:9], v[12:13], v[10:11], v[8:9] op_sel_hi:[0,1,1]
	global_store_dwordx2 v[6:7], v[8:9], off offset:256
.LBB19_126:                             ;   in Loop: Header=BB19_14 Depth=1
	s_or_b64 exec, exec, s[30:31]
	s_movk_i32 s0, 0x47
	v_cmp_gt_i32_e32 vcc, s0, v1
	s_mov_b64 s[0:1], -1
	s_and_saveexec_b64 s[30:31], vcc
; %bb.127:                              ;   in Loop: Header=BB19_14 Depth=1
	v_cmp_eq_u32_e32 vcc, 0, v1
	s_orn2_b64 s[0:1], vcc, exec
; %bb.128:                              ;   in Loop: Header=BB19_14 Depth=1
	s_or_b64 exec, exec, s[30:31]
	s_and_b64 exec, exec, s[0:1]
	s_cbranch_execz .LBB19_131
; %bb.129:                              ;   in Loop: Header=BB19_14 Depth=1
	v_add_u32_e32 v1, s83, v130
	v_cmp_gt_i32_e32 vcc, s60, v1
	s_and_b64 exec, exec, vcc
	s_cbranch_execz .LBB19_131
; %bb.130:                              ;   in Loop: Header=BB19_14 Depth=1
	v_readlane_b32 s0, v222, 48
	v_add_u32_e32 v7, v158, v152
	v_add_u32_e32 v7, 0x80, v7
	v_mul_lo_u32 v6, v1, s0
	v_add_u32_e32 v1, 0, v152
	v_add_u32_e32 v1, 0xe0, v1
	ds_read2st64_b32 v[8:9], v1 offset1:15
	ds_read2st64_b32 v[10:11], v7 offset1:15
	ds_read2st64_b32 v[12:13], v1 offset0:30 offset1:45
	ds_read2st64_b32 v[14:15], v7 offset0:30 offset1:45
	v_ashrrev_i32_e32 v7, 31, v6
	v_lshl_add_u64 v[6:7], v[6:7], 0, v[36:37]
	s_waitcnt lgkmcnt(2)
	v_cvt_f32_f16_e32 v16, v10
	v_cvt_f32_f16_sdwa v17, v10 dst_sel:DWORD dst_unused:UNUSED_PAD src0_sel:WORD_1
	v_cvt_f32_f16_e32 v10, v11
	v_cvt_f32_f16_sdwa v11, v11 dst_sel:DWORD dst_unused:UNUSED_PAD src0_sel:WORD_1
	v_lshl_add_u64 v[6:7], v[6:7], 3, s[42:43]
	v_pk_fma_f32 v[16:17], v[8:9], v[16:17], 0 op_sel_hi:[0,1,0]
	v_mov_b32_e32 v8, v9
	v_pk_fma_f32 v[8:9], v[8:9], v[10:11], v[16:17] op_sel_hi:[0,1,1]
	s_waitcnt lgkmcnt(0)
	v_cvt_f32_f16_e32 v10, v14
	v_cvt_f32_f16_sdwa v11, v14 dst_sel:DWORD dst_unused:UNUSED_PAD src0_sel:WORD_1
	v_pk_fma_f32 v[8:9], v[12:13], v[10:11], v[8:9] op_sel_hi:[0,1,1]
	v_cvt_f32_f16_e32 v10, v15
	v_cvt_f32_f16_sdwa v11, v15 dst_sel:DWORD dst_unused:UNUSED_PAD src0_sel:WORD_1
	v_mov_b32_e32 v12, v13
	v_pk_fma_f32 v[8:9], v[12:13], v[10:11], v[8:9] op_sel_hi:[0,1,1]
	global_store_dwordx2 v[6:7], v[8:9], off offset:256
.LBB19_131:                             ;   in Loop: Header=BB19_14 Depth=1
	s_or_b64 exec, exec, s[28:29]
	v_add_u32_e32 v6, s83, v120
	v_cmp_gt_i32_e32 vcc, s60, v6
	v_mov_b32_e32 v1, 0x47
	s_and_saveexec_b64 s[28:29], vcc
	s_cbranch_execz .LBB19_133
; %bb.132:                              ;   in Loop: Header=BB19_14 Depth=1
	v_add_u32_e32 v1, 0, v153
	v_add_u32_e32 v7, v140, v153
	;; [unrolled: 1-line block ×4, first 2 shown]
	ds_read2st64_b32 v[8:9], v1 offset1:15
	ds_read2st64_b32 v[10:11], v7 offset1:15
	ds_read2st64_b32 v[12:13], v1 offset0:30 offset1:45
	ds_read2st64_b32 v[14:15], v7 offset0:30 offset1:45
	v_readlane_b32 s0, v222, 48
	v_mov_b32_e32 v1, 0
	s_waitcnt lgkmcnt(2)
	v_cvt_f32_f16_e32 v16, v10
	v_cvt_f32_f16_sdwa v17, v10 dst_sel:DWORD dst_unused:UNUSED_PAD src0_sel:WORD_1
	v_cvt_f32_f16_e32 v10, v11
	v_cvt_f32_f16_sdwa v11, v11 dst_sel:DWORD dst_unused:UNUSED_PAD src0_sel:WORD_1
	v_mul_lo_u32 v6, v6, s0
	v_pk_fma_f32 v[16:17], v[8:9], v[16:17], 0 op_sel_hi:[0,1,0]
	v_mov_b32_e32 v8, v9
	v_pk_fma_f32 v[8:9], v[8:9], v[10:11], v[16:17] op_sel_hi:[0,1,1]
	s_waitcnt lgkmcnt(0)
	v_cvt_f32_f16_e32 v10, v14
	v_cvt_f32_f16_sdwa v11, v14 dst_sel:DWORD dst_unused:UNUSED_PAD src0_sel:WORD_1
	v_ashrrev_i32_e32 v7, 31, v6
	v_lshl_add_u64 v[6:7], v[6:7], 0, v[50:51]
	v_lshl_add_u64 v[6:7], v[6:7], 3, s[42:43]
	v_pk_fma_f32 v[8:9], v[12:13], v[10:11], v[8:9] op_sel_hi:[0,1,1]
	v_cvt_f32_f16_e32 v10, v15
	v_cvt_f32_f16_sdwa v11, v15 dst_sel:DWORD dst_unused:UNUSED_PAD src0_sel:WORD_1
	v_mov_b32_e32 v12, v13
	v_pk_fma_f32 v[8:9], v[12:13], v[10:11], v[8:9] op_sel_hi:[0,1,1]
	global_store_dwordx2 v[6:7], v[8:9], off offset:384
.LBB19_133:                             ;   in Loop: Header=BB19_14 Depth=1
	s_or_b64 exec, exec, s[28:29]
	s_movk_i32 s0, 0x47
	v_cmp_gt_i32_e32 vcc, s0, v1
	s_mov_b64 s[0:1], -1
	s_and_saveexec_b64 s[28:29], vcc
; %bb.134:                              ;   in Loop: Header=BB19_14 Depth=1
	v_cmp_eq_u32_e32 vcc, 0, v1
	s_orn2_b64 s[0:1], vcc, exec
; %bb.135:                              ;   in Loop: Header=BB19_14 Depth=1
	s_or_b64 exec, exec, s[28:29]
	s_and_b64 exec, exec, s[0:1]
	s_cbranch_execz .LBB19_138
; %bb.136:                              ;   in Loop: Header=BB19_14 Depth=1
	v_add_u32_e32 v1, s83, v131
	v_cmp_gt_i32_e32 vcc, s60, v1
	s_and_b64 exec, exec, vcc
	s_cbranch_execz .LBB19_138
; %bb.137:                              ;   in Loop: Header=BB19_14 Depth=1
	v_readlane_b32 s0, v222, 48
	v_add_u32_e32 v7, v140, v154
	v_add_u32_e32 v7, 0xc0, v7
	v_mul_lo_u32 v6, v1, s0
	v_add_u32_e32 v1, 0, v154
	v_add_u32_e32 v1, 0xe0, v1
	ds_read2st64_b32 v[8:9], v1 offset1:15
	ds_read2st64_b32 v[10:11], v7 offset1:15
	ds_read2st64_b32 v[12:13], v1 offset0:30 offset1:45
	ds_read2st64_b32 v[14:15], v7 offset0:30 offset1:45
	v_ashrrev_i32_e32 v7, 31, v6
	v_lshl_add_u64 v[6:7], v[6:7], 0, v[50:51]
	s_waitcnt lgkmcnt(2)
	v_cvt_f32_f16_e32 v16, v10
	v_cvt_f32_f16_sdwa v17, v10 dst_sel:DWORD dst_unused:UNUSED_PAD src0_sel:WORD_1
	v_cvt_f32_f16_e32 v10, v11
	v_cvt_f32_f16_sdwa v11, v11 dst_sel:DWORD dst_unused:UNUSED_PAD src0_sel:WORD_1
	v_lshl_add_u64 v[6:7], v[6:7], 3, s[42:43]
	v_pk_fma_f32 v[16:17], v[8:9], v[16:17], 0 op_sel_hi:[0,1,0]
	v_mov_b32_e32 v8, v9
	v_pk_fma_f32 v[8:9], v[8:9], v[10:11], v[16:17] op_sel_hi:[0,1,1]
	s_waitcnt lgkmcnt(0)
	v_cvt_f32_f16_e32 v10, v14
	v_cvt_f32_f16_sdwa v11, v14 dst_sel:DWORD dst_unused:UNUSED_PAD src0_sel:WORD_1
	v_pk_fma_f32 v[8:9], v[12:13], v[10:11], v[8:9] op_sel_hi:[0,1,1]
	v_cvt_f32_f16_e32 v10, v15
	v_cvt_f32_f16_sdwa v11, v15 dst_sel:DWORD dst_unused:UNUSED_PAD src0_sel:WORD_1
	v_mov_b32_e32 v12, v13
	v_pk_fma_f32 v[8:9], v[12:13], v[10:11], v[8:9] op_sel_hi:[0,1,1]
	global_store_dwordx2 v[6:7], v[8:9], off offset:384
.LBB19_138:                             ;   in Loop: Header=BB19_14 Depth=1
	s_or_b64 exec, exec, s[26:27]
	s_barrier
	s_branch .LBB19_13
.LBB19_139:                             ;   in Loop: Header=BB19_14 Depth=1
	s_lshl_b32 s92, s82, 4
	v_add_u32_e32 v1, s92, v156
	v_cmp_le_i32_e32 vcc, s60, v1
	s_and_saveexec_b64 s[0:1], vcc
	s_xor_b64 s[0:1], exec, s[0:1]
; %bb.140:                              ;   in Loop: Header=BB19_14 Depth=1
	v_add_u32_e32 v1, v157, v169
	ds_write_b32 v1, v45
                                        ; implicit-def: $vgpr1
; %bb.141:                              ;   in Loop: Header=BB19_14 Depth=1
	s_andn2_saveexec_b64 s[0:1], s[0:1]
	s_cbranch_execz .LBB19_143
; %bb.142:                              ;   in Loop: Header=BB19_14 Depth=1
	v_readlane_b32 s26, v222, 17
	s_nop 1
	v_mad_u64_u32 v[6:7], s[26:27], v1, s26, v[34:35]
	v_ashrrev_i32_e32 v7, 31, v6
	v_lshl_add_u64 v[6:7], v[6:7], 3, s[80:81]
	global_load_dwordx2 v[6:7], v[6:7], off
	s_waitcnt vmcnt(0)
	v_cvt_pk_f16_f32 v1, v6, v7
	v_pk_mul_f16 v1, v1, v155
	v_add_u32_e32 v6, v157, v169
	ds_write_b32 v6, v1
.LBB19_143:                             ;   in Loop: Header=BB19_14 Depth=1
	s_or_b64 exec, exec, s[0:1]
	v_add_u32_e32 v1, s92, v170
	v_cmp_le_i32_e32 vcc, s60, v1
	s_and_saveexec_b64 s[0:1], vcc
	s_xor_b64 s[0:1], exec, s[0:1]
; %bb.144:                              ;   in Loop: Header=BB19_14 Depth=1
	v_add_u32_e32 v1, v157, v169
	ds_write_b32 v1, v45 offset:1920
                                        ; implicit-def: $vgpr1
; %bb.145:                              ;   in Loop: Header=BB19_14 Depth=1
	s_andn2_saveexec_b64 s[0:1], s[0:1]
	s_cbranch_execz .LBB19_147
; %bb.146:                              ;   in Loop: Header=BB19_14 Depth=1
	v_readlane_b32 s26, v222, 17
	s_nop 1
	v_mad_u64_u32 v[6:7], s[26:27], v1, s26, v[34:35]
	v_ashrrev_i32_e32 v7, 31, v6
	v_lshl_add_u64 v[6:7], v[6:7], 3, s[80:81]
	global_load_dwordx2 v[6:7], v[6:7], off
	s_waitcnt vmcnt(0)
	v_cvt_pk_f16_f32 v1, v6, v7
	v_pk_mul_f16 v1, v1, v155
	v_add_u32_e32 v6, v157, v169
	ds_write_b32 v6, v1 offset:1920
.LBB19_147:                             ;   in Loop: Header=BB19_14 Depth=1
	s_or_b64 exec, exec, s[0:1]
	v_add_u32_e32 v1, s92, v132
	v_cmp_le_i32_e32 vcc, s60, v1
	s_and_saveexec_b64 s[0:1], vcc
	s_xor_b64 s[0:1], exec, s[0:1]
; %bb.148:                              ;   in Loop: Header=BB19_14 Depth=1
	ds_write_b32 v159, v45 offset:128
                                        ; implicit-def: $vgpr1
; %bb.149:                              ;   in Loop: Header=BB19_14 Depth=1
	s_andn2_saveexec_b64 s[0:1], s[0:1]
	s_cbranch_execz .LBB19_151
; %bb.150:                              ;   in Loop: Header=BB19_14 Depth=1
	v_readlane_b32 s26, v222, 17
	s_nop 1
	v_mul_lo_u32 v6, v1, s26
	v_ashrrev_i32_e32 v7, 31, v6
	v_lshl_add_u64 v[6:7], v[6:7], 0, v[36:37]
	v_lshl_add_u64 v[6:7], v[6:7], 3, s[80:81]
	global_load_dwordx2 v[6:7], v[6:7], off offset:256
	s_waitcnt vmcnt(0)
	v_cvt_pk_f16_f32 v1, v6, v7
	v_pk_mul_f16 v1, v1, v155
	ds_write_b32 v159, v1 offset:128
.LBB19_151:                             ;   in Loop: Header=BB19_14 Depth=1
	s_or_b64 exec, exec, s[0:1]
	s_mov_b64 s[26:27], exec
	v_readlane_b32 s0, v222, 46
	v_readlane_b32 s1, v222, 47
	s_and_b64 s[0:1], s[26:27], s[0:1]
	s_mov_b64 exec, s[0:1]
	s_cbranch_execz .LBB19_156
; %bb.152:                              ;   in Loop: Header=BB19_14 Depth=1
	v_or_b32_e32 v1, s92, v133
	v_cmp_le_i32_e32 vcc, s60, v1
	s_and_saveexec_b64 s[0:1], vcc
	s_xor_b64 s[0:1], exec, s[0:1]
; %bb.153:                              ;   in Loop: Header=BB19_14 Depth=1
	ds_write_b32 v137, v45 offset:192
                                        ; implicit-def: $vgpr1
; %bb.154:                              ;   in Loop: Header=BB19_14 Depth=1
	s_andn2_saveexec_b64 s[0:1], s[0:1]
	s_cbranch_execz .LBB19_156
; %bb.155:                              ;   in Loop: Header=BB19_14 Depth=1
	v_readlane_b32 s0, v222, 17
	s_nop 1
	v_mul_lo_u32 v6, v1, s0
	v_ashrrev_i32_e32 v7, 31, v6
	v_lshl_add_u64 v[6:7], v[6:7], 0, v[50:51]
	v_lshl_add_u64 v[6:7], v[6:7], 3, s[80:81]
	global_load_dwordx2 v[6:7], v[6:7], off offset:384
	s_waitcnt vmcnt(0)
	v_cvt_pk_f16_f32 v1, v6, v7
	v_pk_mul_f16 v1, v1, v155
	ds_write_b32 v137, v1 offset:192
.LBB19_156:                             ;   in Loop: Header=BB19_14 Depth=1
	s_or_b64 exec, exec, s[26:27]
	s_waitcnt lgkmcnt(0)
	s_barrier
	ds_read2_b64 v[14:17], v41 offset1:4
	ds_read2_b64 v[10:13], v41 offset0:8 offset1:12
	ds_read2_b64 v[6:9], v41 offset0:16 offset1:20
	ds_read_b64 v[22:23], v41 offset:192
	s_cmp_lt_i32 s87, 2
	s_waitcnt lgkmcnt(0)
	s_barrier
	s_cbranch_scc1 .LBB19_169
; %bb.157:                              ;   in Loop: Header=BB19_14 Depth=1
	v_add_u32_e32 v1, s92, v104
	v_mul_hi_u32 v18, s76, v1
	v_add_u32_e32 v18, v1, v18
	v_lshrrev_b32_e32 v18, s77, v18
	v_mul_lo_u32 v18, v18, s60
	v_sub_u32_e32 v1, v1, v18
	v_add_u32_e32 v18, s92, v160
	v_mul_hi_u32 v19, s76, v18
	v_add_u32_e32 v19, v18, v19
	v_lshrrev_b32_e32 v19, s77, v19
	v_mul_lo_u32 v19, v19, s60
	v_sub_u32_e32 v20, v18, v19
	;; [unrolled: 6-line block ×4, first 2 shown]
	v_and_b32_e32 v18, 64, v175
	v_add_u32_e32 v18, 64, v18
	v_xor_b32_e32 v19, 32, v175
	v_cmp_lt_i32_e32 vcc, v19, v18
	s_add_i32 s30, s87, -1
	v_readlane_b32 s0, v221, 0
	v_cndmask_b32_e32 v19, v175, v19, vcc
	v_lshlrev_b32_e32 v44, 2, v19
	v_xor_b32_e32 v19, 16, v175
	v_cmp_lt_i32_e32 vcc, v19, v18
	s_cmp_lg_u64 s[4:5], 0
	v_readlane_b32 s1, v221, 1
	v_cndmask_b32_e32 v18, v175, v19, vcc
	v_lshlrev_b32_e32 v191, 2, v18
	v_mov_b64_e32 v[18:19], s[4:5]
	s_mov_b32 s26, s0
	s_cselect_b64 s[28:29], -1, 0
	v_mov_b32_e32 v24, v86
	v_mov_b32_e32 v25, v86
	v_mad_i64_i32 v[26:27], s[0:1], s26, v1, v[18:19]
	v_mad_i64_i32 v[28:29], s[0:1], s26, v20, v[18:19]
	;; [unrolled: 1-line block ×4, first 2 shown]
	v_lshl_add_u64 v[88:89], v[70:71], 0, s[72:73]
	v_lshl_add_u64 v[90:91], v[72:73], 0, s[72:73]
	;; [unrolled: 1-line block ×8, first 2 shown]
	v_mov_b32_e32 v177, 0
	v_mov_b32_e32 v193, 0xfeffffff
	;; [unrolled: 1-line block ×3, first 2 shown]
	s_mov_b32 s24, s30
	v_mov_b32_e32 v178, 0
	v_mov_b32_e32 v181, 0
	;; [unrolled: 1-line block ×13, first 2 shown]
	v_cndmask_b32_e64 v1, 0, 1, s[28:29]
	v_cmp_ne_u32_e64 s[26:27], 1, v1
	s_andn2_b64 vcc, exec, s[28:29]
	s_cbranch_vccnz .LBB19_161
.LBB19_158:                             ;   in Loop: Header=BB19_14 Depth=1
	v_mov_b32_e32 v1, 0
	v_mov_b32_e32 v18, 0
	v_mov_b32_e32 v19, 0
	v_mov_b32_e32 v20, 0
	s_and_saveexec_b64 s[0:1], s[6:7]
	s_cbranch_execz .LBB19_160
; %bb.159:                              ;   in Loop: Header=BB19_14 Depth=1
	v_lshl_add_u64 v[18:19], v[26:27], 0, v[52:53]
	global_load_ushort v1, v[18:19], off
	v_lshl_add_u64 v[18:19], v[28:29], 0, v[52:53]
	v_lshl_add_u64 v[20:21], v[30:31], 0, v[52:53]
	global_load_ushort v18, v[18:19], off
	s_nop 0
	global_load_ushort v19, v[20:21], off
	v_lshl_add_u64 v[20:21], v[32:33], 0, v[52:53]
	global_load_ushort v20, v[20:21], off
.LBB19_160:                             ;   in Loop: Header=BB19_14 Depth=1
	s_or_b64 exec, exec, s[0:1]
	s_waitcnt vmcnt(3)
	ds_write_b16 v138, v1 offset:15360
	s_waitcnt vmcnt(2)
	ds_write_b16 v161, v18 offset:15360
	;; [unrolled: 2-line block ×4, first 2 shown]
.LBB19_161:                             ;   Parent Loop BB19_14 Depth=1
                                        ; =>  This Inner Loop Header: Depth=2
	scratch_store_dwordx4 off, v[2:5], off
	s_and_saveexec_b64 s[0:1], s[8:9]
	s_cbranch_execz .LBB19_163
; %bb.162:                              ;   in Loop: Header=BB19_161 Depth=2
	v_lshl_add_u64 v[18:19], v[102:103], 0, s[70:71]
	global_load_dwordx4 v[18:21], v[18:19], off
	s_waitcnt vmcnt(0)
	ds_write_b128 v111, v[18:21]
.LBB19_163:                             ;   in Loop: Header=BB19_161 Depth=2
	s_or_b64 exec, exec, s[0:1]
	v_lshl_add_u64 v[18:19], v[96:97], 0, s[70:71]
	v_mov_b32_e32 v1, s97
	v_cndmask_b32_e64 v19, v1, v19, s[10:11]
	v_cndmask_b32_e64 v18, v176, v18, s[10:11]
	flat_load_dwordx4 v[18:21], v[18:19]
	v_lshl_add_u64 v[194:195], v[98:99], 0, s[70:71]
	v_cndmask_b32_e64 v195, v1, v195, s[12:13]
	v_cndmask_b32_e64 v194, v176, v194, s[12:13]
	s_and_b64 vcc, exec, s[26:27]
	s_waitcnt vmcnt(0) lgkmcnt(0)
	ds_write_b128 v109, v[18:21]
	flat_load_dwordx4 v[18:21], v[194:195]
	v_lshl_add_u64 v[194:195], v[100:101], 0, s[70:71]
	v_cndmask_b32_e64 v195, v1, v195, s[14:15]
	v_cndmask_b32_e64 v194, v176, v194, s[14:15]
	s_waitcnt vmcnt(0) lgkmcnt(0)
	ds_write_b128 v136, v[18:21]
	flat_load_dwordx4 v[18:21], v[194:195]
	s_waitcnt vmcnt(0) lgkmcnt(0)
	ds_write_b128 v135, v[18:21]
	s_waitcnt lgkmcnt(0)
	s_barrier
	ds_read2_b64 v[18:21], v110 offset1:4
	s_waitcnt lgkmcnt(0)
	v_mfma_f32_16x16x16_f16 v[194:197], v[18:19], v[14:15], 0
	v_mfma_f32_16x16x16_f16 v[18:21], v[20:21], v[16:17], v[194:197]
	s_nop 6
	ds_read2_b64 v[194:197], v110 offset0:8 offset1:12
	s_waitcnt lgkmcnt(0)
	v_mfma_f32_16x16x16_f16 v[18:21], v[194:195], v[10:11], v[18:21]
	v_mfma_f32_16x16x16_f16 v[18:21], v[196:197], v[12:13], v[18:21]
	ds_read2_b64 v[194:197], v110 offset0:16 offset1:20
	s_waitcnt lgkmcnt(0)
	v_mfma_f32_16x16x16_f16 v[18:21], v[194:195], v[6:7], v[18:21]
	ds_read_b64 v[194:195], v110 offset:192
	s_waitcnt lgkmcnt(0)
	s_barrier
	v_mfma_f32_16x16x16_f16 v[18:21], v[196:197], v[8:9], v[18:21]
	v_mfma_f32_16x16x16_f16 v[18:21], v[194:195], v[22:23], v[18:21]
	s_cbranch_vccnz .LBB19_165
; %bb.164:                              ;   in Loop: Header=BB19_161 Depth=2
	v_add_u32_e32 v1, 0x3c00, v113
	ds_read2_b32 v[194:195], v1 offset1:1
	v_mov_b32_e32 v87, v86
	s_waitcnt lgkmcnt(0)
	v_cvt_f32_f16_e32 v196, v194
	v_cvt_f32_f16_e32 v198, v195
	v_cvt_f32_f16_sdwa v199, v195 dst_sel:DWORD dst_unused:UNUSED_PAD src0_sel:WORD_1
	v_cvt_f32_f16_sdwa v197, v194 dst_sel:DWORD dst_unused:UNUSED_PAD src0_sel:WORD_1
	v_pk_fma_f32 v[20:21], v[86:87], v[198:199], v[20:21]
	v_pk_fma_f32 v[18:19], v[24:25], v[196:197], v[18:19]
.LBB19_165:                             ;   in Loop: Header=BB19_161 Depth=2
	s_nop 0
	v_add_f32_e32 v1, 0x40051340, v18
	v_max_f32_e32 v87, v193, v193
	v_max_f32_e32 v1, v87, v1
	v_cndmask_b32_e64 v1, v193, v1, s[16:17]
	v_add_f32_e32 v87, 0x40051340, v19
	v_max_f32_e32 v194, v1, v1
	v_max_f32_e32 v87, v194, v87
	v_cndmask_b32_e64 v1, v1, v87, s[18:19]
	;; [unrolled: 4-line block ×4, first 2 shown]
	ds_bpermute_b32 v87, v44, v1
	v_max_f32_e32 v1, v1, v1
	scratch_store_dwordx4 off, v[2:5], off
	s_waitcnt lgkmcnt(0)
	v_max_f32_e32 v87, v87, v87
	v_max_f32_e32 v1, v1, v87
	ds_bpermute_b32 v87, v191, v1
	s_and_saveexec_b64 s[0:1], s[8:9]
	s_cbranch_execz .LBB19_167
; %bb.166:                              ;   in Loop: Header=BB19_161 Depth=2
	v_lshl_add_u64 v[194:195], v[88:89], 0, s[68:69]
	global_load_dwordx4 v[194:197], v[194:195], off
	s_waitcnt vmcnt(0)
	ds_write_b128 v111, v[194:197]
.LBB19_167:                             ;   in Loop: Header=BB19_161 Depth=2
	s_or_b64 exec, exec, s[0:1]
	s_waitcnt lgkmcnt(0)
	v_max_f32_e32 v87, v87, v87
	v_max_f32_e32 v1, v1, v1
	;; [unrolled: 1-line block ×3, first 2 shown]
	v_sub_f32_e32 v1, v18, v87
	v_mul_f32_e32 v18, 0x3fb8aa3b, v1
	v_fma_f32 v194, v1, s88, -v18
	v_rndne_f32_e32 v195, v18
	v_fmac_f32_e32 v194, 0x32a5705f, v1
	v_sub_f32_e32 v18, v18, v195
	v_add_f32_e32 v18, v18, v194
	v_exp_f32_e32 v18, v18
	v_cvt_i32_f32_e32 v194, v195
	v_cmp_ngt_f32_e32 vcc, s89, v1
	v_sub_f32_e32 v20, v20, v87
	v_sub_f32_e32 v21, v21, v87
	v_ldexp_f32 v18, v18, v194
	v_cndmask_b32_e32 v18, 0, v18, vcc
	v_cmp_nlt_f32_e32 vcc, s61, v1
	s_add_i32 s24, s24, -1
	v_lshl_add_u64 v[26:27], v[26:27], 0, s[90:91]
	v_cndmask_b32_e32 v1, v173, v18, vcc
	v_cndmask_b32_e64 v18, 0, v1, s[16:17]
	v_sub_f32_e32 v1, v19, v87
	v_mul_f32_e32 v19, 0x3fb8aa3b, v1
	v_fma_f32 v194, v1, s88, -v19
	v_rndne_f32_e32 v195, v19
	v_fmac_f32_e32 v194, 0x32a5705f, v1
	v_sub_f32_e32 v19, v19, v195
	v_add_f32_e32 v19, v19, v194
	v_exp_f32_e32 v19, v19
	v_cvt_i32_f32_e32 v194, v195
	v_cmp_ngt_f32_e32 vcc, s89, v1
	v_lshl_add_u64 v[28:29], v[28:29], 0, s[90:91]
	v_lshl_add_u64 v[30:31], v[30:31], 0, s[90:91]
	v_ldexp_f32 v19, v19, v194
	v_cndmask_b32_e32 v19, 0, v19, vcc
	v_cmp_nlt_f32_e32 vcc, s61, v1
	v_mov_b32_e32 v1, s95
	v_lshl_add_u64 v[32:33], v[32:33], 0, s[90:91]
	v_cndmask_b32_e32 v19, v173, v19, vcc
	v_add_f32_e32 v194, v19, v18
	v_cndmask_b32_e64 v1, v1, v19, s[18:19]
	v_cndmask_b32_e64 v19, v18, v194, s[18:19]
	v_mul_f32_e32 v194, 0x3fb8aa3b, v20
	v_fma_f32 v195, v20, s88, -v194
	v_rndne_f32_e32 v196, v194
	v_fmac_f32_e32 v195, 0x32a5705f, v20
	v_sub_f32_e32 v194, v194, v196
	v_add_f32_e32 v194, v194, v195
	v_exp_f32_e32 v194, v194
	v_cvt_i32_f32_e32 v195, v196
	v_cmp_ngt_f32_e32 vcc, s89, v20
	v_cvt_pk_f16_f32 v212, v18, v1
	v_lshl_add_u64 v[88:89], v[88:89], 0, s[2:3]
	v_ldexp_f32 v194, v194, v195
	v_cndmask_b32_e32 v194, 0, v194, vcc
	v_cmp_nlt_f32_e32 vcc, s61, v20
	v_mov_b32_e32 v20, s95
	v_lshl_add_u64 v[96:97], v[96:97], 0, s[98:99]
	v_cndmask_b32_e32 v194, v173, v194, vcc
	v_add_f32_e32 v195, v19, v194
	v_cndmask_b32_e64 v20, v20, v194, s[20:21]
	v_mul_f32_e32 v194, 0x3fb8aa3b, v21
	v_cndmask_b32_e64 v19, v19, v195, s[20:21]
	v_fma_f32 v195, v21, s88, -v194
	v_rndne_f32_e32 v196, v194
	v_fmac_f32_e32 v195, 0x32a5705f, v21
	v_sub_f32_e32 v194, v194, v196
	v_add_f32_e32 v194, v194, v195
	v_exp_f32_e32 v194, v194
	v_cvt_i32_f32_e32 v195, v196
	v_cmp_ngt_f32_e32 vcc, s89, v21
	v_lshl_add_u64 v[98:99], v[98:99], 0, s[98:99]
	v_lshl_add_u64 v[100:101], v[100:101], 0, s[98:99]
	v_ldexp_f32 v194, v194, v195
	v_cndmask_b32_e32 v194, 0, v194, vcc
	v_cmp_nlt_f32_e32 vcc, s61, v21
	v_lshl_add_u64 v[102:103], v[102:103], 0, s[98:99]
	s_cmp_lg_u32 s24, 0
	v_cndmask_b32_e32 v194, v173, v194, vcc
	v_add_f32_e32 v21, v19, v194
	v_cndmask_b32_e64 v21, v19, v21, s[22:23]
	v_sub_f32_e32 v19, v193, v87
	v_mul_f32_e32 v193, 0x3fb8aa3b, v19
	v_fma_f32 v195, v19, s88, -v193
	v_rndne_f32_e32 v196, v193
	v_fmac_f32_e32 v195, 0x32a5705f, v19
	v_sub_f32_e32 v193, v193, v196
	v_add_f32_e32 v193, v193, v195
	v_exp_f32_e32 v193, v193
	v_cvt_i32_f32_e32 v195, v196
	v_cmp_ngt_f32_e32 vcc, s89, v19
	v_ldexp_f32 v193, v193, v195
	s_nop 0
	v_cndmask_b32_e32 v193, 0, v193, vcc
	v_cmp_nlt_f32_e32 vcc, s61, v19
	s_nop 1
	v_cndmask_b32_e32 v193, v173, v193, vcc
	v_cmp_le_f32_e32 vcc, s78, v19
	s_nop 1
	v_cndmask_b32_e32 v19, 0, v193, vcc
	v_fmac_f32_e32 v21, v192, v19
	v_cvt_f16_f32_e32 v19, v19
	v_mov_b32_e32 v193, s95
	v_mul_u32_u24_e32 v19, 0x10001, v19
	v_pk_mul_f16 v192, v190, v19
	v_pk_mul_f16 v190, v189, v19
	;; [unrolled: 1-line block ×14, first 2 shown]
	v_cndmask_b32_e64 v180, v193, v194, s[22:23]
	v_lshl_add_u64 v[194:195], v[90:91], 0, s[68:69]
	v_mov_b32_e32 v182, s97
	v_cndmask_b32_e64 v195, v182, v195, s[10:11]
	v_cndmask_b32_e64 v194, v176, v194, s[10:11]
	flat_load_dwordx4 v[194:197], v[194:195]
	v_cvt_pk_f16_f32 v213, v20, v180
	v_cvt_f32_f16_e32 v202, v186
	v_cvt_f32_f16_sdwa v203, v186 dst_sel:DWORD dst_unused:UNUSED_PAD src0_sel:WORD_1
	v_cvt_f32_f16_e32 v206, v178
	v_cvt_f32_f16_sdwa v207, v178 dst_sel:DWORD dst_unused:UNUSED_PAD src0_sel:WORD_1
	;; [unrolled: 2-line block ×4, first 2 shown]
	v_lshl_add_u64 v[90:91], v[90:91], 0, s[2:3]
	s_waitcnt vmcnt(0) lgkmcnt(0)
	ds_write_b128 v109, v[194:197]
	v_lshl_add_u64 v[194:195], v[92:93], 0, s[68:69]
	v_cndmask_b32_e64 v195, v182, v195, s[12:13]
	v_cndmask_b32_e64 v194, v176, v194, s[12:13]
	flat_load_dwordx4 v[194:197], v[194:195]
	v_lshl_add_u64 v[92:93], v[92:93], 0, s[2:3]
	s_waitcnt vmcnt(0) lgkmcnt(0)
	ds_write_b128 v136, v[194:197]
	v_lshl_add_u64 v[194:195], v[94:95], 0, s[68:69]
	v_cndmask_b32_e64 v195, v182, v195, s[14:15]
	v_cndmask_b32_e64 v194, v176, v194, s[14:15]
	flat_load_dwordx4 v[194:197], v[194:195]
	v_lshl_add_u64 v[94:95], v[94:95], 0, s[2:3]
	s_waitcnt vmcnt(0) lgkmcnt(0)
	ds_write_b128 v135, v[194:197]
	s_waitcnt lgkmcnt(0)
	s_barrier
	ds_read_u16 v1, v114 offset:240
	ds_read_u16 v18, v115
	ds_read_u16 v20, v115 offset:32
	ds_read_u16 v180, v116
	ds_read_u16 v182, v116 offset:32
	v_cvt_f32_f16_e32 v194, v192
	v_cvt_f32_f16_sdwa v195, v192 dst_sel:DWORD dst_unused:UNUSED_PAD src0_sel:WORD_1
	v_cvt_f32_f16_e32 v196, v190
	s_waitcnt lgkmcnt(1)
	v_perm_b32 v199, v180, v18, s79
	ds_read_u16 v18, v114
	ds_read_u16 v180, v114 offset:32
	v_cvt_f32_f16_sdwa v197, v190 dst_sel:DWORD dst_unused:UNUSED_PAD src0_sel:WORD_1
	s_waitcnt lgkmcnt(2)
	v_perm_b32 v201, v182, v20, s79
	v_cvt_f32_f16_e32 v182, v183
	s_waitcnt lgkmcnt(1)
	v_perm_b32 v198, v1, v18, s79
	ds_read_u16 v1, v114 offset:272
	v_cvt_f32_f16_sdwa v183, v183 dst_sel:DWORD dst_unused:UNUSED_PAD src0_sel:WORD_1
	v_mfma_f32_16x16x16_f16 v[192:195], v[198:199], v[212:213], v[194:197]
	s_waitcnt lgkmcnt(0)
	v_perm_b32 v200, v1, v180, s79
	ds_read_u16 v1, v114 offset:64
	ds_read_u16 v18, v114 offset:304
	;; [unrolled: 1-line block ×4, first 2 shown]
	v_cvt_f32_f16_e32 v196, v189
	v_cvt_f32_f16_sdwa v197, v189 dst_sel:DWORD dst_unused:UNUSED_PAD src0_sel:WORD_1
	v_cvt_f32_f16_e32 v198, v188
	v_cvt_f32_f16_sdwa v199, v188 dst_sel:DWORD dst_unused:UNUSED_PAD src0_sel:WORD_1
	s_waitcnt lgkmcnt(0)
	v_perm_b32 v189, v180, v20, s79
	v_perm_b32 v188, v18, v1, s79
	ds_read_u16 v1, v114 offset:96
	ds_read_u16 v18, v114 offset:336
	;; [unrolled: 1-line block ×4, first 2 shown]
	v_mfma_f32_16x16x16_f16 v[196:199], v[200:201], v[212:213], v[196:199]
	v_cvt_f32_f16_e32 v200, v187
	v_cvt_f32_f16_sdwa v201, v187 dst_sel:DWORD dst_unused:UNUSED_PAD src0_sel:WORD_1
	s_waitcnt lgkmcnt(2)
	v_perm_b32 v204, v18, v1, s79
	s_waitcnt lgkmcnt(0)
	v_perm_b32 v205, v180, v20, s79
	ds_read_u16 v1, v114 offset:128
	ds_read_u16 v18, v114 offset:368
	;; [unrolled: 1-line block ×4, first 2 shown]
	v_mfma_f32_16x16x16_f16 v[186:189], v[188:189], v[212:213], v[200:203]
	v_cvt_pk_f16_f32 v190, v192, v193
	s_nop 1
	v_cvt_f32_f16_e32 v200, v185
	v_cvt_f32_f16_sdwa v201, v185 dst_sel:DWORD dst_unused:UNUSED_PAD src0_sel:WORD_1
	v_cvt_f32_f16_e32 v202, v184
	v_cvt_f32_f16_sdwa v203, v184 dst_sel:DWORD dst_unused:UNUSED_PAD src0_sel:WORD_1
	;; [unrolled: 2-line block ×3, first 2 shown]
	v_mfma_f32_16x16x16_f16 v[200:203], v[204:205], v[212:213], v[200:203]
	s_waitcnt lgkmcnt(0)
	v_perm_b32 v205, v180, v20, s79
	v_perm_b32 v204, v18, v1, s79
	v_cvt_pk_f16_f32 v186, v186, v187
	v_cvt_pk_f16_f32 v187, v198, v199
	v_mfma_f32_16x16x16_f16 v[180:183], v[204:205], v[212:213], v[182:185]
	ds_read_u16 v1, v114 offset:160
	ds_read_u16 v18, v114 offset:400
	;; [unrolled: 1-line block ×4, first 2 shown]
	v_cvt_f32_f16_e32 v204, v179
	v_cvt_f32_f16_sdwa v205, v179 dst_sel:DWORD dst_unused:UNUSED_PAD src0_sel:WORD_1
	s_nop 1
	v_cvt_pk_f16_f32 v181, v180, v181
	s_waitcnt lgkmcnt(0)
	v_perm_b32 v185, v184, v20, s79
	v_perm_b32 v184, v18, v1, s79
	ds_read_u16 v1, v114 offset:192
	ds_read_u16 v18, v114 offset:432
	;; [unrolled: 1-line block ×4, first 2 shown]
	v_mfma_f32_16x16x16_f16 v[204:207], v[184:185], v[212:213], v[204:207]
	s_waitcnt lgkmcnt(0)
	v_perm_b32 v179, v178, v20, s79
	v_perm_b32 v178, v18, v1, s79
	v_cvt_pk_f16_f32 v184, v200, v201
	s_nop 3
	v_cvt_pk_f16_f32 v177, v204, v205
	v_mfma_f32_16x16x16_f16 v[208:211], v[178:179], v[212:213], v[208:211]
	v_cvt_pk_f16_f32 v178, v206, v207
	v_cvt_pk_f16_f32 v179, v182, v183
	;; [unrolled: 1-line block ×6, first 2 shown]
	s_nop 1
	v_cvt_pk_f16_f32 v182, v208, v209
	v_cvt_pk_f16_f32 v180, v210, v211
	s_barrier
	s_cbranch_scc0 .LBB19_170
; %bb.168:                              ;   in Loop: Header=BB19_161 Depth=2
	v_mov_b32_e32 v192, v21
	v_mov_b32_e32 v193, v87
	v_cndmask_b32_e64 v1, 0, 1, s[28:29]
	v_cmp_ne_u32_e64 s[26:27], 1, v1
	s_andn2_b64 vcc, exec, s[28:29]
	s_cbranch_vccz .LBB19_158
	s_branch .LBB19_161
.LBB19_169:                             ;   in Loop: Header=BB19_14 Depth=1
	v_mov_b32_e32 v87, 0xfeffffff
	s_mov_b32 s94, 0
	v_mov_b32_e32 v21, 0
	v_mov_b32_e32 v180, 0
	;; [unrolled: 1-line block ×15, first 2 shown]
	s_branch .LBB19_171
.LBB19_170:                             ;   in Loop: Header=BB19_14 Depth=1
	s_lshl_b32 s94, s30, 6
.LBB19_171:                             ;   in Loop: Header=BB19_14 Depth=1
	v_readlane_b32 s0, v222, 4
	s_sub_i32 s68, s0, s94
	s_cmp_lg_u64 s[4:5], 0
	s_cselect_b64 s[24:25], -1, 0
	s_cmp_eq_u64 s[4:5], 0
	v_readlane_b32 s1, v222, 5
	s_cbranch_scc1 .LBB19_177
; %bb.172:                              ;   in Loop: Header=BB19_14 Depth=1
	v_cmp_le_i32_e32 vcc, s68, v38
	s_and_saveexec_b64 s[0:1], vcc
	s_xor_b64 s[0:1], exec, s[0:1]
	s_cbranch_execz .LBB19_174
; %bb.173:                              ;   in Loop: Header=BB19_14 Depth=1
	ds_write_b16 v138, v45 offset:15360
	ds_write_b16 v161, v45 offset:15360
.LBB19_174:                             ;   in Loop: Header=BB19_14 Depth=1
	s_or_saveexec_b64 s[26:27], s[0:1]
	v_mov_b32_e32 v1, 0
	v_mov_b32_e32 v18, 0
	s_xor_b64 exec, exec, s[26:27]
	s_cbranch_execz .LBB19_176
; %bb.175:                              ;   in Loop: Header=BB19_14 Depth=1
	v_add_u32_e32 v1, s92, v104
	s_lshl_b64 s[0:1], s[94:95], 1
	v_mul_hi_u32 v20, s76, v1
	s_add_u32 s0, s4, s0
	v_add_u32_e32 v20, v1, v20
	s_addc_u32 s1, s5, s1
	v_lshlrev_b32_e32 v44, 1, v38
	v_lshrrev_b32_e32 v20, s77, v20
	v_lshl_add_u64 v[18:19], s[0:1], 0, v[44:45]
	v_mul_lo_u32 v20, v20, s60
	v_readlane_b32 s0, v222, 62
	v_sub_u32_e32 v1, v1, v20
	v_readlane_b32 s1, v222, 63
	s_mov_b32 s4, s0
	v_mad_i64_i32 v[24:25], s[0:1], v1, s4, 0
	v_lshl_add_u64 v[24:25], v[24:25], 1, v[18:19]
	v_add_u32_e32 v20, s92, v160
	global_load_ushort v1, v[24:25], off
	v_mul_hi_u32 v24, s76, v20
	v_add_u32_e32 v24, v20, v24
	v_lshrrev_b32_e32 v24, s77, v24
	v_mul_lo_u32 v24, v24, s60
	v_sub_u32_e32 v20, v20, v24
	v_mad_i64_i32 v[24:25], s[0:1], v20, s4, 0
	v_lshl_add_u64 v[24:25], v[24:25], 1, v[18:19]
	global_load_ushort v20, v[24:25], off
	s_waitcnt vmcnt(1)
	ds_write_b16 v138, v1 offset:15360
	s_waitcnt vmcnt(0)
	ds_write_b16 v161, v20 offset:15360
	v_add_u32_e32 v1, s92, v162
	v_mul_hi_u32 v20, s76, v1
	v_add_u32_e32 v20, v1, v20
	v_lshrrev_b32_e32 v20, s77, v20
	v_mul_lo_u32 v20, v20, s60
	v_sub_u32_e32 v1, v1, v20
	v_mad_i64_i32 v[24:25], s[0:1], v1, s4, 0
	v_lshl_add_u64 v[24:25], v[24:25], 1, v[18:19]
	v_add_u32_e32 v20, s92, v164
	global_load_ushort v1, v[24:25], off
	v_mul_hi_u32 v24, s76, v20
	v_add_u32_e32 v24, v20, v24
	v_lshrrev_b32_e32 v24, s77, v24
	v_mul_lo_u32 v24, v24, s60
	v_sub_u32_e32 v20, v20, v24
	v_mad_i64_i32 v[24:25], s[0:1], v20, s4, 0
	v_lshl_add_u64 v[18:19], v[24:25], 1, v[18:19]
	global_load_ushort v18, v[18:19], off
.LBB19_176:                             ;   in Loop: Header=BB19_14 Depth=1
	s_or_b64 exec, exec, s[26:27]
	s_waitcnt vmcnt(1)
	ds_write_b16 v163, v1 offset:15360
	s_waitcnt vmcnt(0)
	ds_write_b16 v165, v18 offset:15360
.LBB19_177:                             ;   in Loop: Header=BB19_14 Depth=1
	s_mul_i32 s0, s94, s75
	s_mul_hi_u32 s1, s94, s74
	s_add_i32 s1, s1, s0
	s_mul_i32 s0, s94, s74
	s_lshl_b64 s[0:1], s[0:1], 2
	s_add_u32 s4, s96, s0
	s_addc_u32 s5, s66, s1
	scratch_store_dwordx4 off, v[2:5], off
	s_and_saveexec_b64 s[26:27], s[8:9]
	s_cbranch_execz .LBB19_179
; %bb.178:                              ;   in Loop: Header=BB19_14 Depth=1
	v_lshl_add_u64 v[18:19], v[60:61], 2, s[4:5]
	v_lshlrev_b32_e32 v44, 2, v42
	v_lshl_add_u64 v[18:19], v[18:19], 0, v[44:45]
	s_mov_b64 s[0:1], 0xc0
	v_lshl_add_u64 v[18:19], v[18:19], 0, s[0:1]
	v_mov_b32_e32 v1, s97
	v_cmp_gt_i32_e32 vcc, s68, v43
	s_nop 1
	v_cndmask_b32_e32 v19, v1, v19, vcc
	v_cndmask_b32_e32 v18, v176, v18, vcc
	flat_load_dwordx4 v[24:27], v[18:19]
	s_waitcnt vmcnt(0) lgkmcnt(0)
	ds_write_b128 v111, v[24:27]
.LBB19_179:                             ;   in Loop: Header=BB19_14 Depth=1
	s_or_b64 exec, exec, s[26:27]
	v_lshl_add_u64 v[18:19], v[54:55], 2, s[4:5]
	v_lshlrev_b32_e32 v44, 2, v40
	v_lshl_add_u64 v[18:19], v[18:19], 0, v[44:45]
	v_lshl_add_u64 v[18:19], v[18:19], 0, s[90:91]
	v_mov_b32_e32 v1, s97
	v_cmp_gt_i32_e64 s[36:37], s68, v49
	v_lshl_add_u64 v[28:29], v[56:57], 2, s[4:5]
	v_cmp_gt_i32_e64 s[38:39], s68, v133
	v_cndmask_b32_e64 v19, v1, v19, s[36:37]
	v_cndmask_b32_e64 v18, v176, v18, s[36:37]
	flat_load_dwordx4 v[24:27], v[18:19]
	v_lshlrev_b32_e32 v18, 2, v48
	v_mov_b32_e32 v19, v45
	v_lshl_add_u64 v[28:29], v[28:29], 0, v[18:19]
	v_cndmask_b32_e64 v29, v1, v29, s[38:39]
	v_cndmask_b32_e64 v28, v176, v28, s[38:39]
	v_cmp_gt_i32_e64 s[34:35], s68, v134
	s_andn2_b64 vcc, exec, s[24:25]
	s_mov_b64 s[70:71], s[42:43]
	s_waitcnt vmcnt(0) lgkmcnt(0)
	ds_write_b128 v109, v[24:27]
	flat_load_dwordx4 v[24:27], v[28:29]
	v_lshl_add_u64 v[28:29], v[58:59], 2, s[4:5]
	v_lshl_add_u64 v[28:29], v[28:29], 0, v[18:19]
	v_cndmask_b32_e64 v29, v1, v29, s[34:35]
	v_cndmask_b32_e64 v28, v176, v28, s[34:35]
	s_waitcnt vmcnt(0) lgkmcnt(0)
	ds_write_b128 v136, v[24:27]
	flat_load_dwordx4 v[24:27], v[28:29]
	s_waitcnt vmcnt(0) lgkmcnt(0)
	ds_write_b128 v135, v[24:27]
	s_waitcnt lgkmcnt(0)
	s_barrier
	ds_read2_b64 v[24:27], v110 offset1:4
	s_waitcnt lgkmcnt(0)
	v_mfma_f32_16x16x16_f16 v[28:31], v[24:25], v[14:15], 0
	v_mfma_f32_16x16x16_f16 v[14:17], v[26:27], v[16:17], v[28:31]
	ds_read2_b64 v[24:27], v110 offset0:8 offset1:12
	s_waitcnt lgkmcnt(0)
	v_mfma_f32_16x16x16_f16 v[14:17], v[24:25], v[10:11], v[14:17]
	v_mfma_f32_16x16x16_f16 v[10:13], v[26:27], v[12:13], v[14:17]
	s_nop 6
	ds_read2_b64 v[14:17], v110 offset0:16 offset1:20
	s_waitcnt lgkmcnt(0)
	v_mfma_f32_16x16x16_f16 v[10:13], v[14:15], v[6:7], v[10:13]
	v_mfma_f32_16x16x16_f16 v[6:9], v[16:17], v[8:9], v[10:13]
	s_nop 6
	ds_read_b64 v[10:11], v110 offset:192
	s_waitcnt lgkmcnt(0)
	v_mfma_f32_16x16x16_f16 v[6:9], v[10:11], v[22:23], v[6:9]
	s_barrier
	s_cbranch_vccnz .LBB19_181
; %bb.180:                              ;   in Loop: Header=BB19_14 Depth=1
	v_add_u32_e32 v1, 0x3c00, v113
	ds_read2_b32 v[10:11], v1 offset1:1
	s_waitcnt lgkmcnt(0)
	v_cvt_f32_f16_e32 v12, v10
	v_cvt_f32_f16_e32 v14, v11
	v_cvt_f32_f16_sdwa v15, v11 dst_sel:DWORD dst_unused:UNUSED_PAD src0_sel:WORD_1
	v_cvt_f32_f16_sdwa v13, v10 dst_sel:DWORD dst_unused:UNUSED_PAD src0_sel:WORD_1
	v_pk_fma_f32 v[8:9], v[86:87], v[14:15], v[8:9] op_sel_hi:[0,1,1]
	v_pk_fma_f32 v[6:7], v[86:87], v[12:13], v[6:7] op_sel_hi:[0,1,1]
.LBB19_181:                             ;   in Loop: Header=BB19_14 Depth=1
	v_add_f32_e32 v1, 0x40051340, v6
	v_max_f32_e32 v10, v87, v87
	v_max_f32_e32 v1, v10, v1
	v_cmp_gt_u32_e64 s[30:31], s68, v112
	v_add_f32_e32 v10, 0x40051340, v7
	v_cmp_gt_u32_e32 vcc, s68, v166
	v_cndmask_b32_e64 v1, v87, v1, s[30:31]
	v_max_f32_e32 v11, v1, v1
	v_max_f32_e32 v10, v11, v10
	v_cndmask_b32_e32 v1, v1, v10, vcc
	v_add_f32_e32 v10, 0x40051340, v8
	v_max_f32_e32 v11, v1, v1
	v_max_f32_e32 v10, v11, v10
	v_cmp_gt_u32_e64 s[26:27], s68, v167
	v_cmp_gt_u32_e64 s[28:29], s68, v168
	s_mul_i32 s0, s94, s63
	v_cndmask_b32_e64 v1, v1, v10, s[26:27]
	v_add_f32_e32 v10, 0x40051340, v9
	v_max_f32_e32 v11, v1, v1
	v_max_f32_e32 v10, v11, v10
	v_cndmask_b32_e64 v1, v1, v10, s[28:29]
	v_and_b32_e32 v10, 64, v175
	v_add_u32_e32 v10, 64, v10
	v_xor_b32_e32 v11, 32, v175
	v_cmp_lt_i32_e64 s[42:43], v11, v10
	s_mul_hi_u32 s1, s94, s62
	s_add_i32 s1, s1, s0
	v_cndmask_b32_e64 v11, v175, v11, s[42:43]
	v_lshlrev_b32_e32 v88, 2, v11
	ds_bpermute_b32 v11, v88, v1
	v_max_f32_e32 v1, v1, v1
	s_mul_i32 s0, s94, s62
	s_lshl_b64 s[0:1], s[0:1], 2
	s_add_u32 s4, s84, s0
	s_waitcnt lgkmcnt(0)
	v_max_f32_e32 v11, v11, v11
	v_max_f32_e32 v1, v1, v11
	v_xor_b32_e32 v11, 16, v175
	v_cmp_lt_i32_e64 s[42:43], v11, v10
	s_addc_u32 s5, s85, s1
	scratch_store_dwordx4 off, v[2:5], off
	v_cndmask_b32_e64 v10, v175, v11, s[42:43]
	v_lshlrev_b32_e32 v89, 2, v10
	ds_bpermute_b32 v10, v89, v1
	s_and_saveexec_b64 s[24:25], s[8:9]
	s_cbranch_execz .LBB19_183
; %bb.182:                              ;   in Loop: Header=BB19_14 Depth=1
	v_lshl_add_u64 v[12:13], v[62:63], 2, s[4:5]
	v_lshlrev_b32_e32 v14, 2, v42
	v_mov_b32_e32 v15, v45
	v_lshl_add_u64 v[12:13], v[12:13], 0, v[14:15]
	s_mov_b64 s[0:1], 0xc0
	v_lshl_add_u64 v[12:13], v[12:13], 0, s[0:1]
	v_mov_b32_e32 v11, s97
	v_cmp_gt_i32_e64 s[42:43], s68, v43
	s_nop 1
	v_cndmask_b32_e64 v13, v11, v13, s[42:43]
	v_cndmask_b32_e64 v12, v176, v12, s[42:43]
	flat_load_dwordx4 v[12:15], v[12:13]
	s_waitcnt vmcnt(0) lgkmcnt(0)
	ds_write_b128 v111, v[12:15]
.LBB19_183:                             ;   in Loop: Header=BB19_14 Depth=1
	s_or_b64 exec, exec, s[24:25]
	v_lshl_add_u64 v[12:13], v[68:69], 2, s[4:5]
	v_lshl_add_u64 v[12:13], v[12:13], 0, v[44:45]
	;; [unrolled: 1-line block ×3, first 2 shown]
	v_mov_b32_e32 v20, s97
	v_cndmask_b32_e64 v13, v20, v13, s[36:37]
	v_cndmask_b32_e64 v12, v176, v12, s[36:37]
	flat_load_dwordx4 v[12:15], v[12:13]
	v_lshl_add_u64 v[16:17], v[66:67], 2, s[4:5]
	v_mov_b32_e32 v19, v45
	v_lshl_add_u64 v[16:17], v[16:17], 0, v[18:19]
	v_cndmask_b32_e64 v17, v20, v17, s[38:39]
	v_cndmask_b32_e64 v16, v176, v16, s[38:39]
	s_waitcnt lgkmcnt(0)
	v_max_f32_e32 v22, v10, v10
	v_max_f32_e32 v23, v1, v1
	;; [unrolled: 1-line block ×3, first 2 shown]
	v_sub_f32_e32 v22, v8, v86
	v_sub_f32_e32 v23, v9, v86
	;; [unrolled: 1-line block ×3, first 2 shown]
	v_mov_b32_e32 v1, s95
	v_mov_b32_e32 v10, s95
	;; [unrolled: 1-line block ×3, first 2 shown]
	s_cmp_lg_u64 s[40:41], 0
	s_cselect_b64 s[0:1], -1, 0
	s_waitcnt vmcnt(0)
	ds_write_b128 v109, v[12:15]
	flat_load_dwordx4 v[12:15], v[16:17]
	v_lshl_add_u64 v[16:17], v[64:65], 2, s[4:5]
	v_lshl_add_u64 v[16:17], v[16:17], 0, v[18:19]
	v_sub_f32_e32 v18, v6, v86
	v_sub_f32_e32 v19, v7, v86
	v_mul_f32_e32 v8, 0x3fb8aa3b, v18
	v_mul_f32_e32 v9, 0x3fb8aa3b, v19
	v_fma_f32 v25, v18, s88, -v8
	v_rndne_f32_e32 v26, v8
	v_fma_f32 v27, v19, s88, -v9
	v_rndne_f32_e32 v28, v9
	v_fmac_f32_e32 v25, 0x32a5705f, v18
	v_sub_f32_e32 v8, v8, v26
	v_fmac_f32_e32 v27, 0x32a5705f, v19
	v_sub_f32_e32 v9, v9, v28
	v_add_f32_e32 v8, v8, v25
	v_add_f32_e32 v9, v9, v27
	v_cvt_i32_f32_e32 v26, v26
	v_cvt_i32_f32_e32 v28, v28
	v_exp_f32_e32 v8, v8
	v_exp_f32_e32 v9, v9
	v_cndmask_b32_e64 v7, v20, v17, s[34:35]
	v_cndmask_b32_e64 v6, v176, v16, s[34:35]
	v_ldexp_f32 v25, v8, v26
	v_ldexp_f32 v26, v9, v28
	v_mul_f32_e32 v16, 0x3fb8aa3b, v22
	v_mul_f32_e32 v17, 0x3fb8aa3b, v23
	v_fma_f32 v29, v22, s88, -v16
	v_rndne_f32_e32 v30, v16
	v_mul_f32_e32 v20, 0x3fb8aa3b, v24
	v_fma_f32 v31, v23, s88, -v17
	v_rndne_f32_e32 v32, v17
	v_fmac_f32_e32 v29, 0x32a5705f, v22
	v_sub_f32_e32 v16, v16, v30
	v_fma_f32 v33, v24, s88, -v20
	v_rndne_f32_e32 v44, v20
	v_fmac_f32_e32 v31, 0x32a5705f, v23
	v_sub_f32_e32 v17, v17, v32
	v_add_f32_e32 v16, v16, v29
	v_cvt_i32_f32_e32 v30, v30
	v_fmac_f32_e32 v33, 0x32a5705f, v24
	v_sub_f32_e32 v20, v20, v44
	v_add_f32_e32 v17, v17, v31
	v_exp_f32_e32 v16, v16
	v_cvt_i32_f32_e32 v32, v32
	v_add_f32_e32 v20, v20, v33
	v_exp_f32_e32 v17, v17
	v_cvt_i32_f32_e32 v44, v44
	v_exp_f32_e32 v20, v20
	v_cmp_ngt_f32_e64 s[34:35], s89, v18
	v_ldexp_f32 v16, v16, v30
	v_ldexp_f32 v17, v17, v32
	v_readlane_b32 s4, v222, 26
	v_readlane_b32 s5, v222, 27
	s_and_b64 s[4:5], s[4:5], s[0:1]
	s_waitcnt vmcnt(0) lgkmcnt(0)
	ds_write_b128 v136, v[12:15]
	flat_load_dwordx4 v[6:9], v[6:7]
	v_cndmask_b32_e64 v13, 0, v25, s[34:35]
	v_cmp_ngt_f32_e64 s[34:35], s89, v19
	v_ldexp_f32 v12, v20, v44
	s_waitcnt vmcnt(0) lgkmcnt(0)
	ds_write_b128 v135, v[6:9]
	v_cndmask_b32_e64 v14, 0, v26, s[34:35]
	v_cmp_ngt_f32_e64 s[34:35], s89, v22
	s_waitcnt lgkmcnt(0)
	s_barrier
	v_cndmask_b32_e64 v15, 0, v16, s[34:35]
	v_cmp_ngt_f32_e64 s[34:35], s89, v23
	s_nop 1
	v_cndmask_b32_e64 v16, 0, v17, s[34:35]
	v_cmp_ngt_f32_e64 s[34:35], s89, v24
	s_nop 1
	v_cndmask_b32_e64 v12, 0, v12, s[34:35]
	v_cmp_nlt_f32_e64 s[34:35], s61, v18
	s_nop 1
	v_cndmask_b32_e64 v13, v173, v13, s[34:35]
	v_cmp_nlt_f32_e64 s[34:35], s61, v19
	;; [unrolled: 3-line block ×3, first 2 shown]
	v_cndmask_b32_e32 v1, v1, v14, vcc
	s_nop 0
	v_cndmask_b32_e64 v15, v173, v15, s[34:35]
	v_cmp_nlt_f32_e64 s[34:35], s61, v23
	v_cndmask_b32_e64 v10, v10, v15, s[26:27]
	s_nop 0
	v_cndmask_b32_e64 v16, v173, v16, s[34:35]
	v_cmp_nlt_f32_e64 s[34:35], s61, v24
	v_cndmask_b32_e64 v11, v11, v16, s[28:29]
	v_cvt_pk_f16_f32 v95, v10, v11
	v_cndmask_b32_e64 v17, v173, v12, s[34:35]
	v_cndmask_b32_e64 v12, 0, v13, s[30:31]
	v_cmp_le_f32_e64 s[30:31], s78, v24
	v_add_f32_e32 v14, v14, v12
	v_cvt_pk_f16_f32 v94, v12, v1
	v_cndmask_b32_e64 v13, 0, v17, s[30:31]
	v_cvt_f16_f32_e32 v17, v13
	v_cndmask_b32_e32 v1, v12, v14, vcc
	v_add_f32_e32 v10, v1, v15
	v_cndmask_b32_e64 v1, v1, v10, s[26:27]
	v_add_f32_e32 v10, v1, v16
	v_mul_u32_u24_e32 v11, 0x10001, v17
	v_cndmask_b32_e64 v1, v1, v10, s[28:29]
	v_pk_mul_f16 v44, v182, v11
	v_fmac_f32_e32 v1, v21, v13
	v_cvt_f32_f16_e32 v90, v44
	v_cvt_f32_f16_sdwa v91, v44 dst_sel:DWORD dst_unused:UNUSED_PAD src0_sel:WORD_1
	ds_bpermute_b32 v44, v88, v1
	v_pk_mul_f16 v19, v186, v11
	v_pk_mul_f16 v22, v185, v11
	;; [unrolled: 1-line block ×9, first 2 shown]
	ds_read_u16 v6, v114 offset:240
	ds_read_u16 v8, v114
	ds_read_u16 v9, v114 offset:32
	ds_read_u16 v93, v114 offset:64
	;; [unrolled: 1-line block ×6, first 2 shown]
	ds_read_u16 v7, v115
	ds_read_u16 v96, v115 offset:32
	ds_read_u16 v98, v114 offset:272
	;; [unrolled: 1-line block ×7, first 2 shown]
	ds_read_u16 v92, v116
	ds_read_u16 v97, v116 offset:32
	ds_read_u16 v99, v115 offset:64
	;; [unrolled: 1-line block ×7, first 2 shown]
	v_pk_mul_f16 v12, v190, v11
	v_pk_mul_f16 v14, v189, v11
	;; [unrolled: 1-line block ×4, first 2 shown]
	s_waitcnt lgkmcnt(7)
	v_perm_b32 v7, v92, v7, s79
	v_perm_b32 v6, v6, v8, s79
	v_add_f32_e32 v1, v1, v44
	s_waitcnt lgkmcnt(6)
	v_perm_b32 v97, v97, v96, s79
	v_perm_b32 v96, v98, v9, s79
	ds_read_u16 v44, v116 offset:96
	s_waitcnt lgkmcnt(5)
	v_perm_b32 v99, v182, v99, s79
	v_perm_b32 v98, v177, v93, s79
	v_cvt_f32_f16_e32 v10, v12
	v_cvt_f32_f16_sdwa v11, v12 dst_sel:DWORD dst_unused:UNUSED_PAD src0_sel:WORD_1
	v_cvt_f32_f16_e32 v12, v14
	v_cvt_f32_f16_sdwa v13, v14 dst_sel:DWORD dst_unused:UNUSED_PAD src0_sel:WORD_1
	;; [unrolled: 2-line block ×6, first 2 shown]
	ds_read_u16 v93, v116 offset:128
	ds_read_u16 v177, v116 offset:160
	;; [unrolled: 1-line block ×3, first 2 shown]
	v_mfma_f32_16x16x16_f16 v[6:9], v[6:7], v[94:95], v[10:13]
	v_cvt_f32_f16_e32 v22, v23
	v_cvt_f32_f16_sdwa v23, v23 dst_sel:DWORD dst_unused:UNUSED_PAD src0_sel:WORD_1
	v_cvt_f32_f16_e32 v24, v25
	v_mfma_f32_16x16x16_f16 v[10:13], v[96:97], v[94:95], v[14:17]
	s_waitcnt lgkmcnt(3)
	v_perm_b32 v97, v44, v183, s79
	v_perm_b32 v96, v178, v100, s79
	v_cvt_f32_f16_sdwa v25, v25 dst_sel:DWORD dst_unused:UNUSED_PAD src0_sel:WORD_1
	v_mfma_f32_16x16x16_f16 v[14:17], v[98:99], v[94:95], v[18:21]
	s_waitcnt lgkmcnt(2)
	v_perm_b32 v99, v93, v184, s79
	v_perm_b32 v98, v179, v101, s79
	v_cvt_f32_f16_e32 v26, v27
	v_cvt_f32_f16_sdwa v27, v27 dst_sel:DWORD dst_unused:UNUSED_PAD src0_sel:WORD_1
	v_cvt_f32_f16_e32 v28, v29
	v_cvt_f32_f16_sdwa v29, v29 dst_sel:DWORD dst_unused:UNUSED_PAD src0_sel:WORD_1
	v_mfma_f32_16x16x16_f16 v[18:21], v[96:97], v[94:95], v[22:25]
	s_waitcnt lgkmcnt(1)
	v_perm_b32 v97, v177, v185, s79
	v_perm_b32 v96, v180, v102, s79
	v_cvt_f32_f16_e32 v30, v31
	v_mfma_f32_16x16x16_f16 v[22:25], v[98:99], v[94:95], v[26:29]
	s_waitcnt lgkmcnt(0)
	v_perm_b32 v99, v182, v186, s79
	v_perm_b32 v98, v181, v103, s79
	v_cvt_f32_f16_sdwa v31, v31 dst_sel:DWORD dst_unused:UNUSED_PAD src0_sel:WORD_1
	v_cvt_f32_f16_e32 v32, v33
	v_cvt_f32_f16_sdwa v33, v33 dst_sel:DWORD dst_unused:UNUSED_PAD src0_sel:WORD_1
	v_cvt_f32_f16_e32 v92, v87
	v_cvt_f32_f16_sdwa v93, v87 dst_sel:DWORD dst_unused:UNUSED_PAD src0_sel:WORD_1
	ds_bpermute_b32 v44, v89, v1
	v_mfma_f32_16x16x16_f16 v[26:29], v[96:97], v[94:95], v[30:33]
	v_cvt_f16_f32_e32 v17, v17
	v_cvt_f16_f32_e32 v96, v18
	;; [unrolled: 1-line block ×3, first 2 shown]
	v_mfma_f32_16x16x16_f16 v[30:33], v[98:99], v[94:95], v[90:93]
	s_waitcnt lgkmcnt(0)
	v_add_f32_e32 v87, v1, v44
	v_cvt_f16_f32_e32 v44, v6
	v_cvt_f16_f32_e32 v1, v8
	;; [unrolled: 1-line block ×25, first 2 shown]
	v_perm_b32 v16, v8, v1, s79
	v_perm_b32 v13, v12, v9, s79
	;; [unrolled: 1-line block ×14, first 2 shown]
	s_barrier
	s_and_saveexec_b64 s[24:25], s[4:5]
	s_cbranch_execz .LBB19_185
; %bb.184:                              ;   in Loop: Header=BB19_14 Depth=1
	global_load_dword v20, v45, s[40:41]
	v_cvt_pk_f16_f32 v7, v6, v7
	v_max_f32_e32 v21, v86, v86
	v_cvt_pk_f16_f32 v10, v10, v11
	v_cvt_pk_f16_f32 v11, v14, v15
	;; [unrolled: 1-line block ×6, first 2 shown]
	s_waitcnt vmcnt(0)
	v_max_f32_e32 v6, v20, v20
	v_max_f32_e32 v6, v21, v6
	v_sub_f32_e32 v21, v86, v6
	v_mul_f32_e32 v22, 0x3fb8aa3b, v21
	v_fma_f32 v23, v21, s88, -v22
	v_rndne_f32_e32 v24, v22
	v_fmac_f32_e32 v23, 0x32a5705f, v21
	v_sub_f32_e32 v22, v22, v24
	v_add_f32_e32 v22, v22, v23
	v_exp_f32_e32 v22, v22
	v_cvt_i32_f32_e32 v23, v24
	v_cmp_ngt_f32_e32 vcc, s89, v21
	v_ldexp_f32 v22, v22, v23
	s_nop 0
	v_cndmask_b32_e32 v22, 0, v22, vcc
	v_cmp_nlt_f32_e32 vcc, s61, v21
	v_sub_f32_e32 v23, v20, v6
	s_nop 0
	v_cndmask_b32_e32 v22, v173, v22, vcc
	v_cmp_le_f32_e32 vcc, s78, v21
	s_nop 1
	v_cndmask_b32_e32 v22, 0, v22, vcc
	v_cvt_f16_f32_e32 v20, v22
	v_cmp_ngt_f32_e32 vcc, s89, v23
	v_mul_u32_u24_e32 v26, 0x10001, v20
	v_pk_mul_f16 v29, v7, v26
	v_mul_f32_e32 v7, 0x3fb8aa3b, v23
	v_pk_mul_f16 v28, v10, v26
	v_pk_mul_f16 v25, v11, v26
	v_fma_f32 v10, v23, s88, -v7
	v_rndne_f32_e32 v11, v7
	v_fmac_f32_e32 v10, 0x32a5705f, v23
	v_sub_f32_e32 v7, v7, v11
	v_add_f32_e32 v7, v7, v10
	v_exp_f32_e32 v7, v7
	v_cvt_i32_f32_e32 v10, v11
	v_pk_mul_f16 v16, v16, v26
	v_pk_mul_f16 v13, v13, v26
	;; [unrolled: 1-line block ×3, first 2 shown]
	v_ldexp_f32 v7, v7, v10
	v_cndmask_b32_e32 v7, 0, v7, vcc
	v_cmp_nlt_f32_e32 vcc, s61, v23
	v_pk_mul_f16 v24, v14, v26
	v_pk_mul_f16 v9, v9, v26
	v_cndmask_b32_e32 v7, v173, v7, vcc
	v_fmac_f32_e32 v7, v87, v22
	v_pk_mul_f16 v21, v15, v26
	v_pk_mul_f16 v8, v8, v26
	;; [unrolled: 1-line block ×6, first 2 shown]
	v_mov_b64_e32 v[86:87], v[6:7]
.LBB19_185:                             ;   in Loop: Header=BB19_14 Depth=1
	s_or_b64 exec, exec, s[24:25]
	s_mov_b64 s[0:1], exec
	v_readlane_b32 s4, v222, 60
	v_readlane_b32 s5, v222, 61
	s_and_b64 s[4:5], s[0:1], s[4:5]
	s_mov_b64 s[30:31], s[70:71]
	s_mov_b64 exec, s[4:5]
; %bb.186:                              ;   in Loop: Header=BB19_14 Depth=1
	v_add_u32_e32 v6, 0, v139
	ds_write2_b32 v6, v86, v87 offset0:56 offset1:57
; %bb.187:                              ;   in Loop: Header=BB19_14 Depth=1
	s_or_b64 exec, exec, s[0:1]
	s_waitcnt lgkmcnt(0)
	s_barrier
	s_mov_b64 s[0:1], exec
	v_readlane_b32 s4, v222, 28
	v_readlane_b32 s5, v222, 29
	s_and_b64 s[4:5], s[0:1], s[4:5]
	s_xor_b64 s[0:1], s[4:5], s[0:1]
	s_mov_b64 exec, s[4:5]
	s_cbranch_execz .LBB19_189
; %bb.188:                              ;   in Loop: Header=BB19_14 Depth=1
	s_barrier
                                        ; implicit-def: $vgpr88
                                        ; implicit-def: $vgpr89
.LBB19_189:                             ;   in Loop: Header=BB19_14 Depth=1
	s_andn2_saveexec_b64 s[4:5], s[0:1]
	s_cbranch_execz .LBB19_191
; %bb.190:                              ;   in Loop: Header=BB19_14 Depth=1
	v_add_u32_e32 v10, 0, v139
	ds_read_b64 v[6:7], v10 offset:224
	s_waitcnt lgkmcnt(0)
	s_barrier
	ds_bpermute_b32 v11, v88, v6
	v_max_f32_e32 v14, v6, v6
	s_waitcnt lgkmcnt(0)
	v_max_f32_e32 v11, v11, v11
	v_max_f32_e32 v11, v14, v11
	ds_bpermute_b32 v14, v89, v11
	s_waitcnt lgkmcnt(0)
	v_max_f32_e32 v14, v14, v14
	v_max_f32_e32 v11, v11, v14
	v_sub_f32_e32 v6, v6, v11
	v_mul_f32_e32 v11, 0x3fb8aa3b, v6
	v_fma_f32 v14, v6, s88, -v11
	v_rndne_f32_e32 v15, v11
	v_fmac_f32_e32 v14, 0x32a5705f, v6
	v_sub_f32_e32 v11, v11, v15
	v_add_f32_e32 v11, v11, v14
	v_cvt_i32_f32_e32 v15, v15
	v_exp_f32_e32 v11, v11
	v_cmp_ngt_f32_e32 vcc, s89, v6
	v_ldexp_f32 v11, v11, v15
	s_nop 0
	v_cndmask_b32_e32 v11, 0, v11, vcc
	v_cmp_nlt_f32_e32 vcc, s61, v6
	s_nop 1
	v_cndmask_b32_e32 v6, v173, v11, vcc
	v_mul_f32_e32 v11, v7, v6
	ds_bpermute_b32 v11, v88, v11
	s_waitcnt lgkmcnt(0)
	v_fmac_f32_e32 v11, v7, v6
	ds_bpermute_b32 v7, v89, v11
	s_waitcnt lgkmcnt(0)
	v_add_f32_e32 v7, v11, v7
	ds_write_b64 v10, v[6:7] offset:224
.LBB19_191:                             ;   in Loop: Header=BB19_14 Depth=1
	s_or_b64 exec, exec, s[4:5]
	ds_write2_b32 v117, v29, v16 offset1:1
	ds_write2_b32 v117, v28, v13 offset0:8 offset1:9
	ds_write2_b32 v117, v25, v12 offset0:16 offset1:17
	;; [unrolled: 1-line block ×6, first 2 shown]
	s_waitcnt lgkmcnt(0)
	s_barrier
	s_mov_b64 s[4:5], exec
	v_readlane_b32 s0, v222, 26
	v_readlane_b32 s1, v222, 27
	s_and_b64 s[0:1], s[4:5], s[0:1]
	s_mov_b64 exec, s[0:1]
	s_cbranch_execz .LBB19_12
; %bb.192:                              ;   in Loop: Header=BB19_14 Depth=1
	v_add_u32_e32 v1, s92, v118
	v_cmp_gt_i32_e32 vcc, s60, v1
	v_mov_b32_e32 v6, 0x47
	s_and_saveexec_b64 s[24:25], vcc
	s_cbranch_execz .LBB19_194
; %bb.193:                              ;   in Loop: Header=BB19_14 Depth=1
	v_add_u32_e32 v12, v157, v141
	ds_read2st64_b32 v[8:9], v12 offset1:15
	v_add_u32_e32 v14, 0, v141
	ds_read2_b32 v[6:7], v14 offset0:56 offset1:57
	v_add_u32_e32 v10, 0xe0, v14
	ds_read2st64_b32 v[10:11], v10 offset0:15 offset1:30
	ds_read2st64_b32 v[12:13], v12 offset0:30 offset1:45
	ds_read_b32 v14, v14 offset:11744
	s_waitcnt lgkmcnt(4)
	v_cvt_f32_f16_e32 v18, v8
	v_cvt_f32_f16_sdwa v19, v8 dst_sel:DWORD dst_unused:UNUSED_PAD src0_sel:WORD_1
	v_cvt_f32_f16_e32 v8, v9
	v_cvt_f32_f16_sdwa v9, v9 dst_sel:DWORD dst_unused:UNUSED_PAD src0_sel:WORD_1
	v_readlane_b32 s0, v222, 48
	s_waitcnt lgkmcnt(3)
	v_pk_fma_f32 v[18:19], v[6:7], v[18:19], 0 op_sel_hi:[0,1,0]
	s_waitcnt lgkmcnt(2)
	v_mov_b32_e32 v6, v11
	v_pk_fma_f32 v[8:9], v[10:11], v[8:9], v[18:19] op_sel_hi:[0,1,1]
	s_waitcnt lgkmcnt(1)
	v_cvt_f32_f16_e32 v18, v12
	v_cvt_f32_f16_sdwa v19, v12 dst_sel:DWORD dst_unused:UNUSED_PAD src0_sel:WORD_1
	v_cvt_f32_f16_e32 v10, v13
	v_cvt_f32_f16_sdwa v11, v13 dst_sel:DWORD dst_unused:UNUSED_PAD src0_sel:WORD_1
	v_mad_u64_u32 v[16:17], s[0:1], v1, s0, v[34:35]
	v_pk_fma_f32 v[8:9], v[6:7], v[18:19], v[8:9] op_sel_hi:[0,1,1]
	s_waitcnt lgkmcnt(0)
	v_pk_fma_f32 v[8:9], v[14:15], v[10:11], v[8:9] op_sel_hi:[0,1,1]
	v_div_scale_f32 v1, s[0:1], v7, v7, v9
	v_rcp_f32_e32 v6, v1
	v_ashrrev_i32_e32 v17, 31, v16
	v_lshl_add_u64 v[16:17], v[16:17], 3, s[30:31]
	v_fma_f32 v10, -v1, v6, 1.0
	v_fmac_f32_e32 v6, v10, v6
	v_div_scale_f32 v10, vcc, v9, v7, v9
	v_mul_f32_e32 v11, v10, v6
	v_fma_f32 v12, -v1, v11, v10
	v_fmac_f32_e32 v11, v12, v6
	v_fma_f32 v1, -v1, v11, v10
	v_div_fmas_f32 v1, v1, v6, v11
	v_div_fixup_f32 v9, v1, v7, v9
	v_div_scale_f32 v1, s[0:1], v7, v7, v8
	v_rcp_f32_e32 v6, v1
	s_nop 0
	v_fma_f32 v10, -v1, v6, 1.0
	v_fmac_f32_e32 v6, v10, v6
	v_div_scale_f32 v10, vcc, v8, v7, v8
	v_mul_f32_e32 v11, v10, v6
	v_fma_f32 v12, -v1, v11, v10
	v_fmac_f32_e32 v11, v12, v6
	v_fma_f32 v1, -v1, v11, v10
	v_div_fmas_f32 v1, v1, v6, v11
	v_div_fixup_f32 v8, v1, v7, v8
	v_mov_b32_e32 v6, 0
	global_store_dwordx2 v[16:17], v[8:9], off
.LBB19_194:                             ;   in Loop: Header=BB19_14 Depth=1
	s_or_b64 exec, exec, s[24:25]
	s_movk_i32 s0, 0x47
	v_cmp_gt_i32_e32 vcc, s0, v6
	s_mov_b64 s[0:1], -1
	s_and_saveexec_b64 s[24:25], vcc
; %bb.195:                              ;   in Loop: Header=BB19_14 Depth=1
	v_cmp_eq_u32_e32 vcc, 0, v6
	s_orn2_b64 s[0:1], vcc, exec
; %bb.196:                              ;   in Loop: Header=BB19_14 Depth=1
	s_or_b64 exec, exec, s[24:25]
	s_and_saveexec_b64 s[24:25], s[0:1]
	s_cbranch_execz .LBB19_229
; %bb.197:                              ;   in Loop: Header=BB19_14 Depth=1
	v_add_u32_e32 v1, s92, v121
	v_cmp_gt_i32_e32 vcc, s60, v1
	v_mov_b32_e32 v6, 0x47
	s_and_saveexec_b64 s[26:27], vcc
	s_cbranch_execz .LBB19_199
; %bb.198:                              ;   in Loop: Header=BB19_14 Depth=1
	v_add_u32_e32 v12, v157, v142
	ds_read2st64_b32 v[8:9], v12 offset1:15
	v_add_u32_e32 v14, 0, v142
	ds_read2_b32 v[6:7], v14 offset0:56 offset1:57
	v_add_u32_e32 v10, 0xe0, v14
	ds_read2st64_b32 v[10:11], v10 offset0:15 offset1:30
	ds_read2st64_b32 v[12:13], v12 offset0:30 offset1:45
	ds_read_b32 v14, v14 offset:11744
	s_waitcnt lgkmcnt(4)
	v_cvt_f32_f16_e32 v18, v8
	v_cvt_f32_f16_sdwa v19, v8 dst_sel:DWORD dst_unused:UNUSED_PAD src0_sel:WORD_1
	v_cvt_f32_f16_e32 v8, v9
	v_cvt_f32_f16_sdwa v9, v9 dst_sel:DWORD dst_unused:UNUSED_PAD src0_sel:WORD_1
	v_readlane_b32 s0, v222, 48
	s_waitcnt lgkmcnt(3)
	v_pk_fma_f32 v[18:19], v[6:7], v[18:19], 0 op_sel_hi:[0,1,0]
	s_waitcnt lgkmcnt(2)
	v_mov_b32_e32 v6, v11
	v_pk_fma_f32 v[8:9], v[10:11], v[8:9], v[18:19] op_sel_hi:[0,1,1]
	s_waitcnt lgkmcnt(1)
	v_cvt_f32_f16_e32 v18, v12
	v_cvt_f32_f16_sdwa v19, v12 dst_sel:DWORD dst_unused:UNUSED_PAD src0_sel:WORD_1
	v_cvt_f32_f16_e32 v10, v13
	v_cvt_f32_f16_sdwa v11, v13 dst_sel:DWORD dst_unused:UNUSED_PAD src0_sel:WORD_1
	v_mad_u64_u32 v[16:17], s[0:1], v1, s0, v[34:35]
	v_pk_fma_f32 v[8:9], v[6:7], v[18:19], v[8:9] op_sel_hi:[0,1,1]
	s_waitcnt lgkmcnt(0)
	v_pk_fma_f32 v[8:9], v[14:15], v[10:11], v[8:9] op_sel_hi:[0,1,1]
	v_div_scale_f32 v1, s[0:1], v7, v7, v9
	v_rcp_f32_e32 v6, v1
	v_ashrrev_i32_e32 v17, 31, v16
	v_lshl_add_u64 v[16:17], v[16:17], 3, s[30:31]
	v_fma_f32 v10, -v1, v6, 1.0
	v_fmac_f32_e32 v6, v10, v6
	v_div_scale_f32 v10, vcc, v9, v7, v9
	v_mul_f32_e32 v11, v10, v6
	v_fma_f32 v12, -v1, v11, v10
	v_fmac_f32_e32 v11, v12, v6
	v_fma_f32 v1, -v1, v11, v10
	v_div_fmas_f32 v1, v1, v6, v11
	v_div_fixup_f32 v9, v1, v7, v9
	v_div_scale_f32 v1, s[0:1], v7, v7, v8
	v_rcp_f32_e32 v6, v1
	s_nop 0
	v_fma_f32 v10, -v1, v6, 1.0
	v_fmac_f32_e32 v6, v10, v6
	v_div_scale_f32 v10, vcc, v8, v7, v8
	v_mul_f32_e32 v11, v10, v6
	v_fma_f32 v12, -v1, v11, v10
	v_fmac_f32_e32 v11, v12, v6
	v_fma_f32 v1, -v1, v11, v10
	v_div_fmas_f32 v1, v1, v6, v11
	v_div_fixup_f32 v8, v1, v7, v8
	v_mov_b32_e32 v6, 0
	global_store_dwordx2 v[16:17], v[8:9], off
.LBB19_199:                             ;   in Loop: Header=BB19_14 Depth=1
	s_or_b64 exec, exec, s[26:27]
	s_movk_i32 s0, 0x47
	v_cmp_gt_i32_e32 vcc, s0, v6
	s_mov_b64 s[0:1], -1
	s_and_saveexec_b64 s[26:27], vcc
; %bb.200:                              ;   in Loop: Header=BB19_14 Depth=1
	v_cmp_eq_u32_e32 vcc, 0, v6
	s_orn2_b64 s[0:1], vcc, exec
; %bb.201:                              ;   in Loop: Header=BB19_14 Depth=1
	s_or_b64 exec, exec, s[26:27]
	s_and_b64 exec, exec, s[0:1]
	s_cbranch_execz .LBB19_229
; %bb.202:                              ;   in Loop: Header=BB19_14 Depth=1
	v_add_u32_e32 v1, s92, v122
	v_cmp_gt_i32_e32 vcc, s60, v1
	v_mov_b32_e32 v6, 0x47
	s_and_saveexec_b64 s[26:27], vcc
	s_cbranch_execz .LBB19_204
; %bb.203:                              ;   in Loop: Header=BB19_14 Depth=1
	v_add_u32_e32 v12, v157, v143
	ds_read2st64_b32 v[8:9], v12 offset1:15
	v_add_u32_e32 v14, 0, v143
	ds_read2_b32 v[6:7], v14 offset0:56 offset1:57
	v_add_u32_e32 v10, 0xe0, v14
	ds_read2st64_b32 v[10:11], v10 offset0:15 offset1:30
	ds_read2st64_b32 v[12:13], v12 offset0:30 offset1:45
	ds_read_b32 v14, v14 offset:11744
	s_waitcnt lgkmcnt(4)
	v_cvt_f32_f16_e32 v18, v8
	v_cvt_f32_f16_sdwa v19, v8 dst_sel:DWORD dst_unused:UNUSED_PAD src0_sel:WORD_1
	v_cvt_f32_f16_e32 v8, v9
	v_cvt_f32_f16_sdwa v9, v9 dst_sel:DWORD dst_unused:UNUSED_PAD src0_sel:WORD_1
	v_readlane_b32 s0, v222, 48
	s_waitcnt lgkmcnt(3)
	v_pk_fma_f32 v[18:19], v[6:7], v[18:19], 0 op_sel_hi:[0,1,0]
	s_waitcnt lgkmcnt(2)
	v_mov_b32_e32 v6, v11
	v_pk_fma_f32 v[8:9], v[10:11], v[8:9], v[18:19] op_sel_hi:[0,1,1]
	s_waitcnt lgkmcnt(1)
	v_cvt_f32_f16_e32 v18, v12
	v_cvt_f32_f16_sdwa v19, v12 dst_sel:DWORD dst_unused:UNUSED_PAD src0_sel:WORD_1
	v_cvt_f32_f16_e32 v10, v13
	v_cvt_f32_f16_sdwa v11, v13 dst_sel:DWORD dst_unused:UNUSED_PAD src0_sel:WORD_1
	v_mad_u64_u32 v[16:17], s[0:1], v1, s0, v[34:35]
	v_pk_fma_f32 v[8:9], v[6:7], v[18:19], v[8:9] op_sel_hi:[0,1,1]
	s_waitcnt lgkmcnt(0)
	v_pk_fma_f32 v[8:9], v[14:15], v[10:11], v[8:9] op_sel_hi:[0,1,1]
	v_div_scale_f32 v1, s[0:1], v7, v7, v9
	v_rcp_f32_e32 v6, v1
	v_ashrrev_i32_e32 v17, 31, v16
	v_lshl_add_u64 v[16:17], v[16:17], 3, s[30:31]
	v_fma_f32 v10, -v1, v6, 1.0
	v_fmac_f32_e32 v6, v10, v6
	v_div_scale_f32 v10, vcc, v9, v7, v9
	v_mul_f32_e32 v11, v10, v6
	v_fma_f32 v12, -v1, v11, v10
	v_fmac_f32_e32 v11, v12, v6
	v_fma_f32 v1, -v1, v11, v10
	v_div_fmas_f32 v1, v1, v6, v11
	v_div_fixup_f32 v9, v1, v7, v9
	v_div_scale_f32 v1, s[0:1], v7, v7, v8
	v_rcp_f32_e32 v6, v1
	s_nop 0
	v_fma_f32 v10, -v1, v6, 1.0
	v_fmac_f32_e32 v6, v10, v6
	v_div_scale_f32 v10, vcc, v8, v7, v8
	v_mul_f32_e32 v11, v10, v6
	v_fma_f32 v12, -v1, v11, v10
	v_fmac_f32_e32 v11, v12, v6
	v_fma_f32 v1, -v1, v11, v10
	v_div_fmas_f32 v1, v1, v6, v11
	v_div_fixup_f32 v8, v1, v7, v8
	v_mov_b32_e32 v6, 0
	global_store_dwordx2 v[16:17], v[8:9], off
.LBB19_204:                             ;   in Loop: Header=BB19_14 Depth=1
	s_or_b64 exec, exec, s[26:27]
	s_movk_i32 s0, 0x47
	v_cmp_gt_i32_e32 vcc, s0, v6
	s_mov_b64 s[0:1], -1
	s_and_saveexec_b64 s[26:27], vcc
; %bb.205:                              ;   in Loop: Header=BB19_14 Depth=1
	v_cmp_eq_u32_e32 vcc, 0, v6
	s_orn2_b64 s[0:1], vcc, exec
; %bb.206:                              ;   in Loop: Header=BB19_14 Depth=1
	s_or_b64 exec, exec, s[26:27]
	s_and_b64 exec, exec, s[0:1]
	s_cbranch_execz .LBB19_229
; %bb.207:                              ;   in Loop: Header=BB19_14 Depth=1
	v_add_u32_e32 v1, s92, v123
	v_cmp_gt_i32_e32 vcc, s60, v1
	v_mov_b32_e32 v6, 0x47
	s_and_saveexec_b64 s[26:27], vcc
	s_cbranch_execz .LBB19_209
; %bb.208:                              ;   in Loop: Header=BB19_14 Depth=1
	v_add_u32_e32 v12, v157, v144
	ds_read2st64_b32 v[8:9], v12 offset1:15
	v_add_u32_e32 v14, 0, v144
	ds_read2_b32 v[6:7], v14 offset0:56 offset1:57
	v_add_u32_e32 v10, 0xe0, v14
	ds_read2st64_b32 v[10:11], v10 offset0:15 offset1:30
	ds_read2st64_b32 v[12:13], v12 offset0:30 offset1:45
	ds_read_b32 v14, v14 offset:11744
	s_waitcnt lgkmcnt(4)
	v_cvt_f32_f16_e32 v18, v8
	v_cvt_f32_f16_sdwa v19, v8 dst_sel:DWORD dst_unused:UNUSED_PAD src0_sel:WORD_1
	v_cvt_f32_f16_e32 v8, v9
	v_cvt_f32_f16_sdwa v9, v9 dst_sel:DWORD dst_unused:UNUSED_PAD src0_sel:WORD_1
	v_readlane_b32 s0, v222, 48
	s_waitcnt lgkmcnt(3)
	v_pk_fma_f32 v[18:19], v[6:7], v[18:19], 0 op_sel_hi:[0,1,0]
	s_waitcnt lgkmcnt(2)
	v_mov_b32_e32 v6, v11
	v_pk_fma_f32 v[8:9], v[10:11], v[8:9], v[18:19] op_sel_hi:[0,1,1]
	s_waitcnt lgkmcnt(1)
	v_cvt_f32_f16_e32 v18, v12
	v_cvt_f32_f16_sdwa v19, v12 dst_sel:DWORD dst_unused:UNUSED_PAD src0_sel:WORD_1
	v_cvt_f32_f16_e32 v10, v13
	v_cvt_f32_f16_sdwa v11, v13 dst_sel:DWORD dst_unused:UNUSED_PAD src0_sel:WORD_1
	v_mad_u64_u32 v[16:17], s[0:1], v1, s0, v[34:35]
	v_pk_fma_f32 v[8:9], v[6:7], v[18:19], v[8:9] op_sel_hi:[0,1,1]
	s_waitcnt lgkmcnt(0)
	v_pk_fma_f32 v[8:9], v[14:15], v[10:11], v[8:9] op_sel_hi:[0,1,1]
	v_div_scale_f32 v1, s[0:1], v7, v7, v9
	v_rcp_f32_e32 v6, v1
	v_ashrrev_i32_e32 v17, 31, v16
	v_lshl_add_u64 v[16:17], v[16:17], 3, s[30:31]
	v_fma_f32 v10, -v1, v6, 1.0
	v_fmac_f32_e32 v6, v10, v6
	v_div_scale_f32 v10, vcc, v9, v7, v9
	v_mul_f32_e32 v11, v10, v6
	v_fma_f32 v12, -v1, v11, v10
	v_fmac_f32_e32 v11, v12, v6
	v_fma_f32 v1, -v1, v11, v10
	v_div_fmas_f32 v1, v1, v6, v11
	v_div_fixup_f32 v9, v1, v7, v9
	v_div_scale_f32 v1, s[0:1], v7, v7, v8
	v_rcp_f32_e32 v6, v1
	s_nop 0
	v_fma_f32 v10, -v1, v6, 1.0
	v_fmac_f32_e32 v6, v10, v6
	v_div_scale_f32 v10, vcc, v8, v7, v8
	v_mul_f32_e32 v11, v10, v6
	v_fma_f32 v12, -v1, v11, v10
	v_fmac_f32_e32 v11, v12, v6
	v_fma_f32 v1, -v1, v11, v10
	v_div_fmas_f32 v1, v1, v6, v11
	v_div_fixup_f32 v8, v1, v7, v8
	v_mov_b32_e32 v6, 0
	global_store_dwordx2 v[16:17], v[8:9], off
.LBB19_209:                             ;   in Loop: Header=BB19_14 Depth=1
	s_or_b64 exec, exec, s[26:27]
	s_movk_i32 s0, 0x47
	v_cmp_gt_i32_e32 vcc, s0, v6
	s_mov_b64 s[0:1], -1
	s_and_saveexec_b64 s[26:27], vcc
; %bb.210:                              ;   in Loop: Header=BB19_14 Depth=1
	v_cmp_eq_u32_e32 vcc, 0, v6
	s_orn2_b64 s[0:1], vcc, exec
; %bb.211:                              ;   in Loop: Header=BB19_14 Depth=1
	s_or_b64 exec, exec, s[26:27]
	s_and_b64 exec, exec, s[0:1]
	s_cbranch_execz .LBB19_229
; %bb.212:                              ;   in Loop: Header=BB19_14 Depth=1
	v_add_u32_e32 v1, s92, v124
	v_cmp_gt_i32_e32 vcc, s60, v1
	v_mov_b32_e32 v6, 0x47
	s_and_saveexec_b64 s[26:27], vcc
	s_cbranch_execz .LBB19_214
; %bb.213:                              ;   in Loop: Header=BB19_14 Depth=1
	v_add_u32_e32 v12, v157, v145
	ds_read2st64_b32 v[8:9], v12 offset1:15
	v_add_u32_e32 v14, 0, v145
	ds_read2_b32 v[6:7], v14 offset0:56 offset1:57
	v_add_u32_e32 v10, 0xe0, v14
	ds_read2st64_b32 v[10:11], v10 offset0:15 offset1:30
	ds_read2st64_b32 v[12:13], v12 offset0:30 offset1:45
	ds_read_b32 v14, v14 offset:11744
	s_waitcnt lgkmcnt(4)
	v_cvt_f32_f16_e32 v18, v8
	v_cvt_f32_f16_sdwa v19, v8 dst_sel:DWORD dst_unused:UNUSED_PAD src0_sel:WORD_1
	v_cvt_f32_f16_e32 v8, v9
	v_cvt_f32_f16_sdwa v9, v9 dst_sel:DWORD dst_unused:UNUSED_PAD src0_sel:WORD_1
	v_readlane_b32 s0, v222, 48
	s_waitcnt lgkmcnt(3)
	v_pk_fma_f32 v[18:19], v[6:7], v[18:19], 0 op_sel_hi:[0,1,0]
	s_waitcnt lgkmcnt(2)
	v_mov_b32_e32 v6, v11
	v_pk_fma_f32 v[8:9], v[10:11], v[8:9], v[18:19] op_sel_hi:[0,1,1]
	s_waitcnt lgkmcnt(1)
	v_cvt_f32_f16_e32 v18, v12
	v_cvt_f32_f16_sdwa v19, v12 dst_sel:DWORD dst_unused:UNUSED_PAD src0_sel:WORD_1
	v_cvt_f32_f16_e32 v10, v13
	v_cvt_f32_f16_sdwa v11, v13 dst_sel:DWORD dst_unused:UNUSED_PAD src0_sel:WORD_1
	v_mad_u64_u32 v[16:17], s[0:1], v1, s0, v[34:35]
	v_pk_fma_f32 v[8:9], v[6:7], v[18:19], v[8:9] op_sel_hi:[0,1,1]
	s_waitcnt lgkmcnt(0)
	v_pk_fma_f32 v[8:9], v[14:15], v[10:11], v[8:9] op_sel_hi:[0,1,1]
	v_div_scale_f32 v1, s[0:1], v7, v7, v9
	v_rcp_f32_e32 v6, v1
	v_ashrrev_i32_e32 v17, 31, v16
	v_lshl_add_u64 v[16:17], v[16:17], 3, s[30:31]
	v_fma_f32 v10, -v1, v6, 1.0
	v_fmac_f32_e32 v6, v10, v6
	v_div_scale_f32 v10, vcc, v9, v7, v9
	v_mul_f32_e32 v11, v10, v6
	v_fma_f32 v12, -v1, v11, v10
	v_fmac_f32_e32 v11, v12, v6
	v_fma_f32 v1, -v1, v11, v10
	v_div_fmas_f32 v1, v1, v6, v11
	v_div_fixup_f32 v9, v1, v7, v9
	v_div_scale_f32 v1, s[0:1], v7, v7, v8
	v_rcp_f32_e32 v6, v1
	s_nop 0
	v_fma_f32 v10, -v1, v6, 1.0
	v_fmac_f32_e32 v6, v10, v6
	v_div_scale_f32 v10, vcc, v8, v7, v8
	v_mul_f32_e32 v11, v10, v6
	v_fma_f32 v12, -v1, v11, v10
	v_fmac_f32_e32 v11, v12, v6
	v_fma_f32 v1, -v1, v11, v10
	v_div_fmas_f32 v1, v1, v6, v11
	v_div_fixup_f32 v8, v1, v7, v8
	v_mov_b32_e32 v6, 0
	global_store_dwordx2 v[16:17], v[8:9], off
.LBB19_214:                             ;   in Loop: Header=BB19_14 Depth=1
	s_or_b64 exec, exec, s[26:27]
	s_movk_i32 s0, 0x47
	v_cmp_gt_i32_e32 vcc, s0, v6
	s_mov_b64 s[0:1], -1
	s_and_saveexec_b64 s[26:27], vcc
; %bb.215:                              ;   in Loop: Header=BB19_14 Depth=1
	v_cmp_eq_u32_e32 vcc, 0, v6
	s_orn2_b64 s[0:1], vcc, exec
; %bb.216:                              ;   in Loop: Header=BB19_14 Depth=1
	s_or_b64 exec, exec, s[26:27]
	s_and_b64 exec, exec, s[0:1]
	s_cbranch_execz .LBB19_229
; %bb.217:                              ;   in Loop: Header=BB19_14 Depth=1
	v_add_u32_e32 v1, s92, v125
	v_cmp_gt_i32_e32 vcc, s60, v1
	v_mov_b32_e32 v6, 0x47
	s_and_saveexec_b64 s[26:27], vcc
	s_cbranch_execz .LBB19_219
; %bb.218:                              ;   in Loop: Header=BB19_14 Depth=1
	v_add_u32_e32 v12, v157, v146
	ds_read2st64_b32 v[8:9], v12 offset1:15
	v_add_u32_e32 v14, 0, v146
	ds_read2_b32 v[6:7], v14 offset0:56 offset1:57
	v_add_u32_e32 v10, 0xe0, v14
	ds_read2st64_b32 v[10:11], v10 offset0:15 offset1:30
	ds_read2st64_b32 v[12:13], v12 offset0:30 offset1:45
	ds_read_b32 v14, v14 offset:11744
	s_waitcnt lgkmcnt(4)
	v_cvt_f32_f16_e32 v18, v8
	v_cvt_f32_f16_sdwa v19, v8 dst_sel:DWORD dst_unused:UNUSED_PAD src0_sel:WORD_1
	v_cvt_f32_f16_e32 v8, v9
	v_cvt_f32_f16_sdwa v9, v9 dst_sel:DWORD dst_unused:UNUSED_PAD src0_sel:WORD_1
	v_readlane_b32 s0, v222, 48
	s_waitcnt lgkmcnt(3)
	v_pk_fma_f32 v[18:19], v[6:7], v[18:19], 0 op_sel_hi:[0,1,0]
	s_waitcnt lgkmcnt(2)
	v_mov_b32_e32 v6, v11
	v_pk_fma_f32 v[8:9], v[10:11], v[8:9], v[18:19] op_sel_hi:[0,1,1]
	s_waitcnt lgkmcnt(1)
	v_cvt_f32_f16_e32 v18, v12
	v_cvt_f32_f16_sdwa v19, v12 dst_sel:DWORD dst_unused:UNUSED_PAD src0_sel:WORD_1
	v_cvt_f32_f16_e32 v10, v13
	v_cvt_f32_f16_sdwa v11, v13 dst_sel:DWORD dst_unused:UNUSED_PAD src0_sel:WORD_1
	v_mad_u64_u32 v[16:17], s[0:1], v1, s0, v[34:35]
	v_pk_fma_f32 v[8:9], v[6:7], v[18:19], v[8:9] op_sel_hi:[0,1,1]
	s_waitcnt lgkmcnt(0)
	v_pk_fma_f32 v[8:9], v[14:15], v[10:11], v[8:9] op_sel_hi:[0,1,1]
	v_div_scale_f32 v1, s[0:1], v7, v7, v9
	v_rcp_f32_e32 v6, v1
	v_ashrrev_i32_e32 v17, 31, v16
	v_lshl_add_u64 v[16:17], v[16:17], 3, s[30:31]
	v_fma_f32 v10, -v1, v6, 1.0
	v_fmac_f32_e32 v6, v10, v6
	v_div_scale_f32 v10, vcc, v9, v7, v9
	v_mul_f32_e32 v11, v10, v6
	v_fma_f32 v12, -v1, v11, v10
	v_fmac_f32_e32 v11, v12, v6
	v_fma_f32 v1, -v1, v11, v10
	v_div_fmas_f32 v1, v1, v6, v11
	v_div_fixup_f32 v9, v1, v7, v9
	v_div_scale_f32 v1, s[0:1], v7, v7, v8
	v_rcp_f32_e32 v6, v1
	s_nop 0
	v_fma_f32 v10, -v1, v6, 1.0
	v_fmac_f32_e32 v6, v10, v6
	v_div_scale_f32 v10, vcc, v8, v7, v8
	v_mul_f32_e32 v11, v10, v6
	v_fma_f32 v12, -v1, v11, v10
	v_fmac_f32_e32 v11, v12, v6
	v_fma_f32 v1, -v1, v11, v10
	v_div_fmas_f32 v1, v1, v6, v11
	v_div_fixup_f32 v8, v1, v7, v8
	v_mov_b32_e32 v6, 0
	global_store_dwordx2 v[16:17], v[8:9], off
.LBB19_219:                             ;   in Loop: Header=BB19_14 Depth=1
	s_or_b64 exec, exec, s[26:27]
	s_movk_i32 s0, 0x47
	v_cmp_gt_i32_e32 vcc, s0, v6
	s_mov_b64 s[0:1], -1
	s_and_saveexec_b64 s[26:27], vcc
; %bb.220:                              ;   in Loop: Header=BB19_14 Depth=1
	v_cmp_eq_u32_e32 vcc, 0, v6
	s_orn2_b64 s[0:1], vcc, exec
; %bb.221:                              ;   in Loop: Header=BB19_14 Depth=1
	s_or_b64 exec, exec, s[26:27]
	s_and_b64 exec, exec, s[0:1]
	s_cbranch_execz .LBB19_229
; %bb.222:                              ;   in Loop: Header=BB19_14 Depth=1
	v_add_u32_e32 v1, s92, v126
	v_cmp_gt_i32_e32 vcc, s60, v1
	v_mov_b32_e32 v6, 0x47
	s_and_saveexec_b64 s[26:27], vcc
	s_cbranch_execz .LBB19_224
; %bb.223:                              ;   in Loop: Header=BB19_14 Depth=1
	v_add_u32_e32 v12, v157, v147
	ds_read2st64_b32 v[8:9], v12 offset1:15
	v_add_u32_e32 v14, 0, v147
	ds_read2_b32 v[6:7], v14 offset0:56 offset1:57
	v_add_u32_e32 v10, 0xe0, v14
	ds_read2st64_b32 v[10:11], v10 offset0:15 offset1:30
	ds_read2st64_b32 v[12:13], v12 offset0:30 offset1:45
	ds_read_b32 v14, v14 offset:11744
	s_waitcnt lgkmcnt(4)
	v_cvt_f32_f16_e32 v18, v8
	v_cvt_f32_f16_sdwa v19, v8 dst_sel:DWORD dst_unused:UNUSED_PAD src0_sel:WORD_1
	v_cvt_f32_f16_e32 v8, v9
	v_cvt_f32_f16_sdwa v9, v9 dst_sel:DWORD dst_unused:UNUSED_PAD src0_sel:WORD_1
	v_readlane_b32 s0, v222, 48
	s_waitcnt lgkmcnt(3)
	v_pk_fma_f32 v[18:19], v[6:7], v[18:19], 0 op_sel_hi:[0,1,0]
	s_waitcnt lgkmcnt(2)
	v_mov_b32_e32 v6, v11
	v_pk_fma_f32 v[8:9], v[10:11], v[8:9], v[18:19] op_sel_hi:[0,1,1]
	s_waitcnt lgkmcnt(1)
	v_cvt_f32_f16_e32 v18, v12
	v_cvt_f32_f16_sdwa v19, v12 dst_sel:DWORD dst_unused:UNUSED_PAD src0_sel:WORD_1
	v_cvt_f32_f16_e32 v10, v13
	v_cvt_f32_f16_sdwa v11, v13 dst_sel:DWORD dst_unused:UNUSED_PAD src0_sel:WORD_1
	v_mad_u64_u32 v[16:17], s[0:1], v1, s0, v[34:35]
	v_pk_fma_f32 v[8:9], v[6:7], v[18:19], v[8:9] op_sel_hi:[0,1,1]
	s_waitcnt lgkmcnt(0)
	v_pk_fma_f32 v[8:9], v[14:15], v[10:11], v[8:9] op_sel_hi:[0,1,1]
	v_div_scale_f32 v1, s[0:1], v7, v7, v9
	v_rcp_f32_e32 v6, v1
	v_ashrrev_i32_e32 v17, 31, v16
	v_lshl_add_u64 v[16:17], v[16:17], 3, s[30:31]
	v_fma_f32 v10, -v1, v6, 1.0
	v_fmac_f32_e32 v6, v10, v6
	v_div_scale_f32 v10, vcc, v9, v7, v9
	v_mul_f32_e32 v11, v10, v6
	v_fma_f32 v12, -v1, v11, v10
	v_fmac_f32_e32 v11, v12, v6
	v_fma_f32 v1, -v1, v11, v10
	v_div_fmas_f32 v1, v1, v6, v11
	v_div_fixup_f32 v9, v1, v7, v9
	v_div_scale_f32 v1, s[0:1], v7, v7, v8
	v_rcp_f32_e32 v6, v1
	s_nop 0
	v_fma_f32 v10, -v1, v6, 1.0
	v_fmac_f32_e32 v6, v10, v6
	v_div_scale_f32 v10, vcc, v8, v7, v8
	v_mul_f32_e32 v11, v10, v6
	v_fma_f32 v12, -v1, v11, v10
	v_fmac_f32_e32 v11, v12, v6
	v_fma_f32 v1, -v1, v11, v10
	v_div_fmas_f32 v1, v1, v6, v11
	v_div_fixup_f32 v8, v1, v7, v8
	v_mov_b32_e32 v6, 0
	global_store_dwordx2 v[16:17], v[8:9], off
.LBB19_224:                             ;   in Loop: Header=BB19_14 Depth=1
	s_or_b64 exec, exec, s[26:27]
	s_movk_i32 s0, 0x47
	v_cmp_gt_i32_e32 vcc, s0, v6
	s_mov_b64 s[0:1], -1
	s_and_saveexec_b64 s[26:27], vcc
; %bb.225:                              ;   in Loop: Header=BB19_14 Depth=1
	v_cmp_eq_u32_e32 vcc, 0, v6
	s_orn2_b64 s[0:1], vcc, exec
; %bb.226:                              ;   in Loop: Header=BB19_14 Depth=1
	s_or_b64 exec, exec, s[26:27]
	s_and_b64 exec, exec, s[0:1]
	s_cbranch_execz .LBB19_229
; %bb.227:                              ;   in Loop: Header=BB19_14 Depth=1
	v_add_u32_e32 v1, s92, v127
	v_cmp_gt_i32_e32 vcc, s60, v1
	s_and_b64 exec, exec, vcc
	s_cbranch_execz .LBB19_229
; %bb.228:                              ;   in Loop: Header=BB19_14 Depth=1
	v_add_u32_e32 v12, v157, v148
	ds_read2st64_b32 v[8:9], v12 offset1:15
	v_add_u32_e32 v14, 0, v148
	ds_read2_b32 v[6:7], v14 offset0:56 offset1:57
	v_add_u32_e32 v10, 0xe0, v14
	ds_read2st64_b32 v[10:11], v10 offset0:15 offset1:30
	ds_read2st64_b32 v[12:13], v12 offset0:30 offset1:45
	ds_read_b32 v14, v14 offset:11744
	s_waitcnt lgkmcnt(4)
	v_cvt_f32_f16_e32 v18, v8
	v_cvt_f32_f16_sdwa v19, v8 dst_sel:DWORD dst_unused:UNUSED_PAD src0_sel:WORD_1
	v_cvt_f32_f16_e32 v8, v9
	v_cvt_f32_f16_sdwa v9, v9 dst_sel:DWORD dst_unused:UNUSED_PAD src0_sel:WORD_1
	v_readlane_b32 s0, v222, 48
	s_waitcnt lgkmcnt(3)
	v_pk_fma_f32 v[18:19], v[6:7], v[18:19], 0 op_sel_hi:[0,1,0]
	s_waitcnt lgkmcnt(2)
	v_mov_b32_e32 v6, v11
	v_pk_fma_f32 v[8:9], v[10:11], v[8:9], v[18:19] op_sel_hi:[0,1,1]
	s_waitcnt lgkmcnt(1)
	v_cvt_f32_f16_e32 v18, v12
	v_cvt_f32_f16_sdwa v19, v12 dst_sel:DWORD dst_unused:UNUSED_PAD src0_sel:WORD_1
	v_cvt_f32_f16_e32 v10, v13
	v_cvt_f32_f16_sdwa v11, v13 dst_sel:DWORD dst_unused:UNUSED_PAD src0_sel:WORD_1
	v_mad_u64_u32 v[16:17], s[0:1], v1, s0, v[34:35]
	v_pk_fma_f32 v[8:9], v[6:7], v[18:19], v[8:9] op_sel_hi:[0,1,1]
	s_waitcnt lgkmcnt(0)
	v_pk_fma_f32 v[8:9], v[14:15], v[10:11], v[8:9] op_sel_hi:[0,1,1]
	v_div_scale_f32 v1, s[0:1], v7, v7, v9
	v_rcp_f32_e32 v6, v1
	v_ashrrev_i32_e32 v17, 31, v16
	v_lshl_add_u64 v[16:17], v[16:17], 3, s[30:31]
	v_fma_f32 v10, -v1, v6, 1.0
	v_fmac_f32_e32 v6, v10, v6
	v_div_scale_f32 v10, vcc, v9, v7, v9
	v_mul_f32_e32 v11, v10, v6
	v_fma_f32 v12, -v1, v11, v10
	v_fmac_f32_e32 v11, v12, v6
	v_fma_f32 v1, -v1, v11, v10
	v_div_fmas_f32 v1, v1, v6, v11
	v_div_fixup_f32 v9, v1, v7, v9
	v_div_scale_f32 v1, s[0:1], v7, v7, v8
	v_rcp_f32_e32 v6, v1
	s_nop 0
	v_fma_f32 v10, -v1, v6, 1.0
	v_fmac_f32_e32 v6, v10, v6
	v_div_scale_f32 v10, vcc, v8, v7, v8
	v_mul_f32_e32 v11, v10, v6
	v_fma_f32 v12, -v1, v11, v10
	v_fmac_f32_e32 v11, v12, v6
	v_fma_f32 v1, -v1, v11, v10
	v_div_fmas_f32 v1, v1, v6, v11
	v_div_fixup_f32 v8, v1, v7, v8
	global_store_dwordx2 v[16:17], v[8:9], off
.LBB19_229:                             ;   in Loop: Header=BB19_14 Depth=1
	s_or_b64 exec, exec, s[24:25]
	v_add_u32_e32 v6, s92, v119
	v_cmp_gt_i32_e32 vcc, s60, v6
	v_mov_b32_e32 v1, 0x47
	s_and_saveexec_b64 s[24:25], vcc
	s_cbranch_execz .LBB19_231
; %bb.230:                              ;   in Loop: Header=BB19_14 Depth=1
	v_add_u32_e32 v7, v158, v149
	v_add_u32_e32 v7, 0x80, v7
	ds_read2st64_b32 v[10:11], v7 offset1:15
	v_add_u32_e32 v1, 0, v149
	ds_read2_b32 v[8:9], v1 offset0:56 offset1:57
	v_add_u32_e32 v12, 0xe0, v1
	ds_read2st64_b32 v[12:13], v12 offset0:15 offset1:30
	ds_read2st64_b32 v[14:15], v7 offset0:30 offset1:45
	ds_read_b32 v16, v1 offset:11744
	s_waitcnt lgkmcnt(4)
	v_cvt_f32_f16_e32 v18, v10
	v_cvt_f32_f16_sdwa v19, v10 dst_sel:DWORD dst_unused:UNUSED_PAD src0_sel:WORD_1
	v_cvt_f32_f16_e32 v10, v11
	v_cvt_f32_f16_sdwa v11, v11 dst_sel:DWORD dst_unused:UNUSED_PAD src0_sel:WORD_1
	v_readlane_b32 s0, v222, 48
	s_waitcnt lgkmcnt(3)
	v_pk_fma_f32 v[18:19], v[8:9], v[18:19], 0 op_sel_hi:[0,1,0]
	s_waitcnt lgkmcnt(2)
	v_mov_b32_e32 v8, v13
	v_pk_fma_f32 v[10:11], v[12:13], v[10:11], v[18:19] op_sel_hi:[0,1,1]
	s_waitcnt lgkmcnt(1)
	v_cvt_f32_f16_e32 v18, v14
	v_cvt_f32_f16_sdwa v19, v14 dst_sel:DWORD dst_unused:UNUSED_PAD src0_sel:WORD_1
	v_cvt_f32_f16_e32 v12, v15
	v_cvt_f32_f16_sdwa v13, v15 dst_sel:DWORD dst_unused:UNUSED_PAD src0_sel:WORD_1
	v_mul_lo_u32 v6, v6, s0
	v_pk_fma_f32 v[10:11], v[8:9], v[18:19], v[10:11] op_sel_hi:[0,1,1]
	v_ashrrev_i32_e32 v7, 31, v6
	s_waitcnt lgkmcnt(0)
	v_pk_fma_f32 v[10:11], v[16:17], v[12:13], v[10:11] op_sel_hi:[0,1,1]
	v_div_scale_f32 v1, s[0:1], v9, v9, v11
	v_rcp_f32_e32 v8, v1
	v_lshl_add_u64 v[6:7], v[6:7], 0, v[36:37]
	v_lshl_add_u64 v[6:7], v[6:7], 3, s[30:31]
	v_fma_f32 v12, -v1, v8, 1.0
	v_fmac_f32_e32 v8, v12, v8
	v_div_scale_f32 v12, vcc, v11, v9, v11
	v_mul_f32_e32 v13, v12, v8
	v_fma_f32 v14, -v1, v13, v12
	v_fmac_f32_e32 v13, v14, v8
	v_fma_f32 v1, -v1, v13, v12
	v_div_fmas_f32 v1, v1, v8, v13
	v_div_fixup_f32 v11, v1, v9, v11
	v_div_scale_f32 v1, s[0:1], v9, v9, v10
	v_rcp_f32_e32 v8, v1
	s_nop 0
	v_fma_f32 v12, -v1, v8, 1.0
	v_fmac_f32_e32 v8, v12, v8
	v_div_scale_f32 v12, vcc, v10, v9, v10
	v_mul_f32_e32 v13, v12, v8
	v_fma_f32 v14, -v1, v13, v12
	v_fmac_f32_e32 v13, v14, v8
	v_fma_f32 v1, -v1, v13, v12
	v_div_fmas_f32 v1, v1, v8, v13
	v_div_fixup_f32 v10, v1, v9, v10
	v_mov_b32_e32 v1, 0
	global_store_dwordx2 v[6:7], v[10:11], off offset:256
.LBB19_231:                             ;   in Loop: Header=BB19_14 Depth=1
	s_or_b64 exec, exec, s[24:25]
	s_movk_i32 s0, 0x47
	v_cmp_gt_i32_e32 vcc, s0, v1
	s_mov_b64 s[0:1], -1
	s_and_saveexec_b64 s[24:25], vcc
; %bb.232:                              ;   in Loop: Header=BB19_14 Depth=1
	v_cmp_eq_u32_e32 vcc, 0, v1
	s_orn2_b64 s[0:1], vcc, exec
; %bb.233:                              ;   in Loop: Header=BB19_14 Depth=1
	s_or_b64 exec, exec, s[24:25]
	s_and_saveexec_b64 s[24:25], s[0:1]
	s_cbranch_execz .LBB19_246
; %bb.234:                              ;   in Loop: Header=BB19_14 Depth=1
	v_add_u32_e32 v6, s92, v128
	v_cmp_gt_i32_e32 vcc, s60, v6
	v_mov_b32_e32 v1, 0x47
	s_and_saveexec_b64 s[26:27], vcc
	s_cbranch_execz .LBB19_236
; %bb.235:                              ;   in Loop: Header=BB19_14 Depth=1
	v_add_u32_e32 v7, v158, v150
	v_add_u32_e32 v7, 0x80, v7
	ds_read2st64_b32 v[10:11], v7 offset1:15
	v_add_u32_e32 v1, 0, v150
	ds_read2_b32 v[8:9], v1 offset0:56 offset1:57
	v_add_u32_e32 v12, 0xe0, v1
	ds_read2st64_b32 v[12:13], v12 offset0:15 offset1:30
	ds_read2st64_b32 v[14:15], v7 offset0:30 offset1:45
	ds_read_b32 v16, v1 offset:11744
	s_waitcnt lgkmcnt(4)
	v_cvt_f32_f16_e32 v18, v10
	v_cvt_f32_f16_sdwa v19, v10 dst_sel:DWORD dst_unused:UNUSED_PAD src0_sel:WORD_1
	v_cvt_f32_f16_e32 v10, v11
	v_cvt_f32_f16_sdwa v11, v11 dst_sel:DWORD dst_unused:UNUSED_PAD src0_sel:WORD_1
	v_readlane_b32 s0, v222, 48
	s_waitcnt lgkmcnt(3)
	v_pk_fma_f32 v[18:19], v[8:9], v[18:19], 0 op_sel_hi:[0,1,0]
	s_waitcnt lgkmcnt(2)
	v_mov_b32_e32 v8, v13
	v_pk_fma_f32 v[10:11], v[12:13], v[10:11], v[18:19] op_sel_hi:[0,1,1]
	s_waitcnt lgkmcnt(1)
	v_cvt_f32_f16_e32 v18, v14
	v_cvt_f32_f16_sdwa v19, v14 dst_sel:DWORD dst_unused:UNUSED_PAD src0_sel:WORD_1
	v_cvt_f32_f16_e32 v12, v15
	v_cvt_f32_f16_sdwa v13, v15 dst_sel:DWORD dst_unused:UNUSED_PAD src0_sel:WORD_1
	v_mul_lo_u32 v6, v6, s0
	v_pk_fma_f32 v[10:11], v[8:9], v[18:19], v[10:11] op_sel_hi:[0,1,1]
	v_ashrrev_i32_e32 v7, 31, v6
	s_waitcnt lgkmcnt(0)
	v_pk_fma_f32 v[10:11], v[16:17], v[12:13], v[10:11] op_sel_hi:[0,1,1]
	v_div_scale_f32 v1, s[0:1], v9, v9, v11
	v_rcp_f32_e32 v8, v1
	v_lshl_add_u64 v[6:7], v[6:7], 0, v[36:37]
	v_lshl_add_u64 v[6:7], v[6:7], 3, s[30:31]
	v_fma_f32 v12, -v1, v8, 1.0
	v_fmac_f32_e32 v8, v12, v8
	v_div_scale_f32 v12, vcc, v11, v9, v11
	v_mul_f32_e32 v13, v12, v8
	v_fma_f32 v14, -v1, v13, v12
	v_fmac_f32_e32 v13, v14, v8
	v_fma_f32 v1, -v1, v13, v12
	v_div_fmas_f32 v1, v1, v8, v13
	v_div_fixup_f32 v11, v1, v9, v11
	v_div_scale_f32 v1, s[0:1], v9, v9, v10
	v_rcp_f32_e32 v8, v1
	s_nop 0
	v_fma_f32 v12, -v1, v8, 1.0
	v_fmac_f32_e32 v8, v12, v8
	v_div_scale_f32 v12, vcc, v10, v9, v10
	v_mul_f32_e32 v13, v12, v8
	v_fma_f32 v14, -v1, v13, v12
	v_fmac_f32_e32 v13, v14, v8
	v_fma_f32 v1, -v1, v13, v12
	v_div_fmas_f32 v1, v1, v8, v13
	v_div_fixup_f32 v10, v1, v9, v10
	v_mov_b32_e32 v1, 0
	global_store_dwordx2 v[6:7], v[10:11], off offset:256
.LBB19_236:                             ;   in Loop: Header=BB19_14 Depth=1
	s_or_b64 exec, exec, s[26:27]
	s_movk_i32 s0, 0x47
	v_cmp_gt_i32_e32 vcc, s0, v1
	s_mov_b64 s[0:1], -1
	s_and_saveexec_b64 s[26:27], vcc
; %bb.237:                              ;   in Loop: Header=BB19_14 Depth=1
	v_cmp_eq_u32_e32 vcc, 0, v1
	s_orn2_b64 s[0:1], vcc, exec
; %bb.238:                              ;   in Loop: Header=BB19_14 Depth=1
	s_or_b64 exec, exec, s[26:27]
	s_and_b64 exec, exec, s[0:1]
	s_cbranch_execz .LBB19_246
; %bb.239:                              ;   in Loop: Header=BB19_14 Depth=1
	v_add_u32_e32 v6, s92, v129
	v_cmp_gt_i32_e32 vcc, s60, v6
	v_mov_b32_e32 v1, 0x47
	s_and_saveexec_b64 s[26:27], vcc
	s_cbranch_execz .LBB19_241
; %bb.240:                              ;   in Loop: Header=BB19_14 Depth=1
	v_add_u32_e32 v7, v158, v151
	v_add_u32_e32 v7, 0x80, v7
	ds_read2st64_b32 v[10:11], v7 offset1:15
	v_add_u32_e32 v1, 0, v151
	ds_read2_b32 v[8:9], v1 offset0:56 offset1:57
	v_add_u32_e32 v12, 0xe0, v1
	ds_read2st64_b32 v[12:13], v12 offset0:15 offset1:30
	ds_read2st64_b32 v[14:15], v7 offset0:30 offset1:45
	ds_read_b32 v16, v1 offset:11744
	s_waitcnt lgkmcnt(4)
	v_cvt_f32_f16_e32 v18, v10
	v_cvt_f32_f16_sdwa v19, v10 dst_sel:DWORD dst_unused:UNUSED_PAD src0_sel:WORD_1
	v_cvt_f32_f16_e32 v10, v11
	v_cvt_f32_f16_sdwa v11, v11 dst_sel:DWORD dst_unused:UNUSED_PAD src0_sel:WORD_1
	v_readlane_b32 s0, v222, 48
	s_waitcnt lgkmcnt(3)
	v_pk_fma_f32 v[18:19], v[8:9], v[18:19], 0 op_sel_hi:[0,1,0]
	s_waitcnt lgkmcnt(2)
	v_mov_b32_e32 v8, v13
	v_pk_fma_f32 v[10:11], v[12:13], v[10:11], v[18:19] op_sel_hi:[0,1,1]
	s_waitcnt lgkmcnt(1)
	v_cvt_f32_f16_e32 v18, v14
	v_cvt_f32_f16_sdwa v19, v14 dst_sel:DWORD dst_unused:UNUSED_PAD src0_sel:WORD_1
	v_cvt_f32_f16_e32 v12, v15
	v_cvt_f32_f16_sdwa v13, v15 dst_sel:DWORD dst_unused:UNUSED_PAD src0_sel:WORD_1
	v_mul_lo_u32 v6, v6, s0
	v_pk_fma_f32 v[10:11], v[8:9], v[18:19], v[10:11] op_sel_hi:[0,1,1]
	v_ashrrev_i32_e32 v7, 31, v6
	s_waitcnt lgkmcnt(0)
	v_pk_fma_f32 v[10:11], v[16:17], v[12:13], v[10:11] op_sel_hi:[0,1,1]
	v_div_scale_f32 v1, s[0:1], v9, v9, v11
	v_rcp_f32_e32 v8, v1
	v_lshl_add_u64 v[6:7], v[6:7], 0, v[36:37]
	v_lshl_add_u64 v[6:7], v[6:7], 3, s[30:31]
	v_fma_f32 v12, -v1, v8, 1.0
	v_fmac_f32_e32 v8, v12, v8
	v_div_scale_f32 v12, vcc, v11, v9, v11
	v_mul_f32_e32 v13, v12, v8
	v_fma_f32 v14, -v1, v13, v12
	v_fmac_f32_e32 v13, v14, v8
	v_fma_f32 v1, -v1, v13, v12
	v_div_fmas_f32 v1, v1, v8, v13
	v_div_fixup_f32 v11, v1, v9, v11
	v_div_scale_f32 v1, s[0:1], v9, v9, v10
	v_rcp_f32_e32 v8, v1
	s_nop 0
	v_fma_f32 v12, -v1, v8, 1.0
	v_fmac_f32_e32 v8, v12, v8
	v_div_scale_f32 v12, vcc, v10, v9, v10
	v_mul_f32_e32 v13, v12, v8
	v_fma_f32 v14, -v1, v13, v12
	v_fmac_f32_e32 v13, v14, v8
	v_fma_f32 v1, -v1, v13, v12
	v_div_fmas_f32 v1, v1, v8, v13
	v_div_fixup_f32 v10, v1, v9, v10
	v_mov_b32_e32 v1, 0
	global_store_dwordx2 v[6:7], v[10:11], off offset:256
.LBB19_241:                             ;   in Loop: Header=BB19_14 Depth=1
	s_or_b64 exec, exec, s[26:27]
	s_movk_i32 s0, 0x47
	v_cmp_gt_i32_e32 vcc, s0, v1
	s_mov_b64 s[0:1], -1
	s_and_saveexec_b64 s[26:27], vcc
; %bb.242:                              ;   in Loop: Header=BB19_14 Depth=1
	v_cmp_eq_u32_e32 vcc, 0, v1
	s_orn2_b64 s[0:1], vcc, exec
; %bb.243:                              ;   in Loop: Header=BB19_14 Depth=1
	s_or_b64 exec, exec, s[26:27]
	s_and_b64 exec, exec, s[0:1]
	s_cbranch_execz .LBB19_246
; %bb.244:                              ;   in Loop: Header=BB19_14 Depth=1
	v_add_u32_e32 v1, s92, v130
	v_cmp_gt_i32_e32 vcc, s60, v1
	s_and_b64 exec, exec, vcc
	s_cbranch_execz .LBB19_246
; %bb.245:                              ;   in Loop: Header=BB19_14 Depth=1
	v_add_u32_e32 v7, v158, v152
	v_add_u32_e32 v7, 0x80, v7
	ds_read2st64_b32 v[10:11], v7 offset1:15
	v_readlane_b32 s0, v222, 48
	s_waitcnt lgkmcnt(0)
	v_cvt_f32_f16_e32 v18, v10
	v_mul_lo_u32 v6, v1, s0
	v_add_u32_e32 v1, 0, v152
	ds_read2_b32 v[8:9], v1 offset0:56 offset1:57
	v_add_u32_e32 v12, 0xe0, v1
	v_cvt_f32_f16_sdwa v19, v10 dst_sel:DWORD dst_unused:UNUSED_PAD src0_sel:WORD_1
	ds_read2st64_b32 v[12:13], v12 offset0:15 offset1:30
	ds_read2st64_b32 v[14:15], v7 offset0:30 offset1:45
	ds_read_b32 v16, v1 offset:11744
	v_cvt_f32_f16_e32 v10, v11
	v_cvt_f32_f16_sdwa v11, v11 dst_sel:DWORD dst_unused:UNUSED_PAD src0_sel:WORD_1
	s_waitcnt lgkmcnt(3)
	v_pk_fma_f32 v[18:19], v[8:9], v[18:19], 0 op_sel_hi:[0,1,0]
	s_waitcnt lgkmcnt(2)
	v_mov_b32_e32 v8, v13
	v_ashrrev_i32_e32 v7, 31, v6
	v_pk_fma_f32 v[10:11], v[12:13], v[10:11], v[18:19] op_sel_hi:[0,1,1]
	s_waitcnt lgkmcnt(1)
	v_cvt_f32_f16_e32 v18, v14
	v_cvt_f32_f16_sdwa v19, v14 dst_sel:DWORD dst_unused:UNUSED_PAD src0_sel:WORD_1
	v_cvt_f32_f16_e32 v12, v15
	v_cvt_f32_f16_sdwa v13, v15 dst_sel:DWORD dst_unused:UNUSED_PAD src0_sel:WORD_1
	v_lshl_add_u64 v[6:7], v[6:7], 0, v[36:37]
	v_pk_fma_f32 v[10:11], v[8:9], v[18:19], v[10:11] op_sel_hi:[0,1,1]
	v_lshl_add_u64 v[6:7], v[6:7], 3, s[30:31]
	s_waitcnt lgkmcnt(0)
	v_pk_fma_f32 v[10:11], v[16:17], v[12:13], v[10:11] op_sel_hi:[0,1,1]
	v_div_scale_f32 v1, s[0:1], v9, v9, v11
	v_rcp_f32_e32 v8, v1
	s_nop 0
	v_fma_f32 v12, -v1, v8, 1.0
	v_fmac_f32_e32 v8, v12, v8
	v_div_scale_f32 v12, vcc, v11, v9, v11
	v_mul_f32_e32 v13, v12, v8
	v_fma_f32 v14, -v1, v13, v12
	v_fmac_f32_e32 v13, v14, v8
	v_fma_f32 v1, -v1, v13, v12
	v_div_fmas_f32 v1, v1, v8, v13
	v_div_fixup_f32 v11, v1, v9, v11
	v_div_scale_f32 v1, s[0:1], v9, v9, v10
	v_rcp_f32_e32 v8, v1
	s_nop 0
	v_fma_f32 v12, -v1, v8, 1.0
	v_fmac_f32_e32 v8, v12, v8
	v_div_scale_f32 v12, vcc, v10, v9, v10
	v_mul_f32_e32 v13, v12, v8
	v_fma_f32 v14, -v1, v13, v12
	v_fmac_f32_e32 v13, v14, v8
	v_fma_f32 v1, -v1, v13, v12
	v_div_fmas_f32 v1, v1, v8, v13
	v_div_fixup_f32 v10, v1, v9, v10
	global_store_dwordx2 v[6:7], v[10:11], off offset:256
.LBB19_246:                             ;   in Loop: Header=BB19_14 Depth=1
	s_or_b64 exec, exec, s[24:25]
	v_add_u32_e32 v6, s92, v120
	v_cmp_gt_i32_e32 vcc, s60, v6
	v_mov_b32_e32 v1, 0x47
	s_and_saveexec_b64 s[24:25], vcc
	s_cbranch_execz .LBB19_248
; %bb.247:                              ;   in Loop: Header=BB19_14 Depth=1
	v_add_u32_e32 v7, v140, v153
	v_add_u32_e32 v7, 0xc0, v7
	ds_read2st64_b32 v[10:11], v7 offset1:15
	v_add_u32_e32 v1, 0, v153
	ds_read2_b32 v[8:9], v1 offset0:56 offset1:57
	v_add_u32_e32 v12, 0xe0, v1
	ds_read2st64_b32 v[12:13], v12 offset0:15 offset1:30
	ds_read2st64_b32 v[14:15], v7 offset0:30 offset1:45
	ds_read_b32 v16, v1 offset:11744
	s_waitcnt lgkmcnt(4)
	v_cvt_f32_f16_e32 v18, v10
	v_cvt_f32_f16_sdwa v19, v10 dst_sel:DWORD dst_unused:UNUSED_PAD src0_sel:WORD_1
	v_cvt_f32_f16_e32 v10, v11
	v_cvt_f32_f16_sdwa v11, v11 dst_sel:DWORD dst_unused:UNUSED_PAD src0_sel:WORD_1
	v_readlane_b32 s0, v222, 48
	s_waitcnt lgkmcnt(3)
	v_pk_fma_f32 v[18:19], v[8:9], v[18:19], 0 op_sel_hi:[0,1,0]
	s_waitcnt lgkmcnt(2)
	v_mov_b32_e32 v8, v13
	v_pk_fma_f32 v[10:11], v[12:13], v[10:11], v[18:19] op_sel_hi:[0,1,1]
	s_waitcnt lgkmcnt(1)
	v_cvt_f32_f16_e32 v18, v14
	v_cvt_f32_f16_sdwa v19, v14 dst_sel:DWORD dst_unused:UNUSED_PAD src0_sel:WORD_1
	v_cvt_f32_f16_e32 v12, v15
	v_cvt_f32_f16_sdwa v13, v15 dst_sel:DWORD dst_unused:UNUSED_PAD src0_sel:WORD_1
	v_mul_lo_u32 v6, v6, s0
	v_pk_fma_f32 v[10:11], v[8:9], v[18:19], v[10:11] op_sel_hi:[0,1,1]
	v_ashrrev_i32_e32 v7, 31, v6
	s_waitcnt lgkmcnt(0)
	v_pk_fma_f32 v[10:11], v[16:17], v[12:13], v[10:11] op_sel_hi:[0,1,1]
	v_div_scale_f32 v1, s[0:1], v9, v9, v11
	v_rcp_f32_e32 v8, v1
	v_lshl_add_u64 v[6:7], v[6:7], 0, v[50:51]
	v_lshl_add_u64 v[6:7], v[6:7], 3, s[30:31]
	v_fma_f32 v12, -v1, v8, 1.0
	v_fmac_f32_e32 v8, v12, v8
	v_div_scale_f32 v12, vcc, v11, v9, v11
	v_mul_f32_e32 v13, v12, v8
	v_fma_f32 v14, -v1, v13, v12
	v_fmac_f32_e32 v13, v14, v8
	v_fma_f32 v1, -v1, v13, v12
	v_div_fmas_f32 v1, v1, v8, v13
	v_div_fixup_f32 v11, v1, v9, v11
	v_div_scale_f32 v1, s[0:1], v9, v9, v10
	v_rcp_f32_e32 v8, v1
	s_nop 0
	v_fma_f32 v12, -v1, v8, 1.0
	v_fmac_f32_e32 v8, v12, v8
	v_div_scale_f32 v12, vcc, v10, v9, v10
	v_mul_f32_e32 v13, v12, v8
	v_fma_f32 v14, -v1, v13, v12
	v_fmac_f32_e32 v13, v14, v8
	v_fma_f32 v1, -v1, v13, v12
	v_div_fmas_f32 v1, v1, v8, v13
	v_div_fixup_f32 v10, v1, v9, v10
	v_mov_b32_e32 v1, 0
	global_store_dwordx2 v[6:7], v[10:11], off offset:384
.LBB19_248:                             ;   in Loop: Header=BB19_14 Depth=1
	s_or_b64 exec, exec, s[24:25]
	s_movk_i32 s0, 0x47
	v_cmp_gt_i32_e32 vcc, s0, v1
	s_mov_b64 s[0:1], -1
	s_and_saveexec_b64 s[24:25], vcc
; %bb.249:                              ;   in Loop: Header=BB19_14 Depth=1
	v_cmp_eq_u32_e32 vcc, 0, v1
	s_orn2_b64 s[0:1], vcc, exec
; %bb.250:                              ;   in Loop: Header=BB19_14 Depth=1
	s_or_b64 exec, exec, s[24:25]
	s_and_b64 exec, exec, s[0:1]
	s_cbranch_execz .LBB19_12
; %bb.251:                              ;   in Loop: Header=BB19_14 Depth=1
	v_add_u32_e32 v1, s92, v131
	v_cmp_gt_i32_e32 vcc, s60, v1
	s_and_b64 exec, exec, vcc
	s_cbranch_execz .LBB19_12
; %bb.252:                              ;   in Loop: Header=BB19_14 Depth=1
	v_add_u32_e32 v7, v140, v154
	v_add_u32_e32 v7, 0xc0, v7
	ds_read2st64_b32 v[10:11], v7 offset1:15
	v_readlane_b32 s0, v222, 48
	s_waitcnt lgkmcnt(0)
	v_cvt_f32_f16_e32 v18, v10
	v_mul_lo_u32 v6, v1, s0
	v_add_u32_e32 v1, 0, v154
	ds_read2_b32 v[8:9], v1 offset0:56 offset1:57
	v_add_u32_e32 v12, 0xe0, v1
	v_cvt_f32_f16_sdwa v19, v10 dst_sel:DWORD dst_unused:UNUSED_PAD src0_sel:WORD_1
	ds_read2st64_b32 v[12:13], v12 offset0:15 offset1:30
	ds_read2st64_b32 v[14:15], v7 offset0:30 offset1:45
	ds_read_b32 v16, v1 offset:11744
	v_cvt_f32_f16_e32 v10, v11
	v_cvt_f32_f16_sdwa v11, v11 dst_sel:DWORD dst_unused:UNUSED_PAD src0_sel:WORD_1
	s_waitcnt lgkmcnt(3)
	v_pk_fma_f32 v[18:19], v[8:9], v[18:19], 0 op_sel_hi:[0,1,0]
	s_waitcnt lgkmcnt(2)
	v_mov_b32_e32 v8, v13
	v_ashrrev_i32_e32 v7, 31, v6
	v_pk_fma_f32 v[10:11], v[12:13], v[10:11], v[18:19] op_sel_hi:[0,1,1]
	s_waitcnt lgkmcnt(1)
	v_cvt_f32_f16_e32 v18, v14
	v_cvt_f32_f16_sdwa v19, v14 dst_sel:DWORD dst_unused:UNUSED_PAD src0_sel:WORD_1
	v_cvt_f32_f16_e32 v12, v15
	v_cvt_f32_f16_sdwa v13, v15 dst_sel:DWORD dst_unused:UNUSED_PAD src0_sel:WORD_1
	v_lshl_add_u64 v[6:7], v[6:7], 0, v[50:51]
	v_pk_fma_f32 v[10:11], v[8:9], v[18:19], v[10:11] op_sel_hi:[0,1,1]
	v_lshl_add_u64 v[6:7], v[6:7], 3, s[30:31]
	s_waitcnt lgkmcnt(0)
	v_pk_fma_f32 v[10:11], v[16:17], v[12:13], v[10:11] op_sel_hi:[0,1,1]
	v_div_scale_f32 v1, s[0:1], v9, v9, v11
	v_rcp_f32_e32 v8, v1
	s_nop 0
	v_fma_f32 v12, -v1, v8, 1.0
	v_fmac_f32_e32 v8, v12, v8
	v_div_scale_f32 v12, vcc, v11, v9, v11
	v_mul_f32_e32 v13, v12, v8
	v_fma_f32 v14, -v1, v13, v12
	v_fmac_f32_e32 v13, v14, v8
	v_fma_f32 v1, -v1, v13, v12
	v_div_fmas_f32 v1, v1, v8, v13
	v_div_fixup_f32 v11, v1, v9, v11
	v_div_scale_f32 v1, s[0:1], v9, v9, v10
	v_rcp_f32_e32 v8, v1
	s_nop 0
	v_fma_f32 v12, -v1, v8, 1.0
	v_fmac_f32_e32 v8, v12, v8
	v_div_scale_f32 v12, vcc, v10, v9, v10
	v_mul_f32_e32 v13, v12, v8
	v_fma_f32 v14, -v1, v13, v12
	v_fmac_f32_e32 v13, v14, v8
	v_fma_f32 v1, -v1, v13, v12
	v_div_fmas_f32 v1, v1, v8, v13
	v_div_fixup_f32 v10, v1, v9, v10
	global_store_dwordx2 v[6:7], v[10:11], off offset:384
	s_branch .LBB19_12
.LBB19_253:
	v_readlane_b32 s16, v222, 40
	v_readlane_b32 s68, v222, 36
	;; [unrolled: 1-line block ×10, first 2 shown]
	s_andn2_b64 vcc, exec, s[4:5]
	s_cbranch_vccnz .LBB19_10
.LBB19_254:
	v_readlane_b32 s6, v222, 7
	s_abs_i32 s0, s6
	v_cvt_f32_u32_e32 v1, s0
	s_sub_i32 s3, 0, s0
	s_abs_i32 s2, s86
	s_xor_b32 s1, s86, s6
	v_rcp_iflag_f32_e32 v1, v1
	s_ashr_i32 s1, s1, 31
	v_readlane_b32 s10, v222, 6
	v_readlane_b32 s7, v222, 3
	v_mul_f32_e32 v1, 0x4f7ffffe, v1
	v_cvt_u32_f32_e32 v1, v1
	s_nop 0
	v_readfirstlane_b32 s4, v1
	s_mul_i32 s3, s3, s4
	s_mul_hi_u32 s3, s4, s3
	s_add_i32 s4, s4, s3
	s_mul_hi_u32 s3, s2, s4
	s_mul_i32 s4, s3, s0
	s_sub_i32 s2, s2, s4
	s_add_i32 s5, s3, 1
	s_sub_i32 s4, s2, s0
	s_cmp_ge_u32 s2, s0
	s_cselect_b32 s3, s5, s3
	s_cselect_b32 s2, s4, s2
	s_add_i32 s4, s3, 1
	s_cmp_ge_u32 s2, s0
	s_cselect_b32 s0, s4, s3
	s_abs_i32 s2, s10
	v_cvt_f32_u32_e32 v1, s2
	s_xor_b32 s0, s0, s1
	s_sub_i32 s3, 0, s2
	s_sub_i32 s8, s0, s1
	v_rcp_iflag_f32_e32 v1, v1
	s_mul_i32 s0, s8, s6
	s_sub_i32 s0, s86, s0
	s_abs_i32 s4, s0
	v_mul_f32_e32 v1, 0x4f7ffffe, v1
	v_cvt_u32_f32_e32 v1, v1
	s_xor_b32 s1, s0, s10
	s_ashr_i32 s1, s1, 31
	v_readfirstlane_b32 s5, v1
	s_mul_i32 s3, s3, s5
	s_mul_hi_u32 s3, s5, s3
	s_add_i32 s5, s5, s3
	s_mul_hi_u32 s3, s4, s5
	s_mul_i32 s5, s3, s2
	s_sub_i32 s4, s4, s5
	s_add_i32 s6, s3, 1
	s_sub_i32 s5, s4, s2
	s_cmp_ge_u32 s4, s2
	s_cselect_b32 s3, s6, s3
	s_cselect_b32 s4, s5, s4
	s_add_i32 s5, s3, 1
	s_cmp_ge_u32 s4, s2
	s_cselect_b32 s2, s5, s3
	s_abs_i32 s3, s7
	v_cvt_f32_u32_e32 v1, s3
	s_xor_b32 s2, s2, s1
	s_sub_i32 s4, 0, s3
	s_sub_i32 s9, s2, s1
	v_rcp_iflag_f32_e32 v1, v1
	s_mul_i32 s1, s9, s10
	s_sub_i32 s1, s0, s1
	s_abs_i32 s2, s1
	v_mul_f32_e32 v1, 0x4f7ffffe, v1
	v_cvt_u32_f32_e32 v1, v1
	s_xor_b32 s0, s1, s7
	s_ashr_i32 s0, s0, 31
	v_readfirstlane_b32 s5, v1
	s_mul_i32 s4, s4, s5
	s_mul_hi_u32 s4, s5, s4
	s_add_i32 s5, s5, s4
	s_mul_hi_u32 s4, s2, s5
	s_mul_i32 s5, s4, s3
	s_sub_i32 s2, s2, s5
	s_add_i32 s6, s4, 1
	s_sub_i32 s5, s2, s3
	s_cmp_ge_u32 s2, s3
	s_cselect_b32 s4, s6, s4
	s_cselect_b32 s2, s5, s2
	s_add_i32 s5, s4, 1
	s_cmp_ge_u32 s2, s3
	s_cselect_b32 s2, s5, s4
	s_xor_b32 s2, s2, s0
	s_sub_i32 s0, s2, s0
	s_mul_i32 s2, s0, s7
	s_sub_i32 s1, s1, s2
	s_abs_i32 s7, s1
	s_ashr_i32 s10, s8, 31
	s_mul_hi_u32 s6, s7, s66
	s_cmp_eq_u64 s[50:51], 0
	s_mov_b64 s[2:3], 0
	s_cbranch_scc1 .LBB19_256
; %bb.255:
	s_abs_i32 s2, s12
	v_cvt_f32_u32_e32 v1, s2
	s_sub_i32 s4, 0, s2
	s_abs_i32 s3, s8
	v_readlane_b32 s12, v222, 15
	v_rcp_iflag_f32_e32 v1, v1
	v_readlane_b32 s13, v222, 16
	v_mul_f32_e32 v1, 0x4f7ffffe, v1
	v_cvt_u32_f32_e32 v1, v1
	s_nop 0
	v_readfirstlane_b32 s5, v1
	s_mul_i32 s4, s4, s5
	s_mul_hi_u32 s4, s5, s4
	s_add_i32 s5, s5, s4
	s_mul_hi_u32 s4, s3, s5
	s_mul_i32 s4, s4, s2
	s_sub_i32 s3, s3, s4
	s_sub_i32 s4, s3, s2
	s_cmp_ge_u32 s3, s2
	s_cselect_b32 s3, s4, s3
	s_sub_i32 s4, s3, s2
	s_cmp_ge_u32 s3, s2
	s_cselect_b32 s2, s4, s3
	s_xor_b32 s2, s2, s10
	s_sub_i32 s2, s2, s10
	s_ashr_i32 s3, s2, 31
	s_mul_hi_u32 s4, s12, s2
	s_mul_i32 s3, s12, s3
	s_mul_i32 s5, s13, s2
	s_add_i32 s3, s4, s3
	s_add_i32 s3, s3, s5
	s_mul_i32 s2, s12, s2
	s_add_u32 s2, s50, s2
	s_addc_u32 s3, s51, s3
.LBB19_256:
	s_ashr_i32 s12, s1, 31
	v_readlane_b32 s1, v222, 2
	s_mul_i32 s11, s9, s1
	s_add_i32 s11, s11, s0
	v_cmp_le_f32_e64 s[0:1], s17, 0
	s_and_b64 vcc, exec, s[0:1]
	v_mov_b32_e32 v20, 1.0
	s_cbranch_vccnz .LBB19_258
; %bb.257:
	v_readlane_b32 s0, v222, 12
	v_mov_b32_e32 v2, s19
	v_mov_b32_e32 v3, s18
	;; [unrolled: 1-line block ×3, first 2 shown]
	v_sub_co_u32_e32 v1, vcc, s11, v1
	s_add_i32 s0, s11, 1
	v_lshlrev_b32_e32 v1, 1, v1
	v_cndmask_b32_e32 v2, v2, v3, vcc
	v_or_b32_e32 v1, 1, v1
	v_mov_b32_e32 v3, s0
	v_cndmask_b32_e32 v1, v1, v3, vcc
	v_cvt_f32_i32_e32 v1, v1
	v_cmp_neq_f32_e32 vcc, 1.0, v2
	s_mov_b32 s0, 0x3f2aaaab
	s_movk_i32 s4, 0x204
	v_cndmask_b32_e32 v1, 1.0, v1, vcc
	v_cmp_neq_f32_e32 vcc, 0, v1
	s_mov_b32 s1, 0x42b17218
	s_mov_b32 s5, 0x3fb8aa3b
	v_cndmask_b32_e32 v18, 1.0, v2, vcc
	v_frexp_mant_f32_e64 v2, |v18|
	v_cmp_gt_f32_e32 vcc, s0, v2
	s_mov_b32 s0, 0x3f317218
	s_brev_b32 s13, -2
	v_cndmask_b32_e64 v3, 1.0, 2.0, vcc
	v_mul_f32_e32 v2, v2, v3
	v_add_f32_e32 v5, 1.0, v2
	v_rcp_f32_e32 v10, v5
	v_add_f32_e32 v3, -1.0, v5
	v_sub_f32_e32 v7, v2, v3
	v_add_f32_e32 v3, -1.0, v2
	v_mul_f32_e32 v11, v3, v10
	v_mul_f32_e32 v4, v5, v11
	v_fma_f32 v6, v11, v5, -v4
	v_fmac_f32_e32 v6, v11, v7
	v_add_f32_e32 v2, v4, v6
	v_sub_f32_e32 v5, v3, v2
	v_pk_add_f32 v[8:9], v[2:3], v[4:5] neg_lo:[0,1] neg_hi:[0,1]
	v_mov_b32_e32 v7, v2
	v_pk_add_f32 v[2:3], v[8:9], v[6:7] neg_lo:[0,1] neg_hi:[0,1]
	v_mov_b32_e32 v6, 0x3e91f4c4
	v_add_f32_e32 v2, v2, v3
	v_add_f32_e32 v2, v5, v2
	v_mul_f32_e32 v3, v10, v2
	v_add_f32_e32 v2, v11, v3
	v_sub_f32_e32 v4, v2, v11
	v_sub_f32_e32 v12, v3, v4
	v_mul_f32_e32 v3, v2, v2
	v_fma_f32 v5, v2, v2, -v3
	v_add_f32_e32 v4, v12, v12
	v_fmac_f32_e32 v5, v2, v4
	v_add_f32_e32 v4, v3, v5
	v_fmac_f32_e32 v6, 0x3e76c4e1, v4
	v_fmaak_f32 v6, v4, v6, 0x3ecccdef
	v_sub_f32_e32 v3, v4, v3
	v_sub_f32_e32 v13, v5, v3
	v_mul_f32_e32 v3, v4, v6
	v_fma_f32 v5, v4, v6, -v3
	v_fmac_f32_e32 v5, v13, v6
	v_add_f32_e32 v6, v3, v5
	v_add_f32_e32 v7, 0x3f2aaaaa, v6
	v_sub_f32_e32 v3, v6, v3
	v_sub_f32_e32 v3, v5, v3
	v_add_f32_e32 v5, 0xbf2aaaaa, v7
	v_add_f32_e32 v3, 0x31739010, v3
	v_sub_f32_e32 v5, v6, v5
	v_pk_mul_f32 v[8:9], v[2:3], v[4:5]
	v_pk_add_f32 v[10:11], v[2:3], v[4:5]
	v_fma_f32 v6, v4, v2, -v8
	v_fmac_f32_e32 v6, v4, v12
	v_mov_b32_e32 v9, v11
	v_fmac_f32_e32 v6, v13, v2
	v_pk_add_f32 v[4:5], v[8:9], v[6:7]
	v_ldexp_f32 v14, v12, 1
	v_sub_f32_e32 v3, v4, v8
	v_sub_f32_e32 v3, v6, v3
	;; [unrolled: 1-line block ×3, first 2 shown]
	v_add_f32_e32 v9, v11, v6
	v_pk_mul_f32 v[6:7], v[4:5], v[4:5] op_sel:[0,1] op_sel_hi:[1,0]
	v_cvt_f64_f32_e64 v[10:11], |v18|
	v_frexp_exp_i32_f64_e32 v7, v[10:11]
	v_subbrev_co_u32_e32 v7, vcc, 0, v7, vcc
	v_cvt_f32_i32_e32 v7, v7
	v_fma_f32 v8, v4, v5, -v6
	v_fmac_f32_e32 v8, v4, v9
	v_fmac_f32_e32 v8, v3, v5
	v_mul_f32_e32 v4, 0x3f317218, v7
	v_fma_f32 v3, v7, s0, -v4
	v_fmamk_f32 v10, v7, 0xb102e308, v3
	v_ldexp_f32 v11, v2, 1
	v_add_f32_e32 v5, v6, v8
	v_pk_add_f32 v[2:3], v[4:5], v[10:11]
	v_mov_b32_e32 v12, v5
	v_mov_b32_e32 v13, v3
	;; [unrolled: 1-line block ×3, first 2 shown]
	v_pk_add_f32 v[6:7], v[12:13], v[6:7] neg_lo:[0,1] neg_hi:[0,1]
	v_mov_b32_e32 v9, v5
	v_pk_add_f32 v[6:7], v[8:9], v[6:7] neg_lo:[0,1] neg_hi:[0,1]
	v_mov_b32_e32 v11, v2
	v_add_f32_e32 v5, v14, v6
	v_add_f32_e32 v5, v5, v7
	v_pk_add_f32 v[6:7], v[2:3], v[4:5] neg_lo:[0,1] neg_hi:[0,1]
	v_pk_add_f32 v[8:9], v[2:3], v[4:5]
	v_mov_b32_e32 v16, v3
	v_mov_b32_e32 v7, v9
	v_pk_add_f32 v[12:13], v[10:11], v[6:7] neg_lo:[0,1] neg_hi:[0,1]
	v_pk_add_f32 v[6:7], v[10:11], v[6:7]
	v_mov_b32_e32 v4, v5
	v_pk_add_f32 v[10:11], v[6:7], v[2:3] op_sel:[1,0] op_sel_hi:[0,1] neg_lo:[0,1] neg_hi:[0,1]
	v_pk_add_f32 v[14:15], v[8:9], v[10:11] op_sel_hi:[1,0] neg_lo:[0,1] neg_hi:[0,1]
	v_mov_b32_e32 v8, v9
	v_mov_b32_e32 v9, v7
	;; [unrolled: 1-line block ×3, first 2 shown]
	v_pk_add_f32 v[8:9], v[8:9], v[16:17] neg_lo:[0,1] neg_hi:[0,1]
	v_mov_b32_e32 v5, v2
	v_pk_add_f32 v[2:3], v[4:5], v[8:9] neg_lo:[0,1] neg_hi:[0,1]
	v_mov_b32_e32 v14, v12
	v_pk_add_f32 v[4:5], v[14:15], v[2:3]
	v_mov_b32_e32 v13, v7
	v_pk_add_f32 v[8:9], v[4:5], v[4:5] op_sel:[0,1] op_sel_hi:[1,0]
	s_mov_b32 s0, 0x7f800000
	v_pk_add_f32 v[6:7], v[6:7], v[8:9] op_sel:[1,0] op_sel_hi:[0,1]
	v_mov_b32_e32 v5, v6
	v_pk_add_f32 v[10:11], v[4:5], v[12:13] neg_lo:[0,1] neg_hi:[0,1]
	v_mov_b32_e32 v3, v8
	v_sub_f32_e32 v4, v4, v10
	v_pk_add_f32 v[2:3], v[2:3], v[10:11] neg_lo:[0,1] neg_hi:[0,1]
	v_sub_f32_e32 v4, v12, v4
	v_add_f32_e32 v2, v2, v4
	v_add_f32_e32 v2, v2, v3
	;; [unrolled: 1-line block ×3, first 2 shown]
	v_sub_f32_e32 v4, v3, v6
	v_sub_f32_e32 v2, v2, v4
	v_mul_f32_e32 v4, v1, v3
	v_fma_f32 v3, v1, v3, -v4
	v_fmac_f32_e32 v3, v1, v2
	v_add_f32_e32 v2, v4, v3
	v_cmp_class_f32_e64 vcc, v4, s4
	v_sub_f32_e32 v5, v2, v4
	v_sub_f32_e32 v3, v3, v5
	v_cndmask_b32_e32 v2, v2, v4, vcc
	v_mov_b32_e32 v4, 0x37000000
	v_cmp_eq_f32_e32 vcc, s1, v2
	v_cmp_class_f32_e64 s[14:15], v18, s4
	s_nop 0
	v_cndmask_b32_e32 v4, 0, v4, vcc
	v_sub_f32_e32 v5, v2, v4
	v_mul_f32_e32 v6, 0x3fb8aa3b, v5
	v_fma_f32 v7, v5, s5, -v6
	v_rndne_f32_e32 v8, v6
	v_fmamk_f32 v7, v5, 0x32a5705f, v7
	v_sub_f32_e32 v6, v6, v8
	v_add_f32_e32 v6, v6, v7
	v_exp_f32_e32 v6, v6
	v_cvt_i32_f32_e32 v7, v8
	v_cmp_neq_f32_e64 vcc, |v2|, s0
	s_mov_b32 s0, 0xc2ce8ed0
	s_nop 0
	v_cndmask_b32_e32 v2, 0, v3, vcc
	v_ldexp_f32 v3, v6, v7
	v_cmp_ngt_f32_e32 vcc, s0, v5
	v_add_f32_e32 v2, v4, v2
	v_mov_b32_e32 v4, 0x7f800000
	v_cndmask_b32_e32 v3, 0, v3, vcc
	v_cmp_nlt_f32_e32 vcc, s1, v5
	v_mov_b32_e32 v5, 0x7fc00000
	s_nop 0
	v_cndmask_b32_e32 v3, v4, v3, vcc
	v_fma_f32 v2, v3, v2, v3
	v_cmp_class_f32_e64 vcc, v3, s4
	v_cmp_gt_f32_e64 s[4:5], 0, v1
	s_nop 0
	v_cndmask_b32_e32 v2, v2, v3, vcc
	v_trunc_f32_e32 v3, v1
	v_cmp_eq_f32_e32 vcc, v3, v1
	v_mul_f32_e32 v3, 0.5, v1
	v_trunc_f32_e32 v6, v3
	v_cmp_neq_f32_e64 s[0:1], v6, v3
	s_and_b64 s[0:1], vcc, s[0:1]
	s_nop 0
	v_cndmask_b32_e64 v3, 1.0, v18, s[0:1]
	v_bfi_b32 v2, s13, v2, v3
	v_cndmask_b32_e32 v3, v5, v2, vcc
	v_cmp_gt_f32_e32 vcc, 0, v18
	s_nop 1
	v_cndmask_b32_e32 v2, v2, v3, vcc
	v_cmp_eq_f32_e32 vcc, 0, v18
	s_xor_b64 s[4:5], s[4:5], vcc
	v_cndmask_b32_e64 v1, v4, 0, s[4:5]
	v_cndmask_b32_e64 v3, 0, v18, s[0:1]
	v_bfi_b32 v1, s13, v1, v3
	s_or_b64 vcc, vcc, s[14:15]
	v_cndmask_b32_e32 v1, v2, v1, vcc
	v_cmp_o_f32_e32 vcc, v18, v18
	s_nop 1
	v_cndmask_b32_e32 v20, v5, v1, vcc
.LBB19_258:
	s_mul_i32 s1, s6, s33
	v_readlane_b32 s0, v222, 24
	s_sub_i32 s1, s7, s1
	s_xor_b32 s0, s12, s0
	s_add_i32 s4, s6, 1
	s_sub_i32 s5, s1, s33
	s_cmp_ge_u32 s1, s33
	s_cselect_b32 s4, s4, s6
	s_cselect_b32 s1, s5, s1
	s_add_i32 s5, s4, 1
	s_cmp_ge_u32 s1, s33
	s_cselect_b32 s1, s5, s4
	s_xor_b32 s1, s1, s0
	s_sub_i32 s4, s1, s0
	s_cmp_eq_u64 s[54:55], 0
	v_mov_b32_e32 v12, s87
	s_cbranch_scc1 .LBB19_260
; %bb.259:
	v_readlane_b32 s0, v222, 0
	s_mul_i32 s0, s8, s0
	s_add_i32 s0, s4, s0
	s_ashr_i32 s1, s0, 31
	s_lshl_b64 s[0:1], s[0:1], 2
	s_add_u32 s0, s54, s0
	s_addc_u32 s1, s55, s1
	v_mov_b32_e32 v1, 0
	global_load_dword v1, v1, s[0:1]
	s_waitcnt vmcnt(0)
	v_ashrrev_i32_e32 v2, 31, v1
	v_lshrrev_b32_e32 v2, 26, v2
	v_add_u32_e32 v1, v1, v2
	v_ashrrev_i32_e32 v1, 6, v1
	v_min_i32_e32 v12, s87, v1
.LBB19_260:
	v_readlane_b32 s6, v222, 8
	v_readlane_b32 s7, v222, 9
	s_mul_i32 s0, s8, s7
	s_ashr_i32 s1, s0, 31
	s_add_u32 s0, s44, s0
	s_mul_i32 s11, s11, s6
	s_addc_u32 s1, s45, s1
	s_ashr_i32 s5, s11, 31
	s_add_u32 s0, s0, s11
	s_addc_u32 s1, s1, s5
	s_lshl_b32 s38, s4, 4
	v_add_u32_e32 v2, v35, v105
	v_add_u32_e32 v3, s38, v2
	s_mov_b32 s6, 0x10001
	v_lshl_add_u32 v64, v34, 2, 0
	v_cmp_le_i32_e32 vcc, s60, v3
	s_and_saveexec_b64 s[4:5], vcc
	s_xor_b64 s[4:5], exec, s[4:5]
; %bb.261:
	s_movk_i32 s7, 0xf0
	v_mad_u32_u24 v1, v2, s7, v64
	v_mov_b32_e32 v3, 0
	ds_write_b32 v1, v3
                                        ; implicit-def: $vgpr3
; %bb.262:
	s_or_saveexec_b64 s[4:5], s[4:5]
	v_mul_lo_u32 v1, v39, s6
	s_xor_b64 exec, exec, s[4:5]
	s_cbranch_execz .LBB19_264
; %bb.263:
	v_readlane_b32 s6, v222, 17
	s_nop 1
	v_mad_u64_u32 v[4:5], s[6:7], v3, s6, v[34:35]
	v_ashrrev_i32_e32 v5, 31, v4
	v_lshl_add_u64 v[4:5], v[4:5], 3, s[0:1]
	global_load_dwordx2 v[4:5], v[4:5], off
	s_movk_i32 s6, 0xf0
	s_waitcnt vmcnt(0)
	v_cvt_pk_f16_f32 v3, v4, v5
	v_pk_mul_f16 v3, v3, v1
	v_mad_u32_u24 v4, v2, s6, v64
	ds_write_b32 v4, v3
.LBB19_264:
	s_or_b64 exec, exec, s[4:5]
	v_add_u32_e32 v2, 8, v2
	v_add_u32_e32 v3, s38, v2
	v_cmp_le_i32_e32 vcc, s60, v3
	s_and_saveexec_b64 s[4:5], vcc
	s_xor_b64 s[4:5], exec, s[4:5]
; %bb.265:
	s_movk_i32 s6, 0xf0
	v_mad_u32_u24 v2, v2, s6, v64
	v_mov_b32_e32 v3, 0
	ds_write_b32 v2, v3
                                        ; implicit-def: $vgpr3
                                        ; implicit-def: $vgpr2
; %bb.266:
	s_or_saveexec_b64 s[4:5], s[4:5]
	v_and_b32_e32 v53, 0x3ff, v0
	s_xor_b64 exec, exec, s[4:5]
	s_cbranch_execz .LBB19_268
; %bb.267:
	v_readlane_b32 s6, v222, 17
	s_nop 1
	v_mad_u64_u32 v[4:5], s[6:7], v3, s6, v[34:35]
	v_ashrrev_i32_e32 v5, 31, v4
	v_lshl_add_u64 v[4:5], v[4:5], 3, s[0:1]
	global_load_dwordx2 v[4:5], v[4:5], off
	s_movk_i32 s6, 0xf0
	v_mad_u32_u24 v2, v2, s6, v64
	s_waitcnt vmcnt(0)
	v_cvt_pk_f16_f32 v0, v4, v5
	v_pk_mul_f16 v0, v0, v1
	ds_write_b32 v2, v0
.LBB19_268:
	s_or_b64 exec, exec, s[4:5]
	v_lshrrev_b32_e32 v65, 4, v53
	v_add_u32_e32 v0, v107, v65
	v_add_u32_e32 v2, s38, v0
	v_cmp_le_i32_e32 vcc, s60, v2
	v_and_b32_e32 v28, 15, v53
	s_and_saveexec_b64 s[4:5], vcc
	s_xor_b64 s[4:5], exec, s[4:5]
; %bb.269:
	v_mul_u32_u24_e32 v0, 0xf0, v0
	v_lshlrev_b32_e32 v2, 2, v28
	v_add3_u32 v0, 0, v0, v2
	v_mov_b32_e32 v2, 0
	ds_write_b32 v0, v2 offset:128
                                        ; implicit-def: $vgpr2
                                        ; implicit-def: $vgpr0
; %bb.270:
	s_andn2_saveexec_b64 s[4:5], s[4:5]
	s_cbranch_execz .LBB19_272
; %bb.271:
	v_readlane_b32 s6, v222, 17
	v_mov_b32_e32 v29, 0
	v_mul_u32_u24_e32 v0, 0xf0, v0
	v_mul_lo_u32 v2, v2, s6
	v_ashrrev_i32_e32 v3, 31, v2
	v_lshl_add_u64 v[2:3], v[2:3], 0, v[28:29]
	v_lshl_add_u64 v[2:3], v[2:3], 3, s[0:1]
	global_load_dwordx2 v[2:3], v[2:3], off offset:256
	v_lshlrev_b32_e32 v4, 2, v28
	v_add3_u32 v0, 0, v0, v4
	s_waitcnt vmcnt(0)
	v_cvt_pk_f16_f32 v2, v2, v3
	v_pk_mul_f16 v2, v2, v1
	ds_write_b32 v0, v2 offset:128
.LBB19_272:
	s_or_b64 exec, exec, s[4:5]
	v_lshrrev_b32_e32 v29, 3, v53
	v_lshl_add_u32 v85, v104, 3, v29
	v_cmp_gt_u32_e32 vcc, 16, v85
	s_and_saveexec_b64 s[4:5], vcc
	s_cbranch_execz .LBB19_277
; %bb.273:
	v_or_b32_e32 v0, s38, v85
	v_cmp_le_i32_e32 vcc, s60, v0
	s_and_saveexec_b64 s[6:7], vcc
	s_xor_b64 s[6:7], exec, s[6:7]
	s_cbranch_execz .LBB19_275
; %bb.274:
	v_and_b32_e32 v1, 7, v53
	v_mul_u32_u24_e32 v0, 0xf0, v85
	v_lshlrev_b32_e32 v1, 2, v1
	v_add3_u32 v0, 0, v0, v1
	v_mov_b32_e32 v1, 0
	ds_write_b32 v0, v1 offset:192
                                        ; implicit-def: $vgpr0
                                        ; implicit-def: $vgpr1
.LBB19_275:
	s_andn2_saveexec_b64 s[6:7], s[6:7]
	s_cbranch_execz .LBB19_277
; %bb.276:
	v_readlane_b32 s6, v222, 17
	v_and_b32_e32 v4, 7, v53
	v_mov_b32_e32 v5, 0
	v_mul_lo_u32 v2, v0, s6
	v_ashrrev_i32_e32 v3, 31, v2
	v_lshl_add_u64 v[2:3], v[2:3], 0, v[4:5]
	v_lshl_add_u64 v[2:3], v[2:3], 3, s[0:1]
	global_load_dwordx2 v[2:3], v[2:3], off offset:384
	v_mul_u32_u24_e32 v0, 0xf0, v85
	v_lshlrev_b32_e32 v4, 2, v4
	v_add3_u32 v0, 0, v0, v4
	s_waitcnt vmcnt(0)
	v_cvt_pk_f16_f32 v2, v2, v3
	v_pk_mul_f16 v1, v2, v1
	ds_write_b32 v0, v1 offset:192
.LBB19_277:
	s_or_b64 exec, exec, s[4:5]
	v_readlane_b32 s4, v222, 13
	v_readlane_b32 s5, v222, 14
	s_mul_i32 s0, s4, s10
	s_mul_hi_u32 s1, s4, s8
	s_add_i32 s0, s1, s0
	s_mul_i32 s1, s5, s8
	s_add_i32 s0, s0, s1
	s_mul_i32 s1, s4, s8
	v_readlane_b32 s4, v222, 20
	v_readlane_b32 s5, v222, 21
	v_readlane_b32 s7, v222, 23
	s_add_u32 s1, s48, s1
	s_mov_b64 s[12:13], s[4:5]
	s_mul_i32 s4, s9, s7
	s_addc_u32 s0, s49, s0
	s_ashr_i32 s5, s4, 31
	s_add_u32 s33, s1, s4
	s_addc_u32 s37, s0, s5
	s_mul_i32 s0, s12, s10
	v_and_b32_e32 v13, 0xff0, v107
	s_movk_i32 s10, 0xf0
	v_and_b32_e32 v1, 0x7e, v29
	v_mad_u32_u24 v0, v13, s10, 0
	v_mul_u32_u24_e32 v87, 0xf0, v28
	v_lshlrev_b32_e32 v66, 2, v1
	v_add3_u32 v14, v0, v87, v66
	s_mul_hi_u32 s1, s12, s8
	s_waitcnt lgkmcnt(0)
	s_barrier
	ds_read2_b64 v[8:11], v14 offset1:4
	ds_read2_b64 v[4:7], v14 offset0:8 offset1:12
	ds_read2_b64 v[0:3], v14 offset0:16 offset1:20
	ds_read_b64 v[24:25], v14 offset:192
	s_add_i32 s0, s1, s0
	s_mul_i32 s1, s13, s8
	v_readlane_b32 s4, v222, 18
	s_add_i32 s0, s0, s1
	s_mul_i32 s1, s12, s8
	v_readlane_b32 s5, v222, 19
	s_add_u32 s1, s46, s1
	s_mul_i32 s9, s9, s5
	s_addc_u32 s0, s47, s0
	s_ashr_i32 s4, s9, 31
	v_add_u32_e32 v90, -1, v12
	s_add_u32 s39, s1, s9
	v_cmp_ge_i32_e32 vcc, s36, v90
	v_mul_lo_u32 v30, s74, v85
	v_mul_lo_u32 v22, s62, v85
	s_addc_u32 s40, s0, s4
	s_mov_b32 s41, 0
	s_and_b64 vcc, exec, vcc
	v_or_b32_e32 v86, v13, v28
	v_lshlrev_b32_e32 v32, 1, v53
	v_lshrrev_b32_e32 v89, 1, v53
	v_lshrrev_b32_e32 v88, 2, v53
	v_lshlrev_b32_e32 v84, 2, v53
	v_ashrrev_i32_e32 v31, 31, v30
	v_add_u32_e32 v68, 32, v85
	v_lshl_add_u32 v26, s74, 5, v30
	v_lshlrev_b32_e32 v69, 1, v29
	v_ashrrev_i32_e32 v23, 31, v22
	v_lshlrev_b32_e32 v67, 1, v28
	v_readlane_b32 s6, v222, 22
	s_waitcnt lgkmcnt(0)
	s_barrier
	s_cbranch_vccnz .LBB19_292
; %bb.278:
	v_mov_b32_e32 v37, 0
	v_mov_b32_e32 v33, v37
	v_mul_u32_u24_e32 v12, 0x90, v104
	v_lshl_add_u64 v[38:39], s[2:3], 0, v[32:33]
	v_add3_u32 v33, 0, v12, v32
	v_add_u32_e32 v12, s38, v104
	v_mul_hi_u32 v13, s76, v12
	v_add_u32_e32 v13, v12, v13
	v_lshrrev_b32_e32 v13, s77, v13
	v_mul_lo_u32 v13, v13, s60
	v_sub_u32_e32 v13, v12, v13
	v_mad_i64_i32 v[40:41], s[4:5], v13, s70, 0
	v_add_u32_e32 v13, 4, v12
	v_mul_hi_u32 v14, s76, v13
	v_add_u32_e32 v14, v13, v14
	v_lshrrev_b32_e32 v14, s77, v14
	v_mul_lo_u32 v14, v14, s60
	v_sub_u32_e32 v13, v13, v14
	v_mad_i64_i32 v[42:43], s[4:5], v13, s70, 0
	v_add_u32_e32 v13, 8, v12
	v_mul_hi_u32 v14, s76, v13
	v_add_u32_e32 v14, v13, v14
	v_lshrrev_b32_e32 v14, s77, v14
	v_mul_lo_u32 v14, v14, s60
	v_sub_u32_e32 v13, v13, v14
	v_add_u32_e32 v12, 12, v12
	v_mad_i64_i32 v[44:45], s[4:5], v13, s70, 0
	v_mul_hi_u32 v13, s76, v12
	v_add_u32_e32 v13, v12, v13
	v_lshrrev_b32_e32 v13, s77, v13
	v_mul_lo_u32 v13, v13, s60
	v_sub_u32_e32 v12, v12, v13
	v_mad_i64_i32 v[46:47], s[4:5], v12, s70, 0
	v_mbcnt_hi_u32_b32 v12, -1, v108
	v_and_b32_e32 v14, 64, v12
	v_add_u32_e32 v14, 64, v14
	v_xor_b32_e32 v16, 32, v12
	v_cmp_lt_i32_e32 vcc, v16, v14
	v_add_u32_e32 v17, v88, v106
	s_movk_i32 s6, 0x80
	v_cndmask_b32_e32 v16, v12, v16, vcc
	v_lshlrev_b32_e32 v94, 2, v16
	v_xor_b32_e32 v16, 16, v12
	v_cmp_lt_i32_e32 vcc, v16, v14
	v_mad_u32_u24 v14, v17, s10, 0
	v_and_b32_e32 v13, 48, v106
	v_cndmask_b32_e32 v12, v12, v16, vcc
	v_lshlrev_b32_e32 v95, 2, v12
	v_and_b32_e32 v12, 12, v84
	v_lshlrev_b32_e32 v18, 2, v12
	v_add3_u32 v96, v14, v18, s6
	v_and_b32_e32 v14, 28, v84
	v_lshl_add_u32 v16, v104, 5, v89
	v_mul_u32_u24_e32 v18, 0xf0, v85
	v_lshlrev_b32_e32 v19, 2, v14
	v_and_b32_e32 v52, 4, v84
	v_mad_u32_u24 v15, v13, s10, 0
	v_add3_u32 v97, 0, v18, v19
	v_mad_u32_u24 v18, v16, s10, 0
	v_lshlrev_b32_e32 v19, 2, v52
	s_movk_i32 s10, 0xc0
	v_add3_u32 v100, v18, v19, s10
	v_and_b32_e32 v18, 0xfc, v88
	v_add_u32_e32 v19, v18, v13
	v_add_u16_e32 v13, v18, v13
	v_lshrrev_b16_e32 v13, 1, v13
	v_cmp_gt_u32_e64 s[20:21], 64, v16
	v_mul_lo_u32 v50, s74, v16
	v_mul_u32_u24_e32 v21, 0x90, v86
	v_lshlrev_b32_e32 v13, 2, v13
	v_cmp_gt_u32_e64 s[10:11], 64, v19
	v_cmp_gt_u32_e64 s[12:13], 63, v19
	;; [unrolled: 1-line block ×4, first 2 shown]
	v_mul_lo_u32 v54, s62, v16
	v_or_b32_e32 v16, 3, v69
	v_or_b32_e32 v18, 2, v69
	v_and_b32_e32 v19, 0xfc, v69
	s_mov_b64 s[22:23], src_private_base
	s_cmp_lg_u64 s[2:3], 0
	v_mul_lo_u32 v48, s74, v17
	v_add3_u32 v13, 0, v21, v13
	v_mul_u32_u24_e32 v16, 0xf0, v16
	v_mul_u32_u24_e32 v18, 0xf0, v18
	;; [unrolled: 1-line block ×3, first 2 shown]
	v_mul_lo_u32 v56, s62, v68
	v_mul_lo_u32 v58, s62, v17
	s_cselect_b64 s[24:25], -1, 0
	v_cmp_gt_u32_e64 s[0:1], 64, v53
	v_add_u32_e32 v91, 0x240, v33
	v_add_u32_e32 v92, 0x480, v33
	v_add_u32_e32 v93, 0x6c0, v33
	v_cmp_gt_u32_e64 s[4:5], 64, v17
	v_ashrrev_i32_e32 v49, 31, v48
	v_cmp_gt_u32_e64 s[6:7], 64, v85
	v_add_u32_e32 v98, 0x1e00, v97
	v_cmp_gt_u32_e64 s[8:9], 32, v85
	v_ashrrev_i32_e32 v27, 31, v26
	v_add3_u32 v99, v15, v87, v66
	v_ashrrev_i32_e32 v51, 31, v50
	v_ashrrev_i32_e32 v55, 31, v54
	;; [unrolled: 1-line block ×4, first 2 shown]
	v_add3_u32 v101, v15, v19, v67
	v_add3_u32 v102, v15, v18, v67
	;; [unrolled: 1-line block ×3, first 2 shown]
	v_mov_b32_e32 v60, v20
	v_mov_b32_e32 v61, v20
	s_lshl_b32 s26, s36, 6
	v_mov_b32_e32 v113, 0xfeffffff
	v_lshlrev_b32_e32 v36, 2, v12
	s_mov_b64 s[28:29], 0x80
	v_lshlrev_b32_e32 v62, 2, v14
	v_add_u32_e32 v109, 0x3c00, v13
	s_mov_b32 s22, 0x3fb8aa3b
	s_mov_b32 s42, 0xc2ce8ed0
	;; [unrolled: 1-line block ×5, first 2 shown]
	v_mov_b32_e32 v12, v37
	v_mov_b32_e32 v13, v37
	;; [unrolled: 1-line block ×21, first 2 shown]
.LBB19_279:                             ; =>This Inner Loop Header: Depth=1
	v_cndmask_b32_e64 v16, 0, 1, s[24:25]
	v_cmp_ne_u32_e64 s[18:19], 1, v16
	s_andn2_b64 vcc, exec, s[24:25]
	s_ashr_i32 s27, s26, 31
	s_cbranch_vccnz .LBB19_283
; %bb.280:                              ;   in Loop: Header=BB19_279 Depth=1
	v_mov_b32_e32 v16, 0
	v_mov_b32_e32 v17, 0
	;; [unrolled: 1-line block ×4, first 2 shown]
	s_and_saveexec_b64 s[30:31], s[0:1]
	s_cbranch_execz .LBB19_282
; %bb.281:                              ;   in Loop: Header=BB19_279 Depth=1
	v_lshl_add_u64 v[16:17], s[26:27], 1, v[38:39]
	v_lshl_add_u64 v[18:19], v[40:41], 1, v[16:17]
	;; [unrolled: 1-line block ×5, first 2 shown]
	global_load_ushort v16, v[18:19], off
	global_load_ushort v17, v[114:115], off
	s_nop 0
	global_load_ushort v18, v[116:117], off
	global_load_ushort v19, v[118:119], off
.LBB19_282:                             ;   in Loop: Header=BB19_279 Depth=1
	s_or_b64 exec, exec, s[30:31]
	s_waitcnt vmcnt(3)
	ds_write_b16 v33, v16 offset:15360
	s_waitcnt vmcnt(2)
	ds_write_b16 v91, v17 offset:15360
	;; [unrolled: 2-line block ×4, first 2 shown]
.LBB19_283:                             ;   in Loop: Header=BB19_279 Depth=1
	s_mul_hi_i32 s31, s26, s74
	s_mul_i32 s30, s26, s74
	s_lshl_b64 s[30:31], s[30:31], 2
	s_add_u32 s30, s39, s30
	s_addc_u32 s31, s40, s31
	scratch_store_dwordx4 off, v[12:15], off
	s_and_saveexec_b64 s[34:35], s[20:21]
	s_cbranch_execz .LBB19_285
; %bb.284:                              ;   in Loop: Header=BB19_279 Depth=1
	v_lshl_add_u64 v[16:17], v[50:51], 2, s[30:31]
	v_lshlrev_b32_e32 v18, 2, v52
	v_mov_b32_e32 v19, v37
	v_lshl_add_u64 v[16:17], v[16:17], 0, v[18:19]
	global_load_dwordx4 v[16:19], v[16:17], off offset:192
	s_waitcnt vmcnt(0)
	ds_write_b128 v100, v[16:19]
.LBB19_285:                             ;   in Loop: Header=BB19_279 Depth=1
	s_or_b64 exec, exec, s[34:35]
	v_lshl_add_u64 v[16:17], v[48:49], 2, s[30:31]
	v_lshl_add_u64 v[16:17], v[16:17], 0, v[36:37]
	;; [unrolled: 1-line block ×3, first 2 shown]
	v_mov_b32_e32 v21, s23
	v_cndmask_b32_e64 v17, v21, v17, s[4:5]
	v_cndmask_b32_e64 v16, v110, v16, s[4:5]
	flat_load_dwordx4 v[16:19], v[16:17]
	v_lshl_add_u64 v[114:115], v[30:31], 2, s[30:31]
	v_mov_b32_e32 v63, v37
	v_lshl_add_u64 v[114:115], v[114:115], 0, v[62:63]
	v_cndmask_b32_e64 v115, v21, v115, s[6:7]
	v_cndmask_b32_e64 v114, v110, v114, s[6:7]
	s_and_b64 vcc, exec, s[18:19]
	s_waitcnt vmcnt(0) lgkmcnt(0)
	ds_write_b128 v96, v[16:19]
	flat_load_dwordx4 v[16:19], v[114:115]
	v_lshl_add_u64 v[114:115], v[26:27], 2, s[30:31]
	v_lshl_add_u64 v[114:115], v[114:115], 0, v[62:63]
	v_cndmask_b32_e64 v115, v21, v115, s[8:9]
	v_cndmask_b32_e64 v114, v110, v114, s[8:9]
	s_waitcnt vmcnt(0) lgkmcnt(0)
	ds_write_b128 v97, v[16:19]
	flat_load_dwordx4 v[16:19], v[114:115]
	s_waitcnt vmcnt(0) lgkmcnt(0)
	ds_write_b128 v98, v[16:19]
	s_waitcnt lgkmcnt(0)
	s_barrier
	ds_read2_b64 v[16:19], v99 offset1:4
	s_waitcnt lgkmcnt(0)
	v_mfma_f32_16x16x16_f16 v[114:117], v[16:17], v[8:9], 0
	v_mfma_f32_16x16x16_f16 v[16:19], v[18:19], v[10:11], v[114:117]
	s_nop 6
	ds_read2_b64 v[114:117], v99 offset0:8 offset1:12
	s_waitcnt lgkmcnt(0)
	v_mfma_f32_16x16x16_f16 v[16:19], v[114:115], v[4:5], v[16:19]
	v_mfma_f32_16x16x16_f16 v[16:19], v[116:117], v[6:7], v[16:19]
	ds_read2_b64 v[114:117], v99 offset0:16 offset1:20
	s_waitcnt lgkmcnt(0)
	v_mfma_f32_16x16x16_f16 v[16:19], v[114:115], v[0:1], v[16:19]
	ds_read_b64 v[114:115], v99 offset:192
	s_waitcnt lgkmcnt(0)
	s_barrier
	v_mfma_f32_16x16x16_f16 v[16:19], v[116:117], v[2:3], v[16:19]
	v_mfma_f32_16x16x16_f16 v[16:19], v[114:115], v[24:25], v[16:19]
	s_cbranch_vccnz .LBB19_287
; %bb.286:                              ;   in Loop: Header=BB19_279 Depth=1
	ds_read2_b32 v[114:115], v109 offset1:1
	v_mov_b32_e32 v21, v20
	s_waitcnt lgkmcnt(0)
	v_cvt_f32_f16_e32 v116, v114
	v_cvt_f32_f16_e32 v118, v115
	v_cvt_f32_f16_sdwa v119, v115 dst_sel:DWORD dst_unused:UNUSED_PAD src0_sel:WORD_1
	v_cvt_f32_f16_sdwa v117, v114 dst_sel:DWORD dst_unused:UNUSED_PAD src0_sel:WORD_1
	v_pk_fma_f32 v[18:19], v[20:21], v[118:119], v[18:19]
	v_pk_fma_f32 v[16:17], v[60:61], v[116:117], v[16:17]
.LBB19_287:                             ;   in Loop: Header=BB19_279 Depth=1
	s_nop 0
	v_add_f32_e32 v21, 0x40051340, v16
	v_max_f32_e32 v63, v113, v113
	v_max_f32_e32 v21, v63, v21
	v_cndmask_b32_e64 v21, v113, v21, s[10:11]
	v_add_f32_e32 v63, 0x40051340, v17
	v_max_f32_e32 v114, v21, v21
	v_max_f32_e32 v63, v114, v63
	v_cndmask_b32_e64 v21, v21, v63, s[12:13]
	;; [unrolled: 4-line block ×4, first 2 shown]
	ds_bpermute_b32 v63, v94, v21
	v_max_f32_e32 v21, v21, v21
	s_mul_hi_i32 s19, s26, s62
	s_mul_i32 s18, s26, s62
	s_lshl_b64 s[18:19], s[18:19], 2
	s_waitcnt lgkmcnt(0)
	v_max_f32_e32 v63, v63, v63
	v_max_f32_e32 v21, v21, v63
	ds_bpermute_b32 v114, v95, v21
	s_add_u32 s18, s33, s18
	s_addc_u32 s19, s37, s19
	scratch_store_dwordx4 off, v[12:15], off
	s_and_saveexec_b64 s[30:31], s[20:21]
	s_cbranch_execz .LBB19_289
; %bb.288:                              ;   in Loop: Header=BB19_279 Depth=1
	v_lshl_add_u64 v[116:117], v[54:55], 2, s[18:19]
	v_lshlrev_b32_e32 v118, 2, v52
	v_mov_b32_e32 v119, v37
	v_lshl_add_u64 v[116:117], v[116:117], 0, v[118:119]
	global_load_dwordx4 v[116:119], v[116:117], off offset:192
	s_waitcnt vmcnt(0)
	ds_write_b128 v100, v[116:119]
.LBB19_289:                             ;   in Loop: Header=BB19_279 Depth=1
	s_or_b64 exec, exec, s[30:31]
	v_lshl_add_u64 v[116:117], v[58:59], 2, s[18:19]
	v_lshl_add_u64 v[116:117], v[116:117], 0, v[36:37]
	;; [unrolled: 1-line block ×3, first 2 shown]
	v_mov_b32_e32 v124, s23
	v_cndmask_b32_e64 v117, v124, v117, s[4:5]
	v_cndmask_b32_e64 v116, v110, v116, s[4:5]
	flat_load_dwordx4 v[116:119], v[116:117]
	v_lshl_add_u64 v[120:121], v[22:23], 2, s[18:19]
	v_mov_b32_e32 v63, v37
	v_lshl_add_u64 v[120:121], v[120:121], 0, v[62:63]
	v_cndmask_b32_e64 v121, v124, v121, s[6:7]
	v_cndmask_b32_e64 v120, v110, v120, s[6:7]
	v_max_f32_e32 v21, v21, v21
	v_lshl_add_u64 v[122:123], v[56:57], 2, s[18:19]
	v_lshl_add_u64 v[122:123], v[122:123], 0, v[62:63]
	v_mov_b32_e32 v115, s41
	s_add_i32 s36, s36, 1
	v_cmp_lt_i32_e32 vcc, s36, v90
	s_and_b64 vcc, exec, vcc
	s_add_i32 s26, s26, 64
	s_waitcnt vmcnt(0) lgkmcnt(0)
	ds_write_b128 v96, v[116:119]
	flat_load_dwordx4 v[116:119], v[120:121]
	v_max_f32_e32 v120, v114, v114
	v_max_f32_e32 v21, v21, v120
	v_sub_f32_e32 v63, v16, v21
	v_sub_f32_e32 v120, v17, v21
	v_cndmask_b32_e64 v17, v124, v123, s[8:9]
	v_cndmask_b32_e64 v16, v110, v122, s[8:9]
	v_mul_f32_e32 v122, 0x3fb8aa3b, v63
	v_sub_f32_e32 v18, v18, v21
	v_mul_f32_e32 v123, 0x3fb8aa3b, v120
	v_fma_f32 v127, v63, s22, -v122
	v_rndne_f32_e32 v128, v122
	v_sub_f32_e32 v19, v19, v21
	v_mul_f32_e32 v124, 0x3fb8aa3b, v18
	v_fma_f32 v129, v120, s22, -v123
	v_rndne_f32_e32 v130, v123
	v_fmac_f32_e32 v127, 0x32a5705f, v63
	v_sub_f32_e32 v122, v122, v128
	v_sub_f32_e32 v113, v113, v21
	v_mul_f32_e32 v125, 0x3fb8aa3b, v19
	v_fma_f32 v131, v18, s22, -v124
	v_rndne_f32_e32 v132, v124
	v_fmac_f32_e32 v129, 0x32a5705f, v120
	v_sub_f32_e32 v123, v123, v130
	v_add_f32_e32 v122, v122, v127
	v_mul_f32_e32 v126, 0x3fb8aa3b, v113
	v_fma_f32 v133, v19, s22, -v125
	v_rndne_f32_e32 v134, v125
	v_cvt_i32_f32_e32 v128, v128
	v_fmac_f32_e32 v131, 0x32a5705f, v18
	v_sub_f32_e32 v124, v124, v132
	v_add_f32_e32 v123, v123, v129
	v_exp_f32_e32 v122, v122
	v_fma_f32 v135, v113, s22, -v126
	v_rndne_f32_e32 v136, v126
	v_cvt_i32_f32_e32 v130, v130
	v_fmac_f32_e32 v133, 0x32a5705f, v19
	v_sub_f32_e32 v125, v125, v134
	v_add_f32_e32 v124, v124, v131
	v_exp_f32_e32 v123, v123
	v_cvt_i32_f32_e32 v132, v132
	v_fmac_f32_e32 v135, 0x32a5705f, v113
	v_sub_f32_e32 v126, v126, v136
	v_add_f32_e32 v125, v125, v133
	v_exp_f32_e32 v124, v124
	v_cvt_i32_f32_e32 v134, v134
	v_add_f32_e32 v126, v126, v135
	v_exp_f32_e32 v125, v125
	v_cvt_i32_f32_e32 v136, v136
	v_exp_f32_e32 v126, v126
	v_cmp_ngt_f32_e64 s[18:19], s42, v63
	v_mov_b32_e32 v114, s41
	v_mov_b32_e32 v121, s41
	s_waitcnt vmcnt(0) lgkmcnt(0)
	ds_write_b128 v97, v[116:119]
	flat_load_dwordx4 v[116:119], v[16:17]
	v_ldexp_f32 v16, v122, v128
	v_ldexp_f32 v17, v123, v130
	v_cndmask_b32_e64 v16, 0, v16, s[18:19]
	v_cmp_ngt_f32_e64 s[18:19], s42, v120
	v_ldexp_f32 v122, v124, v132
	v_ldexp_f32 v123, v125, v134
	v_cndmask_b32_e64 v17, 0, v17, s[18:19]
	v_cmp_ngt_f32_e64 s[18:19], s42, v18
	v_ldexp_f32 v124, v126, v136
	s_waitcnt vmcnt(0) lgkmcnt(0)
	ds_write_b128 v98, v[116:119]
	v_cndmask_b32_e64 v122, 0, v122, s[18:19]
	v_cmp_ngt_f32_e64 s[18:19], s42, v19
	s_waitcnt lgkmcnt(0)
	s_barrier
	v_cndmask_b32_e64 v123, 0, v123, s[18:19]
	v_cmp_ngt_f32_e64 s[18:19], s42, v113
	s_nop 1
	v_cndmask_b32_e64 v124, 0, v124, s[18:19]
	v_cmp_nlt_f32_e64 s[18:19], s43, v63
	s_nop 1
	v_cndmask_b32_e64 v16, v111, v16, s[18:19]
	v_cmp_nlt_f32_e64 s[18:19], s43, v120
	v_cndmask_b32_e64 v16, 0, v16, s[10:11]
	s_nop 0
	v_cndmask_b32_e64 v63, v111, v17, s[18:19]
	v_cmp_nlt_f32_e64 s[18:19], s43, v18
	v_cndmask_b32_e64 v17, v115, v63, s[12:13]
	v_add_f32_e32 v63, v63, v16
	v_cndmask_b32_e64 v120, v111, v122, s[18:19]
	v_cmp_nlt_f32_e64 s[18:19], s43, v19
	v_cndmask_b32_e64 v18, v114, v120, s[14:15]
	s_nop 0
	v_cndmask_b32_e64 v122, v111, v123, s[18:19]
	v_cmp_nlt_f32_e64 s[18:19], s43, v113
	s_nop 1
	v_cndmask_b32_e64 v19, v111, v124, s[18:19]
	v_cmp_le_f32_e64 s[18:19], s44, v113
	s_nop 1
	v_cndmask_b32_e64 v113, 0, v19, s[18:19]
	v_cndmask_b32_e64 v19, v121, v122, s[16:17]
	v_cvt_f16_f32_e32 v114, v113
	v_cvt_pk_f16_f32 v19, v18, v19
	v_cvt_pk_f16_f32 v18, v16, v17
	v_cndmask_b32_e64 v16, v16, v63, s[12:13]
	v_add_f32_e32 v17, v16, v120
	v_cndmask_b32_e64 v16, v16, v17, s[14:15]
	v_add_f32_e32 v17, v16, v122
	v_mul_u32_u24_e32 v63, 0x10001, v114
	v_cndmask_b32_e64 v16, v16, v17, s[16:17]
	v_pk_mul_f16 v17, v83, v63
	v_pk_mul_f16 v82, v82, v63
	;; [unrolled: 1-line block ×14, first 2 shown]
	v_cvt_f32_f16_e32 v70, v17
	v_cvt_f32_f16_sdwa v71, v17 dst_sel:DWORD dst_unused:UNUSED_PAD src0_sel:WORD_1
	v_cvt_f32_f16_e32 v72, v82
	v_cvt_f32_f16_sdwa v73, v82 dst_sel:DWORD dst_unused:UNUSED_PAD src0_sel:WORD_1
	;; [unrolled: 2-line block ×5, first 2 shown]
	ds_read_u16 v17, v101 offset:240
	ds_read_u16 v82, v101
	ds_read_u16 v117, v101 offset:32
	ds_read_u16 v132, v101 offset:64
	;; [unrolled: 1-line block ×6, first 2 shown]
	ds_read_u16 v83, v102
	ds_read_u16 v118, v102 offset:32
	ds_read_u16 v128, v101 offset:272
	;; [unrolled: 1-line block ×7, first 2 shown]
	ds_read_u16 v116, v103
	ds_read_u16 v119, v103 offset:32
	ds_read_u16 v134, v102 offset:64
	;; [unrolled: 1-line block ×7, first 2 shown]
	s_waitcnt lgkmcnt(7)
	v_perm_b32 v83, v116, v83, s45
	v_perm_b32 v82, v17, v82, s45
	s_waitcnt lgkmcnt(6)
	v_perm_b32 v119, v119, v118, s45
	v_perm_b32 v118, v128, v117, s45
	ds_read_u16 v17, v103 offset:96
	v_mfma_f32_16x16x16_f16 v[128:131], v[82:83], v[18:19], v[70:73]
	v_fmac_f32_e32 v16, v112, v113
	v_cvt_f32_f16_e32 v78, v79
	s_waitcnt lgkmcnt(5)
	v_perm_b32 v71, v135, v134, s45
	v_perm_b32 v70, v133, v132, s45
	v_mfma_f32_16x16x16_f16 v[132:135], v[118:119], v[18:19], v[74:77]
	s_nop 2
	ds_read_u16 v74, v103 offset:128
	ds_read_u16 v75, v103 offset:160
	;; [unrolled: 1-line block ×3, first 2 shown]
	s_waitcnt lgkmcnt(3)
	v_perm_b32 v73, v17, v145, s45
	v_perm_b32 v72, v141, v137, s45
	v_cvt_f32_f16_sdwa v79, v79 dst_sel:DWORD dst_unused:UNUSED_PAD src0_sel:WORD_1
	v_cvt_f32_f16_e32 v112, v114
	v_cvt_f32_f16_sdwa v113, v114 dst_sel:DWORD dst_unused:UNUSED_PAD src0_sel:WORD_1
	v_cvt_f32_f16_e32 v114, v115
	v_cvt_f32_f16_sdwa v115, v115 dst_sel:DWORD dst_unused:UNUSED_PAD src0_sel:WORD_1
	v_mfma_f32_16x16x16_f16 v[78:81], v[70:71], v[18:19], v[78:81]
	s_waitcnt lgkmcnt(2)
	v_perm_b32 v71, v74, v146, s45
	v_perm_b32 v70, v142, v138, s45
	s_waitcnt lgkmcnt(0)
	v_perm_b32 v83, v82, v148, s45
	v_mfma_f32_16x16x16_f16 v[112:115], v[72:73], v[18:19], v[112:115]
	v_perm_b32 v73, v75, v147, s45
	v_perm_b32 v72, v143, v139, s45
	;; [unrolled: 1-line block ×3, first 2 shown]
	v_cvt_f32_f16_e32 v120, v121
	v_cvt_f32_f16_sdwa v121, v121 dst_sel:DWORD dst_unused:UNUSED_PAD src0_sel:WORD_1
	v_cvt_f32_f16_e32 v122, v123
	v_cvt_f32_f16_sdwa v123, v123 dst_sel:DWORD dst_unused:UNUSED_PAD src0_sel:WORD_1
	;; [unrolled: 2-line block ×6, first 2 shown]
	v_mfma_f32_16x16x16_f16 v[74:77], v[70:71], v[18:19], v[120:123]
	v_cvt_pk_f16_f32 v79, v78, v79
	v_cvt_pk_f16_f32 v78, v80, v81
	;; [unrolled: 1-line block ×3, first 2 shown]
	v_mfma_f32_16x16x16_f16 v[70:73], v[72:73], v[18:19], v[124:127]
	v_cvt_pk_f16_f32 v80, v134, v135
	s_nop 2
	v_cvt_pk_f16_f32 v74, v74, v75
	v_mfma_f32_16x16x16_f16 v[116:119], v[82:83], v[18:19], v[116:119]
	v_cvt_pk_f16_f32 v83, v128, v129
	s_nop 0
	v_cvt_pk_f16_f32 v71, v70, v71
	v_cvt_pk_f16_f32 v70, v72, v73
	;; [unrolled: 1-line block ×8, first 2 shown]
	s_barrier
	s_cbranch_vccz .LBB19_293
; %bb.290:                              ;   in Loop: Header=BB19_279 Depth=1
	v_mov_b32_e32 v112, v16
	v_mov_b32_e32 v113, v21
	s_branch .LBB19_279
.LBB19_291:
                                        ; implicit-def: $sgpr4_sgpr5
                                        ; kill: killed $sgpr4_sgpr5
	s_load_dwordx2 s[76:77], s[0:1], 0x5c
	s_branch .LBB19_7
.LBB19_292:
	v_mov_b32_e32 v21, 0xfeffffff
	v_mov_b32_e32 v16, 0
	;; [unrolled: 1-line block ×16, first 2 shown]
.LBB19_293:
	s_lshl_b32 s18, s36, 6
	v_readlane_b32 s0, v222, 4
	s_sub_i32 s22, s0, s18
	s_cmp_lg_u64 s[2:3], 0
	s_cselect_b64 s[4:5], -1, 0
	s_ashr_i32 s19, s18, 31
	s_cmp_eq_u64 s[2:3], 0
	v_readlane_b32 s1, v222, 5
	s_cbranch_scc1 .LBB19_303
; %bb.294:
	s_lshl_b64 s[0:1], s[18:19], 1
	s_add_u32 s0, s2, s0
	s_addc_u32 s1, s3, s1
	v_mov_b32_e32 v33, 0
	v_cmp_gt_i32_e32 vcc, s22, v53
	v_lshl_add_u64 v[12:13], s[0:1], 0, v[32:33]
	v_mov_b32_e32 v15, 0
	s_and_saveexec_b64 s[0:1], vcc
	s_cbranch_execz .LBB19_296
; %bb.295:
	v_add_u32_e32 v14, s38, v104
	v_mul_hi_u32 v15, s76, v14
	v_add_u32_e32 v15, v14, v15
	v_lshrrev_b32_e32 v15, s77, v15
	v_mul_lo_u32 v15, v15, s60
	v_sub_u32_e32 v14, v14, v15
	v_mad_i64_i32 v[14:15], s[2:3], v14, s70, 0
	v_lshl_add_u64 v[14:15], v[14:15], 1, v[12:13]
	global_load_ushort v15, v[14:15], off
.LBB19_296:
	s_or_b64 exec, exec, s[0:1]
	s_movk_i32 s0, 0x90
	v_mad_u32_u24 v14, v104, s0, 0
	v_lshl_add_u32 v17, v53, 1, v14
	s_waitcnt vmcnt(0)
	ds_write_b16 v17, v15 offset:15360
	s_and_saveexec_b64 s[0:1], vcc
	s_cbranch_execz .LBB19_298
; %bb.297:
	v_add3_u32 v15, v104, s38, 4
	v_mul_hi_u32 v17, s76, v15
	v_add_u32_e32 v17, v15, v17
	v_lshrrev_b32_e32 v17, s77, v17
	v_mul_lo_u32 v17, v17, s60
	v_sub_u32_e32 v15, v15, v17
	v_mad_i64_i32 v[18:19], s[2:3], v15, s70, 0
	v_lshl_add_u64 v[18:19], v[18:19], 1, v[12:13]
	global_load_ushort v33, v[18:19], off
.LBB19_298:
	s_or_b64 exec, exec, s[0:1]
	v_add_u32_e32 v15, 0x240, v14
	v_lshl_add_u32 v14, v53, 1, v15
	s_waitcnt vmcnt(0)
	ds_write_b16 v14, v33 offset:15360
	v_mov_b32_e32 v14, 0
	v_mov_b32_e32 v17, 0
	s_and_saveexec_b64 s[0:1], vcc
	s_cbranch_execz .LBB19_300
; %bb.299:
	v_add3_u32 v17, v104, s38, 8
	v_mul_hi_u32 v18, s76, v17
	v_add_u32_e32 v18, v17, v18
	v_lshrrev_b32_e32 v18, s77, v18
	v_mul_lo_u32 v18, v18, s60
	v_sub_u32_e32 v17, v17, v18
	v_mad_i64_i32 v[18:19], s[2:3], v17, s70, 0
	v_lshl_add_u64 v[18:19], v[18:19], 1, v[12:13]
	global_load_ushort v17, v[18:19], off
.LBB19_300:
	s_or_b64 exec, exec, s[0:1]
	v_add_u32_e32 v15, 0x240, v15
	v_lshl_add_u32 v15, v53, 1, v15
	s_waitcnt vmcnt(0)
	ds_write_b16 v15, v17 offset:15360
	s_and_saveexec_b64 s[0:1], vcc
	s_cbranch_execz .LBB19_302
; %bb.301:
	v_add3_u32 v14, v104, s38, 12
	v_mul_hi_u32 v17, s76, v14
	v_add_u32_e32 v17, v14, v17
	v_lshrrev_b32_e32 v17, s77, v17
	v_mul_lo_u32 v17, v17, s60
	v_sub_u32_e32 v14, v14, v17
	v_mad_i64_i32 v[18:19], s[2:3], v14, s70, 0
	v_lshl_add_u64 v[12:13], v[18:19], 1, v[12:13]
	global_load_ushort v14, v[12:13], off
.LBB19_302:
	s_or_b64 exec, exec, s[0:1]
	s_waitcnt vmcnt(0)
	ds_write_b16 v15, v14 offset:15936
.LBB19_303:
	s_mul_hi_i32 s1, s18, s74
	s_mul_i32 s0, s18, s74
	s_lshl_b64 s[0:1], s[0:1], 2
	s_add_u32 s0, s39, s0
	v_lshl_add_u32 v32, v104, 5, v89
	v_mov_b32_e32 v12, 0
	s_mov_b64 s[2:3], src_private_base
	s_addc_u32 s1, s40, s1
	v_cmp_gt_u32_e64 s[12:13], 64, v32
	v_mov_b32_e32 v13, v12
	v_mov_b32_e32 v14, v12
	;; [unrolled: 1-line block ×3, first 2 shown]
	scratch_store_dwordx4 off, v[12:15], off
	s_and_saveexec_b64 s[6:7], s[12:13]
	s_cbranch_execz .LBB19_305
; %bb.304:
	v_mul_lo_u32 v14, s74, v32
	v_ashrrev_i32_e32 v15, 31, v14
	v_and_b32_e32 v13, 4, v84
	v_lshl_add_u64 v[14:15], v[14:15], 2, s[0:1]
	v_lshlrev_b32_e32 v18, 2, v13
	v_mov_b32_e32 v19, v12
	v_lshl_add_u64 v[14:15], v[14:15], 0, v[18:19]
	s_mov_b64 s[8:9], 0xc0
	v_lshl_add_u64 v[14:15], v[14:15], 0, s[8:9]
	v_mov_b32_e32 v13, s3
	v_cmp_gt_i32_e32 vcc, s22, v32
	s_nop 1
	v_cndmask_b32_e32 v15, v13, v15, vcc
	v_mov_b32_e32 v13, 0
	v_cndmask_b32_e32 v14, v13, v14, vcc
	flat_load_dwordx4 v[36:39], v[14:15]
	v_mul_u32_u24_e32 v13, 0xf0, v32
	v_add3_u32 v13, 0, v13, v18
	s_waitcnt vmcnt(0) lgkmcnt(0)
	ds_write_b128 v13, v[36:39] offset:192
.LBB19_305:
	s_or_b64 exec, exec, s[6:7]
	v_add_u32_e32 v18, v88, v106
	v_mul_lo_u32 v14, s74, v18
	v_ashrrev_i32_e32 v15, 31, v14
	v_and_b32_e32 v13, 12, v84
	v_lshl_add_u64 v[36:37], v[14:15], 2, s[0:1]
	v_lshlrev_b32_e32 v14, 2, v13
	v_mov_b32_e32 v15, v12
	v_lshl_add_u64 v[36:37], v[36:37], 0, v[14:15]
	s_mov_b64 s[6:7], 0x80
	v_lshl_add_u64 v[36:37], v[36:37], 0, s[6:7]
	v_mov_b32_e32 v19, s3
	v_cmp_gt_i32_e64 s[6:7], s22, v18
	v_mov_b32_e32 v33, 0
	v_and_b32_e32 v15, 28, v84
	v_cndmask_b32_e64 v37, v19, v37, s[6:7]
	v_cndmask_b32_e64 v36, v33, v36, s[6:7]
	flat_load_dwordx4 v[36:39], v[36:37]
	v_lshl_add_u64 v[30:31], v[30:31], 2, s[0:1]
	v_mov_b32_e32 v13, v12
	v_mul_u32_u24_e32 v17, 0xf0, v18
	v_lshlrev_b32_e32 v12, 2, v15
	v_add3_u32 v15, 0, v17, v14
	v_lshl_add_u64 v[30:31], v[30:31], 0, v[12:13]
	v_cmp_gt_i32_e64 s[10:11], s22, v85
	v_ashrrev_i32_e32 v27, 31, v26
	v_mul_u32_u24_e32 v17, 0xf0, v85
	v_cndmask_b32_e64 v31, v19, v31, s[10:11]
	v_cndmask_b32_e64 v30, v33, v30, s[10:11]
	v_lshl_add_u64 v[26:27], v[26:27], 2, s[0:1]
	v_add3_u32 v17, 0, v17, v12
	v_lshl_add_u64 v[26:27], v[26:27], 0, v[12:13]
	v_cmp_gt_i32_e64 s[0:1], s22, v68
	s_movk_i32 s2, 0xf0
	v_and_b32_e32 v13, 48, v106
	v_cndmask_b32_e64 v27, v19, v27, s[0:1]
	v_cndmask_b32_e64 v26, v33, v26, s[0:1]
	v_mad_u32_u24 v19, v13, s2, 0
	s_andn2_b64 vcc, exec, s[4:5]
	s_waitcnt vmcnt(0) lgkmcnt(0)
	ds_write_b128 v15, v[36:39] offset:128
	flat_load_dwordx4 v[36:39], v[30:31]
	s_waitcnt vmcnt(0) lgkmcnt(0)
	ds_write_b128 v17, v[36:39]
	flat_load_dwordx4 v[36:39], v[26:27]
	v_add3_u32 v26, v19, v87, v66
	s_waitcnt vmcnt(0) lgkmcnt(0)
	ds_write_b128 v17, v[36:39] offset:7680
	s_waitcnt lgkmcnt(0)
	s_barrier
	ds_read2_b64 v[36:39], v26 offset1:4
	s_waitcnt lgkmcnt(0)
	v_mfma_f32_16x16x16_f16 v[40:43], v[36:37], v[8:9], 0
	v_mfma_f32_16x16x16_f16 v[8:11], v[38:39], v[10:11], v[40:43]
	ds_read2_b64 v[36:39], v26 offset0:8 offset1:12
	s_waitcnt lgkmcnt(0)
	v_mfma_f32_16x16x16_f16 v[8:11], v[36:37], v[4:5], v[8:11]
	v_mfma_f32_16x16x16_f16 v[4:7], v[38:39], v[6:7], v[8:11]
	s_nop 6
	ds_read2_b64 v[8:11], v26 offset0:16 offset1:20
	s_waitcnt lgkmcnt(0)
	v_mfma_f32_16x16x16_f16 v[4:7], v[8:9], v[0:1], v[4:7]
	ds_read_b64 v[8:9], v26 offset:192
	v_and_b32_e32 v26, 0xfc, v88
	s_waitcnt lgkmcnt(0)
	v_mfma_f32_16x16x16_f16 v[0:3], v[10:11], v[2:3], v[4:7]
	s_barrier
	v_mfma_f32_16x16x16_f16 v[0:3], v[8:9], v[24:25], v[0:3]
	s_nop 1
	v_add_u32_e32 v4, v26, v13
	s_cbranch_vccnz .LBB19_307
; %bb.306:
	s_movk_i32 s2, 0x90
	v_mad_u32_u24 v5, v86, s2, 0
	v_lshlrev_b32_e32 v6, 1, v4
	s_movk_i32 s2, 0x3c00
	v_add3_u32 v5, v5, v6, s2
	ds_read2_b32 v[6:7], v5 offset1:1
	s_waitcnt lgkmcnt(0)
	v_cvt_f32_f16_e32 v8, v6
	v_cvt_f32_f16_e32 v10, v7
	v_cvt_f32_f16_sdwa v11, v7 dst_sel:DWORD dst_unused:UNUSED_PAD src0_sel:WORD_1
	v_cvt_f32_f16_sdwa v9, v6 dst_sel:DWORD dst_unused:UNUSED_PAD src0_sel:WORD_1
	v_pk_fma_f32 v[2:3], v[20:21], v[10:11], v[2:3] op_sel_hi:[0,1,1]
	v_pk_fma_f32 v[0:1], v[20:21], v[8:9], v[0:1] op_sel_hi:[0,1,1]
.LBB19_307:
	v_add_f32_e32 v5, 0x40051340, v0
	v_max_f32_e32 v6, v21, v21
	v_max_f32_e32 v5, v6, v5
	v_cmp_gt_u32_e64 s[14:15], s22, v4
	v_or_b32_e32 v6, 1, v4
	v_add_f32_e32 v7, 0x40051340, v1
	v_cndmask_b32_e64 v5, v21, v5, s[14:15]
	v_max_f32_e32 v8, v5, v5
	v_max_f32_e32 v7, v8, v7
	v_cmp_gt_u32_e32 vcc, s22, v6
	v_or_b32_e32 v6, 2, v4
	v_cmp_gt_u32_e64 s[4:5], s22, v6
	v_cndmask_b32_e32 v5, v5, v7, vcc
	v_add_f32_e32 v7, 0x40051340, v2
	v_max_f32_e32 v8, v5, v5
	v_max_f32_e32 v7, v8, v7
	v_cndmask_b32_e64 v5, v5, v7, s[4:5]
	v_or_b32_e32 v4, 3, v4
	v_add_f32_e32 v6, 0x40051340, v3
	v_max_f32_e32 v7, v5, v5
	v_max_f32_e32 v6, v7, v6
	v_cmp_gt_u32_e64 s[8:9], s22, v4
	s_mul_hi_i32 s3, s18, s62
	s_mul_i32 s2, s18, s62
	v_cndmask_b32_e64 v4, v5, v6, s[8:9]
	v_mbcnt_hi_u32_b32 v5, -1, v108
	v_and_b32_e32 v6, 64, v5
	v_add_u32_e32 v6, 64, v6
	v_xor_b32_e32 v7, 32, v5
	v_cmp_lt_i32_e64 s[16:17], v7, v6
	s_lshl_b64 s[2:3], s[2:3], 2
	s_add_u32 s2, s33, s2
	v_cndmask_b32_e64 v7, v5, v7, s[16:17]
	v_lshlrev_b32_e32 v31, 2, v7
	ds_bpermute_b32 v7, v31, v4
	v_max_f32_e32 v4, v4, v4
	s_mov_b64 s[20:21], src_private_base
	v_add_u32_e32 v10, 0x80, v15
	v_add_u32_e32 v8, 0x1e00, v17
	s_waitcnt lgkmcnt(0)
	v_max_f32_e32 v7, v7, v7
	v_max_f32_e32 v9, v4, v7
	v_xor_b32_e32 v4, 16, v5
	v_cmp_lt_i32_e64 s[16:17], v4, v6
	s_addc_u32 s3, s37, s3
	s_mov_b32 s18, 0
	v_cndmask_b32_e64 v4, v5, v4, s[16:17]
	v_lshlrev_b32_e32 v33, 2, v4
	ds_bpermute_b32 v11, v33, v9
	v_mov_b32_e32 v4, 0
	v_mov_b32_e32 v5, v4
	;; [unrolled: 1-line block ×4, first 2 shown]
	scratch_store_dwordx4 off, v[4:7], off
	s_and_saveexec_b64 s[16:17], s[12:13]
	s_cbranch_execz .LBB19_309
; %bb.308:
	v_mul_lo_u32 v24, s62, v32
	v_and_b32_e32 v5, 4, v84
	v_ashrrev_i32_e32 v25, 31, v24
	v_lshlrev_b32_e32 v6, 2, v5
	v_lshl_add_u64 v[24:25], v[24:25], 2, s[2:3]
	v_mov_b32_e32 v7, v4
	v_lshl_add_u64 v[24:25], v[24:25], 0, v[6:7]
	s_mov_b64 s[12:13], 0xc0
	v_lshl_add_u64 v[24:25], v[24:25], 0, s[12:13]
	v_mov_b32_e32 v5, s21
	v_cmp_gt_i32_e64 s[12:13], s22, v32
	s_nop 1
	v_cndmask_b32_e64 v25, v5, v25, s[12:13]
	v_mov_b32_e32 v5, 0
	v_cndmask_b32_e64 v24, v5, v24, s[12:13]
	flat_load_dwordx4 v[24:27], v[24:25]
	v_mul_u32_u24_e32 v5, 0xf0, v32
	v_add3_u32 v5, 0, v5, v6
	s_waitcnt vmcnt(0) lgkmcnt(0)
	ds_write_b128 v5, v[24:27] offset:192
.LBB19_309:
	s_or_b64 exec, exec, s[16:17]
	v_mul_lo_u32 v6, s62, v18
	v_ashrrev_i32_e32 v7, 31, v6
	v_lshl_add_u64 v[6:7], v[6:7], 2, s[2:3]
	v_mov_b32_e32 v15, v4
	v_lshl_add_u64 v[6:7], v[6:7], 0, v[14:15]
	s_mov_b64 s[12:13], 0x80
	v_lshl_add_u64 v[6:7], v[6:7], 0, s[12:13]
	v_mov_b32_e32 v18, s21
	v_mov_b32_e32 v20, 0
	v_cndmask_b32_e64 v7, v18, v7, s[6:7]
	v_cndmask_b32_e64 v6, v20, v6, s[6:7]
	flat_load_dwordx4 v[24:27], v[6:7]
	v_lshl_add_u64 v[6:7], v[22:23], 2, s[2:3]
	v_mov_b32_e32 v13, v4
	v_lshl_add_u64 v[4:5], v[6:7], 0, v[12:13]
	v_cndmask_b32_e64 v5, v18, v5, s[10:11]
	v_cndmask_b32_e64 v4, v20, v4, s[10:11]
	s_waitcnt lgkmcnt(0)
	v_max_f32_e32 v15, v11, v11
	v_max_f32_e32 v22, v9, v9
	v_mul_lo_u32 v14, s62, v68
	v_max_f32_e32 v30, v22, v15
	v_ashrrev_i32_e32 v15, 31, v14
	s_mov_b32 s7, 0x3fb8aa3b
	v_sub_f32_e32 v32, v2, v30
	v_sub_f32_e32 v36, v3, v30
	;; [unrolled: 1-line block ×3, first 2 shown]
	s_mov_b32 s10, 0xc2ce8ed0
	s_mov_b32 s11, 0x42b17218
	v_mov_b32_e32 v23, 0x7f800000
	s_mov_b32 s12, 0xc1a00000
	v_mov_b32_e32 v9, s18
	v_mov_b32_e32 v11, s18
	s_mov_b32 s6, 0x5040100
	s_waitcnt vmcnt(0)
	ds_write_b128 v10, v[24:27]
	flat_load_dwordx4 v[4:7], v[4:5]
	v_or_b32_e32 v24, 3, v69
	v_or_b32_e32 v25, 2, v69
	v_and_b32_e32 v26, 0xfc, v69
	v_mul_u32_u24_e32 v22, 0xf0, v24
	v_mul_u32_u24_e32 v24, 0xf0, v25
	;; [unrolled: 1-line block ×3, first 2 shown]
	v_sub_f32_e32 v26, v0, v30
	v_sub_f32_e32 v27, v1, v30
	v_lshl_add_u64 v[0:1], v[14:15], 2, s[2:3]
	v_mul_f32_e32 v2, 0x3fb8aa3b, v26
	v_lshl_add_u64 v[0:1], v[0:1], 0, v[12:13]
	v_fma_f32 v12, v26, s7, -v2
	v_rndne_f32_e32 v13, v2
	v_fmac_f32_e32 v12, 0x32a5705f, v26
	v_sub_f32_e32 v2, v2, v13
	v_add_f32_e32 v2, v2, v12
	v_mul_f32_e32 v3, 0x3fb8aa3b, v27
	v_cvt_i32_f32_e32 v13, v13
	v_exp_f32_e32 v2, v2
	v_add3_u32 v40, v19, v25, v67
	v_add3_u32 v41, v19, v24, v67
	;; [unrolled: 1-line block ×3, first 2 shown]
	v_mul_f32_e32 v14, 0x3fb8aa3b, v32
	v_mul_f32_e32 v15, 0x3fb8aa3b, v36
	;; [unrolled: 1-line block ×3, first 2 shown]
	v_fma_f32 v22, v27, s7, -v3
	v_rndne_f32_e32 v24, v3
	v_fma_f32 v25, v32, s7, -v14
	v_rndne_f32_e32 v37, v14
	;; [unrolled: 2-line block ×4, first 2 shown]
	v_fmac_f32_e32 v22, 0x32a5705f, v27
	v_sub_f32_e32 v3, v3, v24
	v_cndmask_b32_e64 v1, v18, v1, s[0:1]
	v_cndmask_b32_e64 v0, v20, v0, s[0:1]
	v_fmac_f32_e32 v25, 0x32a5705f, v32
	v_sub_f32_e32 v14, v14, v37
	v_fmac_f32_e32 v38, 0x32a5705f, v36
	v_sub_f32_e32 v15, v15, v39
	;; [unrolled: 2-line block ×3, first 2 shown]
	v_add_f32_e32 v3, v3, v22
	v_add_f32_e32 v12, v14, v25
	;; [unrolled: 1-line block ×4, first 2 shown]
	v_exp_f32_e32 v19, v3
	v_ldexp_f32 v13, v2, v13
	v_cvt_i32_f32_e32 v18, v24
	v_cvt_i32_f32_e32 v20, v37
	v_exp_f32_e32 v12, v12
	v_cvt_i32_f32_e32 v24, v39
	v_exp_f32_e32 v14, v14
	;; [unrolled: 2-line block ×3, first 2 shown]
	v_cmp_ngt_f32_e64 s[0:1], s10, v26
	v_mov_b32_e32 v10, s18
	s_waitcnt vmcnt(0) lgkmcnt(0)
	ds_write_b128 v17, v[4:7]
	flat_load_dwordx4 v[0:3], v[0:1]
	v_ldexp_f32 v4, v19, v18
	v_ldexp_f32 v5, v12, v20
	v_cndmask_b32_e64 v12, 0, v13, s[0:1]
	v_cmp_ngt_f32_e64 s[0:1], s10, v27
	v_ldexp_f32 v6, v14, v24
	v_ldexp_f32 v7, v15, v37
	v_cndmask_b32_e64 v4, 0, v4, s[0:1]
	v_cmp_ngt_f32_e64 s[0:1], s10, v32
	s_waitcnt vmcnt(0) lgkmcnt(0)
	ds_write_b128 v8, v[0:3]
	v_cndmask_b32_e64 v5, 0, v5, s[0:1]
	v_cmp_ngt_f32_e64 s[0:1], s10, v36
	s_waitcnt lgkmcnt(0)
	s_barrier
	v_cndmask_b32_e64 v6, 0, v6, s[0:1]
	v_cmp_ngt_f32_e64 s[0:1], s10, v21
	s_nop 1
	v_cndmask_b32_e64 v7, 0, v7, s[0:1]
	v_cmp_nlt_f32_e64 s[0:1], s11, v26
	s_nop 1
	v_cndmask_b32_e64 v12, v23, v12, s[0:1]
	v_cmp_nlt_f32_e64 s[0:1], s11, v27
	s_nop 1
	v_cndmask_b32_e64 v13, v23, v4, s[0:1]
	v_cmp_nlt_f32_e64 s[0:1], s11, v32
	v_cndmask_b32_e64 v4, 0, v12, s[14:15]
	s_nop 0
	v_cndmask_b32_e64 v14, v23, v5, s[0:1]
	v_cmp_nlt_f32_e64 s[0:1], s11, v36
	v_cndmask_b32_e32 v5, v9, v13, vcc
	v_cvt_pk_f16_f32 v26, v4, v5
	v_cndmask_b32_e64 v15, v23, v6, s[0:1]
	v_cmp_nlt_f32_e64 s[0:1], s11, v21
	v_cndmask_b32_e64 v6, v10, v14, s[4:5]
	v_cndmask_b32_e64 v9, v11, v15, s[8:9]
	;; [unrolled: 1-line block ×3, first 2 shown]
	v_cmp_le_f32_e64 s[0:1], s12, v21
	v_add_f32_e32 v10, v13, v4
	v_cndmask_b32_e32 v4, v4, v10, vcc
	v_cndmask_b32_e64 v7, 0, v7, s[0:1]
	v_cvt_f16_f32_e32 v11, v7
	v_add_f32_e32 v5, v4, v14
	v_cndmask_b32_e64 v4, v4, v5, s[4:5]
	v_cvt_pk_f16_f32 v27, v6, v9
	v_add_f32_e32 v5, v4, v15
	v_mul_u32_u24_e32 v6, 0x10001, v11
	v_cndmask_b32_e64 v32, v4, v5, s[8:9]
	v_pk_mul_f16 v9, v82, v6
	v_pk_mul_f16 v5, v83, v6
	;; [unrolled: 1-line block ×14, first 2 shown]
	v_fmac_f32_e32 v32, v16, v7
	v_cvt_f32_f16_e32 v6, v9
	v_cvt_f32_f16_sdwa v7, v9 dst_sel:DWORD dst_unused:UNUSED_PAD src0_sel:WORD_1
	ds_read_u16 v0, v40 offset:240
	ds_read_u16 v2, v40
	ds_read_u16 v3, v40 offset:32
	ds_read_u16 v46, v40 offset:64
	;; [unrolled: 1-line block ×6, first 2 shown]
	ds_read_u16 v1, v41
	ds_read_u16 v8, v41 offset:32
	ds_read_u16 v43, v40 offset:272
	;; [unrolled: 1-line block ×7, first 2 shown]
	ds_read_u16 v9, v44
	ds_read_u16 v57, v44 offset:32
	ds_read_u16 v58, v41 offset:64
	;; [unrolled: 1-line block ×7, first 2 shown]
	s_waitcnt lgkmcnt(7)
	v_perm_b32 v1, v9, v1, s6
	v_perm_b32 v0, v0, v2, s6
	s_waitcnt lgkmcnt(6)
	v_perm_b32 v9, v57, v8, s6
	v_perm_b32 v8, v43, v3, s6
	ds_read_u16 v57, v44 offset:96
	v_cvt_f32_f16_e32 v4, v5
	v_cvt_f32_f16_sdwa v5, v5 dst_sel:DWORD dst_unused:UNUSED_PAD src0_sel:WORD_1
	v_cvt_f32_f16_e32 v10, v11
	v_cvt_f32_f16_sdwa v11, v11 dst_sel:DWORD dst_unused:UNUSED_PAD src0_sel:WORD_1
	;; [unrolled: 2-line block ×4, first 2 shown]
	s_waitcnt lgkmcnt(5)
	v_perm_b32 v43, v59, v58, s6
	v_perm_b32 v42, v51, v46, s6
	v_cvt_f32_f16_e32 v14, v15
	v_cvt_f32_f16_sdwa v15, v15 dst_sel:DWORD dst_unused:UNUSED_PAD src0_sel:WORD_1
	v_cvt_f32_f16_e32 v16, v17
	v_cvt_f32_f16_sdwa v17, v17 dst_sel:DWORD dst_unused:UNUSED_PAD src0_sel:WORD_1
	ds_read_u16 v46, v44 offset:128
	ds_read_u16 v51, v44 offset:160
	;; [unrolled: 1-line block ×3, first 2 shown]
	v_mfma_f32_16x16x16_f16 v[0:3], v[0:1], v[26:27], v[4:7]
	v_cvt_f32_f16_e32 v18, v19
	v_cvt_f32_f16_sdwa v19, v19 dst_sel:DWORD dst_unused:UNUSED_PAD src0_sel:WORD_1
	v_cvt_f32_f16_e32 v20, v21
	v_mfma_f32_16x16x16_f16 v[4:7], v[8:9], v[26:27], v[10:13]
	v_cvt_f32_f16_sdwa v21, v21 dst_sel:DWORD dst_unused:UNUSED_PAD src0_sel:WORD_1
	v_cvt_f32_f16_e32 v22, v23
	v_cvt_f32_f16_sdwa v23, v23 dst_sel:DWORD dst_unused:UNUSED_PAD src0_sel:WORD_1
	s_waitcnt lgkmcnt(3)
	v_perm_b32 v13, v57, v60, s6
	v_perm_b32 v12, v52, v47, s6
	v_mfma_f32_16x16x16_f16 v[8:11], v[42:43], v[26:27], v[14:17]
	v_cvt_f32_f16_e32 v24, v25
	v_cvt_f32_f16_sdwa v25, v25 dst_sel:DWORD dst_unused:UNUSED_PAD src0_sel:WORD_1
	v_cvt_f32_f16_e32 v42, v45
	s_waitcnt lgkmcnt(2)
	v_perm_b32 v17, v46, v61, s6
	v_perm_b32 v16, v54, v48, s6
	v_cvt_f32_f16_sdwa v43, v45 dst_sel:DWORD dst_unused:UNUSED_PAD src0_sel:WORD_1
	ds_bpermute_b32 v45, v31, v32
	v_mfma_f32_16x16x16_f16 v[12:15], v[12:13], v[26:27], v[18:21]
	v_cvt_f32_f16_e32 v36, v37
	v_cvt_f32_f16_sdwa v37, v37 dst_sel:DWORD dst_unused:UNUSED_PAD src0_sel:WORD_1
	v_cvt_f32_f16_e32 v38, v39
	s_waitcnt lgkmcnt(2)
	v_perm_b32 v21, v51, v62, s6
	v_perm_b32 v20, v55, v49, s6
	v_cvt_f32_f16_sdwa v39, v39 dst_sel:DWORD dst_unused:UNUSED_PAD src0_sel:WORD_1
	v_mfma_f32_16x16x16_f16 v[16:19], v[16:17], v[26:27], v[22:25]
	s_waitcnt lgkmcnt(0)
	v_add_f32_e32 v32, v32, v45
	s_movk_i32 s4, 0xf0
	v_cmp_gt_u32_e64 s[0:1], 16, v53
	v_perm_b32 v25, v44, v63, s6
	v_perm_b32 v24, v56, v50, s6
	v_mfma_f32_16x16x16_f16 v[20:23], v[20:21], v[26:27], v[36:39]
	s_barrier
	s_nop 1
	ds_bpermute_b32 v36, v33, v32
	v_mfma_f32_16x16x16_f16 v[24:27], v[24:25], v[26:27], v[40:43]
	s_and_saveexec_b64 s[2:3], s[0:1]
	s_cbranch_execz .LBB19_311
; %bb.310:
	s_waitcnt lgkmcnt(0)
	v_add_f32_e32 v32, v32, v36
	v_or_b32_e32 v36, v106, v53
	v_mad_u32_u24 v36, v36, s4, 0
	ds_write2_b32 v36, v30, v32 offset0:56 offset1:57
.LBB19_311:
	s_or_b64 exec, exec, s[2:3]
	v_and_b32_e32 v30, 3, v104
	v_cmp_eq_u32_e32 vcc, 0, v30
	v_cmp_ne_u32_e64 s[4:5], 0, v30
	s_waitcnt lgkmcnt(0)
	s_barrier
	s_and_saveexec_b64 s[2:3], s[4:5]
	s_xor_b64 s[2:3], exec, s[2:3]
	s_cbranch_execz .LBB19_313
; %bb.312:
	s_barrier
                                        ; implicit-def: $vgpr31
                                        ; implicit-def: $vgpr33
                                        ; implicit-def: $vgpr107
.LBB19_313:
	s_andn2_saveexec_b64 s[2:3], s[2:3]
	s_cbranch_execz .LBB19_317
; %bb.314:
	v_add_u32_e32 v30, v106, v53
	s_movk_i32 s4, 0xf0
	v_mad_u32_u24 v38, v30, s4, 0
	ds_read_b64 v[36:37], v38 offset:224
	s_mov_b32 s4, 0x3fb8aa3b
	s_mov_b32 s6, 0x42b17218
	;; [unrolled: 1-line block ×3, first 2 shown]
	s_waitcnt lgkmcnt(0)
	ds_bpermute_b32 v30, v31, v36
	v_max_f32_e32 v32, v36, v36
	s_barrier
	s_waitcnt lgkmcnt(0)
	v_max_f32_e32 v30, v30, v30
	v_max_f32_e32 v30, v32, v30
	ds_bpermute_b32 v32, v33, v30
	s_waitcnt lgkmcnt(0)
	v_max_f32_e32 v32, v32, v32
	v_max_f32_e32 v30, v30, v32
	v_sub_f32_e32 v32, v36, v30
	v_mul_f32_e32 v36, 0x3fb8aa3b, v32
	v_fma_f32 v39, v32, s4, -v36
	v_rndne_f32_e32 v40, v36
	v_fmamk_f32 v39, v32, 0x32a5705f, v39
	v_sub_f32_e32 v36, v36, v40
	v_add_f32_e32 v36, v36, v39
	v_cvt_i32_f32_e32 v40, v40
	v_exp_f32_e32 v36, v36
	s_mov_b32 s4, 0xc2ce8ed0
	v_cmp_ngt_f32_e64 s[4:5], s4, v32
	v_mov_b32_e32 v39, 0x7f800000
	v_ldexp_f32 v36, v36, v40
	v_cndmask_b32_e64 v36, 0, v36, s[4:5]
	v_cmp_nlt_f32_e64 s[4:5], s6, v32
	s_nop 1
	v_cndmask_b32_e64 v32, v39, v36, s[4:5]
	v_mul_f32_e32 v36, v37, v32
	ds_bpermute_b32 v31, v31, v36
	s_waitcnt lgkmcnt(0)
	v_fmac_f32_e32 v31, v37, v32
	ds_bpermute_b32 v33, v33, v31
	s_waitcnt lgkmcnt(0)
	v_add_f32_e32 v33, v31, v33
	ds_write_b64 v38, v[32:33] offset:224
	s_and_saveexec_b64 s[4:5], s[0:1]
	s_cbranch_execz .LBB19_316
; %bb.315:
	s_add_i32 s0, s69, s68
	s_lshl_b32 s6, s0, 4
	s_lshl_b64 s[0:1], s[6:7], 3
	s_add_u32 s0, s58, s0
	v_or_b32_e32 v31, v107, v53
	s_addc_u32 s1, s59, s1
	v_lshlrev_b32_e32 v32, 3, v31
	v_mov_b32_e32 v31, v33
	global_store_dwordx2 v32, v[30:31], s[0:1]
.LBB19_316:
	s_or_b64 exec, exec, s[4:5]
.LBB19_317:
	s_or_b64 exec, exec, s[2:3]
	v_cvt_pk_f16_f32 v0, v0, v1
	v_cvt_pk_f16_f32 v1, v6, v7
	;; [unrolled: 1-line block ×3, first 2 shown]
	v_or_b32_e32 v14, v106, v28
	v_mul_u32_u24_e32 v14, 0xf0, v14
	v_cvt_pk_f16_f32 v2, v2, v3
	s_movk_i32 s4, 0xf0
	s_mov_b32 s3, 0
	v_add3_u32 v14, 0, v14, v66
	v_cvt_pk_f16_f32 v3, v4, v5
	v_cvt_pk_f16_f32 v4, v10, v11
	;; [unrolled: 1-line block ×10, first 2 shown]
	ds_write2_b32 v14, v0, v2 offset1:1
	ds_write2_b32 v14, v3, v1 offset0:8 offset1:9
	ds_write2_b32 v14, v5, v4 offset0:16 offset1:17
	;; [unrolled: 1-line block ×6, first 2 shown]
	s_waitcnt lgkmcnt(0)
	s_barrier
	s_and_saveexec_b64 s[0:1], vcc
	s_cbranch_execz .LBB19_319
; %bb.318:
	s_mul_i32 s2, s68, 0x380
	s_lshl_b64 s[6:7], s[2:3], 3
	s_add_u32 s5, s58, s6
	s_addc_u32 s6, s59, s7
	s_lshl_b32 s2, s69, 5
	v_lshrrev_b32_e32 v0, 1, v104
	s_lshl_b64 s[2:3], s[2:3], 3
	v_add_u32_e32 v12, v0, v105
	s_add_u32 s2, s5, s2
	v_lshlrev_b32_e32 v0, 2, v12
	v_and_b32_e32 v1, 15, v12
	s_movk_i32 s5, 0xfc0
	v_and_or_b32 v2, v0, s5, v1
	v_mad_u32_u24 v8, v2, s4, v64
	ds_read2st64_b32 v[0:1], v8 offset1:15
	v_mad_u32_u24 v2, v2, s4, 0
	v_add_u32_e32 v6, 0xe0, v2
	ds_read2st64_b32 v[2:3], v6 offset1:15
	ds_read2st64_b32 v[6:7], v6 offset0:30 offset1:45
	ds_read2st64_b32 v[8:9], v8 offset0:30 offset1:45
	s_waitcnt lgkmcnt(3)
	v_cvt_f32_f16_e32 v4, v0
	v_cvt_f32_f16_sdwa v5, v0 dst_sel:DWORD dst_unused:UNUSED_PAD src0_sel:WORD_1
	v_cvt_f32_f16_e32 v0, v1
	v_cvt_f32_f16_sdwa v1, v1 dst_sel:DWORD dst_unused:UNUSED_PAD src0_sel:WORD_1
	s_waitcnt lgkmcnt(0)
	v_cvt_f32_f16_e32 v10, v8
	v_cvt_f32_f16_sdwa v11, v8 dst_sel:DWORD dst_unused:UNUSED_PAD src0_sel:WORD_1
	v_cvt_f32_f16_e32 v8, v9
	v_cvt_f32_f16_sdwa v9, v9 dst_sel:DWORD dst_unused:UNUSED_PAD src0_sel:WORD_1
	v_pk_fma_f32 v[4:5], v[2:3], v[4:5], 0 op_sel_hi:[0,1,0]
	v_mov_b32_e32 v2, v3
	v_pk_fma_f32 v[0:1], v[2:3], v[0:1], v[4:5] op_sel_hi:[0,1,1]
	v_pk_fma_f32 v[0:1], v[6:7], v[10:11], v[0:1] op_sel_hi:[0,1,1]
	v_mov_b32_e32 v2, v7
	v_pk_fma_f32 v[0:1], v[2:3], v[8:9], v[0:1] op_sel_hi:[0,1,1]
	v_add_u32_e32 v2, 2, v12
	v_lshlrev_b32_e32 v3, 2, v2
	v_and_b32_e32 v2, 15, v2
	s_movk_i32 s5, 0x1fc0
	v_and_or_b32 v4, v3, s5, v2
	v_mul_u32_u24_e32 v13, 56, v12
	v_mad_u32_u24 v8, v4, s4, v64
	s_addc_u32 s3, s6, s3
	ds_read2st64_b32 v[2:3], v8 offset1:15
	v_add_lshl_u32 v13, v13, v34, 3
	v_mad_u32_u24 v4, v4, s4, 0
	v_add_u32_e32 v9, 0xe0, v4
	global_store_dwordx2 v13, v[0:1], s[2:3]
	ds_read2st64_b32 v[4:5], v9 offset1:15
	ds_read2st64_b32 v[0:1], v9 offset0:30 offset1:45
	ds_read2st64_b32 v[8:9], v8 offset0:30 offset1:45
	s_waitcnt lgkmcnt(3)
	v_cvt_f32_f16_e32 v6, v2
	v_cvt_f32_f16_sdwa v7, v2 dst_sel:DWORD dst_unused:UNUSED_PAD src0_sel:WORD_1
	v_cvt_f32_f16_e32 v2, v3
	v_cvt_f32_f16_sdwa v3, v3 dst_sel:DWORD dst_unused:UNUSED_PAD src0_sel:WORD_1
	s_waitcnt lgkmcnt(0)
	v_cvt_f32_f16_e32 v10, v8
	v_cvt_f32_f16_sdwa v11, v8 dst_sel:DWORD dst_unused:UNUSED_PAD src0_sel:WORD_1
	v_cvt_f32_f16_e32 v8, v9
	v_cvt_f32_f16_sdwa v9, v9 dst_sel:DWORD dst_unused:UNUSED_PAD src0_sel:WORD_1
	v_pk_fma_f32 v[6:7], v[4:5], v[6:7], 0 op_sel_hi:[0,1,0]
	v_mov_b32_e32 v4, v5
	v_pk_fma_f32 v[2:3], v[4:5], v[2:3], v[6:7] op_sel_hi:[0,1,1]
	v_pk_fma_f32 v[2:3], v[0:1], v[10:11], v[2:3] op_sel_hi:[0,1,1]
	v_mov_b32_e32 v0, v1
	v_pk_fma_f32 v[0:1], v[0:1], v[8:9], v[2:3] op_sel_hi:[0,1,1]
	v_add_u32_e32 v2, 4, v12
	v_lshlrev_b32_e32 v3, 2, v2
	v_and_b32_e32 v2, 15, v2
	v_and_or_b32 v4, v3, s5, v2
	v_mad_u32_u24 v8, v4, s4, v64
	ds_read2st64_b32 v[2:3], v8 offset1:15
	global_store_dwordx2 v13, v[0:1], s[2:3] offset:896
	v_mad_u32_u24 v0, v4, s4, 0
	v_add_u32_e32 v6, 0xe0, v0
	ds_read2st64_b32 v[0:1], v6 offset1:15
	ds_read2st64_b32 v[6:7], v6 offset0:30 offset1:45
	ds_read2st64_b32 v[8:9], v8 offset0:30 offset1:45
	s_waitcnt lgkmcnt(3)
	v_cvt_f32_f16_e32 v4, v2
	v_cvt_f32_f16_sdwa v5, v2 dst_sel:DWORD dst_unused:UNUSED_PAD src0_sel:WORD_1
	v_cvt_f32_f16_e32 v2, v3
	v_cvt_f32_f16_sdwa v3, v3 dst_sel:DWORD dst_unused:UNUSED_PAD src0_sel:WORD_1
	s_waitcnt lgkmcnt(0)
	v_cvt_f32_f16_e32 v10, v8
	v_cvt_f32_f16_sdwa v11, v8 dst_sel:DWORD dst_unused:UNUSED_PAD src0_sel:WORD_1
	v_cvt_f32_f16_e32 v8, v9
	v_cvt_f32_f16_sdwa v9, v9 dst_sel:DWORD dst_unused:UNUSED_PAD src0_sel:WORD_1
	v_pk_fma_f32 v[4:5], v[0:1], v[4:5], 0 op_sel_hi:[0,1,0]
	v_mov_b32_e32 v0, v1
	v_pk_fma_f32 v[0:1], v[0:1], v[2:3], v[4:5] op_sel_hi:[0,1,1]
	v_pk_fma_f32 v[0:1], v[6:7], v[10:11], v[0:1] op_sel_hi:[0,1,1]
	v_mov_b32_e32 v2, v7
	v_pk_fma_f32 v[0:1], v[2:3], v[8:9], v[0:1] op_sel_hi:[0,1,1]
	v_add_u32_e32 v2, 6, v12
	v_lshlrev_b32_e32 v3, 2, v2
	v_and_b32_e32 v2, 15, v2
	v_and_or_b32 v4, v3, s5, v2
	v_add_u32_e32 v14, 0x700, v13
	v_mad_u32_u24 v8, v4, s4, v64
	ds_read2st64_b32 v[2:3], v8 offset1:15
	global_store_dwordx2 v14, v[0:1], s[2:3]
	v_mad_u32_u24 v0, v4, s4, 0
	v_add_u32_e32 v6, 0xe0, v0
	ds_read2st64_b32 v[0:1], v6 offset1:15
	ds_read2st64_b32 v[6:7], v6 offset0:30 offset1:45
	ds_read2st64_b32 v[8:9], v8 offset0:30 offset1:45
	s_waitcnt lgkmcnt(3)
	v_cvt_f32_f16_e32 v4, v2
	v_cvt_f32_f16_sdwa v5, v2 dst_sel:DWORD dst_unused:UNUSED_PAD src0_sel:WORD_1
	v_cvt_f32_f16_e32 v2, v3
	v_cvt_f32_f16_sdwa v3, v3 dst_sel:DWORD dst_unused:UNUSED_PAD src0_sel:WORD_1
	s_waitcnt lgkmcnt(0)
	v_cvt_f32_f16_e32 v10, v8
	v_cvt_f32_f16_sdwa v11, v8 dst_sel:DWORD dst_unused:UNUSED_PAD src0_sel:WORD_1
	v_cvt_f32_f16_e32 v8, v9
	v_cvt_f32_f16_sdwa v9, v9 dst_sel:DWORD dst_unused:UNUSED_PAD src0_sel:WORD_1
	v_pk_fma_f32 v[4:5], v[0:1], v[4:5], 0 op_sel_hi:[0,1,0]
	v_mov_b32_e32 v0, v1
	v_pk_fma_f32 v[0:1], v[0:1], v[2:3], v[4:5] op_sel_hi:[0,1,1]
	v_pk_fma_f32 v[0:1], v[6:7], v[10:11], v[0:1] op_sel_hi:[0,1,1]
	v_mov_b32_e32 v2, v7
	v_pk_fma_f32 v[0:1], v[2:3], v[8:9], v[0:1] op_sel_hi:[0,1,1]
	v_add_u32_e32 v2, 8, v12
	v_lshlrev_b32_e32 v3, 2, v2
	v_and_b32_e32 v2, 15, v2
	v_and_or_b32 v4, v3, s5, v2
	v_add_u32_e32 v14, 0xa80, v13
	v_mad_u32_u24 v8, v4, s4, v64
	ds_read2st64_b32 v[2:3], v8 offset1:15
	global_store_dwordx2 v14, v[0:1], s[2:3]
	;; [unrolled: 29-line block ×5, first 2 shown]
	v_mad_u32_u24 v0, v4, s4, 0
	v_add_u32_e32 v6, 0xe0, v0
	ds_read2st64_b32 v[0:1], v6 offset1:15
	ds_read2st64_b32 v[6:7], v6 offset0:30 offset1:45
	ds_read2st64_b32 v[8:9], v8 offset0:30 offset1:45
	s_waitcnt lgkmcnt(3)
	v_cvt_f32_f16_e32 v4, v2
	v_cvt_f32_f16_sdwa v5, v2 dst_sel:DWORD dst_unused:UNUSED_PAD src0_sel:WORD_1
	v_cvt_f32_f16_e32 v2, v3
	v_cvt_f32_f16_sdwa v3, v3 dst_sel:DWORD dst_unused:UNUSED_PAD src0_sel:WORD_1
	s_waitcnt lgkmcnt(0)
	v_cvt_f32_f16_e32 v10, v8
	v_cvt_f32_f16_sdwa v11, v8 dst_sel:DWORD dst_unused:UNUSED_PAD src0_sel:WORD_1
	v_cvt_f32_f16_e32 v8, v9
	v_cvt_f32_f16_sdwa v9, v9 dst_sel:DWORD dst_unused:UNUSED_PAD src0_sel:WORD_1
	v_pk_fma_f32 v[4:5], v[0:1], v[4:5], 0 op_sel_hi:[0,1,0]
	v_mov_b32_e32 v0, v1
	v_pk_fma_f32 v[0:1], v[0:1], v[2:3], v[4:5] op_sel_hi:[0,1,1]
	v_add_u32_e32 v12, 0x1880, v13
	v_pk_fma_f32 v[0:1], v[6:7], v[10:11], v[0:1] op_sel_hi:[0,1,1]
	v_mov_b32_e32 v2, v7
	v_add_u32_e32 v13, v65, v104
	v_pk_fma_f32 v[0:1], v[2:3], v[8:9], v[0:1] op_sel_hi:[0,1,1]
	v_lshlrev_b32_e32 v2, 2, v13
	v_and_b32_e32 v3, 15, v13
	v_lshl_add_u32 v14, v28, 2, 0
	v_and_or_b32 v4, v2, s5, v3
	v_mad_u32_u24 v2, v4, s4, v14
	v_add_u32_e32 v8, 0x80, v2
	ds_read2st64_b32 v[2:3], v8 offset1:15
	global_store_dwordx2 v12, v[0:1], s[2:3]
	v_mad_u32_u24 v0, v4, s4, 0
	v_add_u32_e32 v6, 0xe0, v0
	ds_read2st64_b32 v[0:1], v6 offset1:15
	ds_read2st64_b32 v[6:7], v6 offset0:30 offset1:45
	ds_read2st64_b32 v[8:9], v8 offset0:30 offset1:45
	s_waitcnt lgkmcnt(3)
	v_cvt_f32_f16_e32 v4, v2
	v_cvt_f32_f16_sdwa v5, v2 dst_sel:DWORD dst_unused:UNUSED_PAD src0_sel:WORD_1
	v_cvt_f32_f16_e32 v2, v3
	v_cvt_f32_f16_sdwa v3, v3 dst_sel:DWORD dst_unused:UNUSED_PAD src0_sel:WORD_1
	s_waitcnt lgkmcnt(0)
	v_cvt_f32_f16_e32 v10, v8
	v_cvt_f32_f16_sdwa v11, v8 dst_sel:DWORD dst_unused:UNUSED_PAD src0_sel:WORD_1
	v_cvt_f32_f16_e32 v8, v9
	v_cvt_f32_f16_sdwa v9, v9 dst_sel:DWORD dst_unused:UNUSED_PAD src0_sel:WORD_1
	v_pk_fma_f32 v[4:5], v[0:1], v[4:5], 0 op_sel_hi:[0,1,0]
	v_mov_b32_e32 v0, v1
	v_pk_fma_f32 v[0:1], v[0:1], v[2:3], v[4:5] op_sel_hi:[0,1,1]
	v_pk_fma_f32 v[0:1], v[6:7], v[10:11], v[0:1] op_sel_hi:[0,1,1]
	v_mov_b32_e32 v2, v7
	v_pk_fma_f32 v[0:1], v[2:3], v[8:9], v[0:1] op_sel_hi:[0,1,1]
	v_add_u32_e32 v2, 4, v13
	v_lshlrev_b32_e32 v3, 2, v2
	v_and_b32_e32 v2, 15, v2
	s_movk_i32 s5, 0x3fc0
	v_and_or_b32 v4, v3, s5, v2
	v_mul_u32_u24_e32 v12, 56, v13
	v_mad_u32_u24 v2, v4, s4, v14
	v_add_lshl_u32 v12, v12, v28, 3
	v_add_u32_e32 v8, 0x80, v2
	ds_read2st64_b32 v[2:3], v8 offset1:15
	global_store_dwordx2 v12, v[0:1], s[2:3] offset:256
	v_mad_u32_u24 v0, v4, s4, 0
	v_add_u32_e32 v6, 0xe0, v0
	ds_read2st64_b32 v[0:1], v6 offset1:15
	ds_read2st64_b32 v[6:7], v6 offset0:30 offset1:45
	ds_read2st64_b32 v[8:9], v8 offset0:30 offset1:45
	s_waitcnt lgkmcnt(3)
	v_cvt_f32_f16_e32 v4, v2
	v_cvt_f32_f16_sdwa v5, v2 dst_sel:DWORD dst_unused:UNUSED_PAD src0_sel:WORD_1
	v_cvt_f32_f16_e32 v2, v3
	v_cvt_f32_f16_sdwa v3, v3 dst_sel:DWORD dst_unused:UNUSED_PAD src0_sel:WORD_1
	s_waitcnt lgkmcnt(0)
	v_cvt_f32_f16_e32 v10, v8
	v_cvt_f32_f16_sdwa v11, v8 dst_sel:DWORD dst_unused:UNUSED_PAD src0_sel:WORD_1
	v_cvt_f32_f16_e32 v8, v9
	v_cvt_f32_f16_sdwa v9, v9 dst_sel:DWORD dst_unused:UNUSED_PAD src0_sel:WORD_1
	v_pk_fma_f32 v[4:5], v[0:1], v[4:5], 0 op_sel_hi:[0,1,0]
	v_mov_b32_e32 v0, v1
	v_pk_fma_f32 v[0:1], v[0:1], v[2:3], v[4:5] op_sel_hi:[0,1,1]
	v_pk_fma_f32 v[0:1], v[6:7], v[10:11], v[0:1] op_sel_hi:[0,1,1]
	v_mov_b32_e32 v2, v7
	v_pk_fma_f32 v[0:1], v[2:3], v[8:9], v[0:1] op_sel_hi:[0,1,1]
	v_add_u32_e32 v2, 8, v13
	v_lshlrev_b32_e32 v3, 2, v2
	v_and_b32_e32 v2, 15, v2
	v_and_or_b32 v4, v3, s5, v2
	v_mad_u32_u24 v2, v4, s4, v14
	v_add_u32_e32 v15, 0x700, v12
	v_add_u32_e32 v8, 0x80, v2
	ds_read2st64_b32 v[2:3], v8 offset1:15
	global_store_dwordx2 v15, v[0:1], s[2:3] offset:256
	v_mad_u32_u24 v0, v4, s4, 0
	v_add_u32_e32 v6, 0xe0, v0
	ds_read2st64_b32 v[0:1], v6 offset1:15
	ds_read2st64_b32 v[6:7], v6 offset0:30 offset1:45
	ds_read2st64_b32 v[8:9], v8 offset0:30 offset1:45
	s_waitcnt lgkmcnt(3)
	v_cvt_f32_f16_e32 v4, v2
	v_cvt_f32_f16_sdwa v5, v2 dst_sel:DWORD dst_unused:UNUSED_PAD src0_sel:WORD_1
	v_cvt_f32_f16_e32 v2, v3
	v_cvt_f32_f16_sdwa v3, v3 dst_sel:DWORD dst_unused:UNUSED_PAD src0_sel:WORD_1
	s_waitcnt lgkmcnt(0)
	v_cvt_f32_f16_e32 v10, v8
	v_cvt_f32_f16_sdwa v11, v8 dst_sel:DWORD dst_unused:UNUSED_PAD src0_sel:WORD_1
	v_cvt_f32_f16_e32 v8, v9
	v_cvt_f32_f16_sdwa v9, v9 dst_sel:DWORD dst_unused:UNUSED_PAD src0_sel:WORD_1
	v_pk_fma_f32 v[4:5], v[0:1], v[4:5], 0 op_sel_hi:[0,1,0]
	v_mov_b32_e32 v0, v1
	v_pk_fma_f32 v[0:1], v[0:1], v[2:3], v[4:5] op_sel_hi:[0,1,1]
	v_pk_fma_f32 v[0:1], v[6:7], v[10:11], v[0:1] op_sel_hi:[0,1,1]
	v_mov_b32_e32 v2, v7
	v_pk_fma_f32 v[0:1], v[2:3], v[8:9], v[0:1] op_sel_hi:[0,1,1]
	v_add_u32_e32 v2, 12, v13
	v_lshlrev_b32_e32 v3, 2, v2
	v_and_b32_e32 v2, 15, v2
	v_and_or_b32 v4, v3, s5, v2
	v_mad_u32_u24 v2, v4, s4, v14
	v_add_u32_e32 v15, 0xe00, v12
	v_add_u32_e32 v8, 0x80, v2
	ds_read2st64_b32 v[2:3], v8 offset1:15
	global_store_dwordx2 v15, v[0:1], s[2:3] offset:256
	v_mad_u32_u24 v0, v4, s4, 0
	v_add_u32_e32 v6, 0xe0, v0
	ds_read2st64_b32 v[0:1], v6 offset1:15
	ds_read2st64_b32 v[6:7], v6 offset0:30 offset1:45
	ds_read2st64_b32 v[8:9], v8 offset0:30 offset1:45
	s_waitcnt lgkmcnt(3)
	v_cvt_f32_f16_e32 v4, v2
	v_cvt_f32_f16_sdwa v5, v2 dst_sel:DWORD dst_unused:UNUSED_PAD src0_sel:WORD_1
	v_cvt_f32_f16_e32 v2, v3
	v_cvt_f32_f16_sdwa v3, v3 dst_sel:DWORD dst_unused:UNUSED_PAD src0_sel:WORD_1
	s_waitcnt lgkmcnt(0)
	v_cvt_f32_f16_e32 v10, v8
	v_cvt_f32_f16_sdwa v11, v8 dst_sel:DWORD dst_unused:UNUSED_PAD src0_sel:WORD_1
	v_cvt_f32_f16_e32 v8, v9
	v_cvt_f32_f16_sdwa v9, v9 dst_sel:DWORD dst_unused:UNUSED_PAD src0_sel:WORD_1
	v_pk_fma_f32 v[4:5], v[0:1], v[4:5], 0 op_sel_hi:[0,1,0]
	v_mov_b32_e32 v0, v1
	v_pk_fma_f32 v[0:1], v[0:1], v[2:3], v[4:5] op_sel_hi:[0,1,1]
	v_pk_fma_f32 v[0:1], v[6:7], v[10:11], v[0:1] op_sel_hi:[0,1,1]
	v_mov_b32_e32 v2, v7
	v_add_u32_e32 v12, 0x1500, v12
	v_pk_fma_f32 v[0:1], v[2:3], v[8:9], v[0:1] op_sel_hi:[0,1,1]
	global_store_dwordx2 v12, v[0:1], s[2:3] offset:256
	v_add_u32_e32 v12, v35, v29
	v_and_b32_e32 v10, 7, v53
	v_lshlrev_b32_e32 v0, 2, v12
	v_and_b32_e32 v1, 15, v12
	v_lshl_add_u32 v13, v10, 2, 0
	v_and_or_b32 v2, v0, s5, v1
	v_mad_u32_u24 v0, v2, s4, v13
	v_add_u32_e32 v8, 0xc0, v0
	ds_read2st64_b32 v[0:1], v8 offset1:15
	v_mad_u32_u24 v2, v2, s4, 0
	v_add_u32_e32 v6, 0xe0, v2
	ds_read2st64_b32 v[2:3], v6 offset1:15
	ds_read2st64_b32 v[6:7], v6 offset0:30 offset1:45
	ds_read2st64_b32 v[8:9], v8 offset0:30 offset1:45
	s_waitcnt lgkmcnt(3)
	v_cvt_f32_f16_e32 v4, v0
	v_cvt_f32_f16_sdwa v5, v0 dst_sel:DWORD dst_unused:UNUSED_PAD src0_sel:WORD_1
	v_mul_u32_u24_e32 v11, 56, v12
	v_cvt_f32_f16_e32 v0, v1
	v_cvt_f32_f16_sdwa v1, v1 dst_sel:DWORD dst_unused:UNUSED_PAD src0_sel:WORD_1
	v_or_b32_e32 v14, v11, v10
	s_waitcnt lgkmcnt(0)
	v_cvt_f32_f16_e32 v10, v8
	v_cvt_f32_f16_sdwa v11, v8 dst_sel:DWORD dst_unused:UNUSED_PAD src0_sel:WORD_1
	v_cvt_f32_f16_e32 v8, v9
	v_cvt_f32_f16_sdwa v9, v9 dst_sel:DWORD dst_unused:UNUSED_PAD src0_sel:WORD_1
	v_pk_fma_f32 v[4:5], v[2:3], v[4:5], 0 op_sel_hi:[0,1,0]
	v_mov_b32_e32 v2, v3
	v_pk_fma_f32 v[0:1], v[2:3], v[0:1], v[4:5] op_sel_hi:[0,1,1]
	v_pk_fma_f32 v[0:1], v[6:7], v[10:11], v[0:1] op_sel_hi:[0,1,1]
	v_mov_b32_e32 v2, v7
	v_pk_fma_f32 v[0:1], v[2:3], v[8:9], v[0:1] op_sel_hi:[0,1,1]
	v_add_u32_e32 v2, 8, v12
	v_lshlrev_b32_e32 v3, 2, v2
	v_and_b32_e32 v2, 15, v2
	s_movk_i32 s5, 0x7fc0
	v_and_or_b32 v4, v3, s5, v2
	v_mad_u32_u24 v2, v4, s4, v13
	v_lshlrev_b32_e32 v10, 3, v14
	v_add_u32_e32 v8, 0xc0, v2
	ds_read2st64_b32 v[2:3], v8 offset1:15
	global_store_dwordx2 v10, v[0:1], s[2:3] offset:384
	v_mad_u32_u24 v0, v4, s4, 0
	v_add_u32_e32 v6, 0xe0, v0
	ds_read2st64_b32 v[0:1], v6 offset1:15
	ds_read2st64_b32 v[6:7], v6 offset0:30 offset1:45
	ds_read2st64_b32 v[8:9], v8 offset0:30 offset1:45
	s_waitcnt lgkmcnt(3)
	v_cvt_f32_f16_e32 v4, v2
	v_cvt_f32_f16_sdwa v5, v2 dst_sel:DWORD dst_unused:UNUSED_PAD src0_sel:WORD_1
	v_cvt_f32_f16_e32 v2, v3
	v_cvt_f32_f16_sdwa v3, v3 dst_sel:DWORD dst_unused:UNUSED_PAD src0_sel:WORD_1
	v_add_u32_e32 v12, 0xe00, v10
	s_waitcnt lgkmcnt(0)
	v_cvt_f32_f16_e32 v10, v8
	v_cvt_f32_f16_sdwa v11, v8 dst_sel:DWORD dst_unused:UNUSED_PAD src0_sel:WORD_1
	v_cvt_f32_f16_e32 v8, v9
	v_cvt_f32_f16_sdwa v9, v9 dst_sel:DWORD dst_unused:UNUSED_PAD src0_sel:WORD_1
	v_pk_fma_f32 v[4:5], v[0:1], v[4:5], 0 op_sel_hi:[0,1,0]
	v_mov_b32_e32 v0, v1
	v_pk_fma_f32 v[0:1], v[0:1], v[2:3], v[4:5] op_sel_hi:[0,1,1]
	v_pk_fma_f32 v[0:1], v[6:7], v[10:11], v[0:1] op_sel_hi:[0,1,1]
	v_mov_b32_e32 v2, v7
	v_pk_fma_f32 v[0:1], v[2:3], v[8:9], v[0:1] op_sel_hi:[0,1,1]
	global_store_dwordx2 v12, v[0:1], s[2:3] offset:384
.LBB19_319:
	s_or_b64 exec, exec, s[0:1]
	s_barrier
	s_endpgm
	.section	.rodata,"a",@progbits
	.p2align	6, 0x0
	.amdhsa_kernel _ZL18flash_attn_ext_f16ILi112ELi112ELi16ELi1ELb0ELb0EEvPKcS1_S1_S1_S1_PKiPfP15HIP_vector_typeIfLj2EEffffjfiS5_IjLj3EEiiiiiiiiiiiliiliiiiil
		.amdhsa_group_segment_fixed_size 0
		.amdhsa_private_segment_fixed_size 32
		.amdhsa_kernarg_size 464
		.amdhsa_user_sgpr_count 2
		.amdhsa_user_sgpr_dispatch_ptr 0
		.amdhsa_user_sgpr_queue_ptr 0
		.amdhsa_user_sgpr_kernarg_segment_ptr 1
		.amdhsa_user_sgpr_dispatch_id 0
		.amdhsa_user_sgpr_kernarg_preload_length 0
		.amdhsa_user_sgpr_kernarg_preload_offset 0
		.amdhsa_user_sgpr_private_segment_size 0
		.amdhsa_uses_dynamic_stack 0
		.amdhsa_enable_private_segment 1
		.amdhsa_system_sgpr_workgroup_id_x 1
		.amdhsa_system_sgpr_workgroup_id_y 0
		.amdhsa_system_sgpr_workgroup_id_z 0
		.amdhsa_system_sgpr_workgroup_info 0
		.amdhsa_system_vgpr_workitem_id 1
		.amdhsa_next_free_vgpr 223
		.amdhsa_next_free_sgpr 100
		.amdhsa_accum_offset 224
		.amdhsa_reserve_vcc 1
		.amdhsa_float_round_mode_32 0
		.amdhsa_float_round_mode_16_64 0
		.amdhsa_float_denorm_mode_32 3
		.amdhsa_float_denorm_mode_16_64 3
		.amdhsa_dx10_clamp 1
		.amdhsa_ieee_mode 1
		.amdhsa_fp16_overflow 0
		.amdhsa_tg_split 0
		.amdhsa_exception_fp_ieee_invalid_op 0
		.amdhsa_exception_fp_denorm_src 0
		.amdhsa_exception_fp_ieee_div_zero 0
		.amdhsa_exception_fp_ieee_overflow 0
		.amdhsa_exception_fp_ieee_underflow 0
		.amdhsa_exception_fp_ieee_inexact 0
		.amdhsa_exception_int_div_zero 0
	.end_amdhsa_kernel
	.section	.text._ZL18flash_attn_ext_f16ILi112ELi112ELi16ELi1ELb0ELb0EEvPKcS1_S1_S1_S1_PKiPfP15HIP_vector_typeIfLj2EEffffjfiS5_IjLj3EEiiiiiiiiiiiliiliiiiil,"axG",@progbits,_ZL18flash_attn_ext_f16ILi112ELi112ELi16ELi1ELb0ELb0EEvPKcS1_S1_S1_S1_PKiPfP15HIP_vector_typeIfLj2EEffffjfiS5_IjLj3EEiiiiiiiiiiiliiliiiiil,comdat
.Lfunc_end19:
	.size	_ZL18flash_attn_ext_f16ILi112ELi112ELi16ELi1ELb0ELb0EEvPKcS1_S1_S1_S1_PKiPfP15HIP_vector_typeIfLj2EEffffjfiS5_IjLj3EEiiiiiiiiiiiliiliiiiil, .Lfunc_end19-_ZL18flash_attn_ext_f16ILi112ELi112ELi16ELi1ELb0ELb0EEvPKcS1_S1_S1_S1_PKiPfP15HIP_vector_typeIfLj2EEffffjfiS5_IjLj3EEiiiiiiiiiiiliiliiiiil
                                        ; -- End function
	.set _ZL18flash_attn_ext_f16ILi112ELi112ELi16ELi1ELb0ELb0EEvPKcS1_S1_S1_S1_PKiPfP15HIP_vector_typeIfLj2EEffffjfiS5_IjLj3EEiiiiiiiiiiiliiliiiiil.num_vgpr, 223
	.set _ZL18flash_attn_ext_f16ILi112ELi112ELi16ELi1ELb0ELb0EEvPKcS1_S1_S1_S1_PKiPfP15HIP_vector_typeIfLj2EEffffjfiS5_IjLj3EEiiiiiiiiiiiliiliiiiil.num_agpr, 0
	.set _ZL18flash_attn_ext_f16ILi112ELi112ELi16ELi1ELb0ELb0EEvPKcS1_S1_S1_S1_PKiPfP15HIP_vector_typeIfLj2EEffffjfiS5_IjLj3EEiiiiiiiiiiiliiliiiiil.numbered_sgpr, 100
	.set _ZL18flash_attn_ext_f16ILi112ELi112ELi16ELi1ELb0ELb0EEvPKcS1_S1_S1_S1_PKiPfP15HIP_vector_typeIfLj2EEffffjfiS5_IjLj3EEiiiiiiiiiiiliiliiiiil.num_named_barrier, 0
	.set _ZL18flash_attn_ext_f16ILi112ELi112ELi16ELi1ELb0ELb0EEvPKcS1_S1_S1_S1_PKiPfP15HIP_vector_typeIfLj2EEffffjfiS5_IjLj3EEiiiiiiiiiiiliiliiiiil.private_seg_size, 32
	.set _ZL18flash_attn_ext_f16ILi112ELi112ELi16ELi1ELb0ELb0EEvPKcS1_S1_S1_S1_PKiPfP15HIP_vector_typeIfLj2EEffffjfiS5_IjLj3EEiiiiiiiiiiiliiliiiiil.uses_vcc, 1
	.set _ZL18flash_attn_ext_f16ILi112ELi112ELi16ELi1ELb0ELb0EEvPKcS1_S1_S1_S1_PKiPfP15HIP_vector_typeIfLj2EEffffjfiS5_IjLj3EEiiiiiiiiiiiliiliiiiil.uses_flat_scratch, 0
	.set _ZL18flash_attn_ext_f16ILi112ELi112ELi16ELi1ELb0ELb0EEvPKcS1_S1_S1_S1_PKiPfP15HIP_vector_typeIfLj2EEffffjfiS5_IjLj3EEiiiiiiiiiiiliiliiiiil.has_dyn_sized_stack, 0
	.set _ZL18flash_attn_ext_f16ILi112ELi112ELi16ELi1ELb0ELb0EEvPKcS1_S1_S1_S1_PKiPfP15HIP_vector_typeIfLj2EEffffjfiS5_IjLj3EEiiiiiiiiiiiliiliiiiil.has_recursion, 0
	.set _ZL18flash_attn_ext_f16ILi112ELi112ELi16ELi1ELb0ELb0EEvPKcS1_S1_S1_S1_PKiPfP15HIP_vector_typeIfLj2EEffffjfiS5_IjLj3EEiiiiiiiiiiiliiliiiiil.has_indirect_call, 0
	.section	.AMDGPU.csdata,"",@progbits
; Kernel info:
; codeLenInByte = 42880
; TotalNumSgprs: 106
; NumVgprs: 223
; NumAgprs: 0
; TotalNumVgprs: 223
; ScratchSize: 32
; MemoryBound: 0
; FloatMode: 240
; IeeeMode: 1
; LDSByteSize: 0 bytes/workgroup (compile time only)
; SGPRBlocks: 13
; VGPRBlocks: 27
; NumSGPRsForWavesPerEU: 106
; NumVGPRsForWavesPerEU: 223
; AccumOffset: 224
; Occupancy: 2
; WaveLimiterHint : 1
; COMPUTE_PGM_RSRC2:SCRATCH_EN: 1
; COMPUTE_PGM_RSRC2:USER_SGPR: 2
; COMPUTE_PGM_RSRC2:TRAP_HANDLER: 0
; COMPUTE_PGM_RSRC2:TGID_X_EN: 1
; COMPUTE_PGM_RSRC2:TGID_Y_EN: 0
; COMPUTE_PGM_RSRC2:TGID_Z_EN: 0
; COMPUTE_PGM_RSRC2:TIDIG_COMP_CNT: 1
; COMPUTE_PGM_RSRC3_GFX90A:ACCUM_OFFSET: 55
; COMPUTE_PGM_RSRC3_GFX90A:TG_SPLIT: 0
	.section	.text._ZL18flash_attn_ext_f16ILi112ELi112ELi16ELi1ELb1ELb0EEvPKcS1_S1_S1_S1_PKiPfP15HIP_vector_typeIfLj2EEffffjfiS5_IjLj3EEiiiiiiiiiiiliiliiiiil,"axG",@progbits,_ZL18flash_attn_ext_f16ILi112ELi112ELi16ELi1ELb1ELb0EEvPKcS1_S1_S1_S1_PKiPfP15HIP_vector_typeIfLj2EEffffjfiS5_IjLj3EEiiiiiiiiiiiliiliiiiil,comdat
	.globl	_ZL18flash_attn_ext_f16ILi112ELi112ELi16ELi1ELb1ELb0EEvPKcS1_S1_S1_S1_PKiPfP15HIP_vector_typeIfLj2EEffffjfiS5_IjLj3EEiiiiiiiiiiiliiliiiiil ; -- Begin function _ZL18flash_attn_ext_f16ILi112ELi112ELi16ELi1ELb1ELb0EEvPKcS1_S1_S1_S1_PKiPfP15HIP_vector_typeIfLj2EEffffjfiS5_IjLj3EEiiiiiiiiiiiliiliiiiil
	.p2align	8
	.type	_ZL18flash_attn_ext_f16ILi112ELi112ELi16ELi1ELb1ELb0EEvPKcS1_S1_S1_S1_PKiPfP15HIP_vector_typeIfLj2EEffffjfiS5_IjLj3EEiiiiiiiiiiiliiliiiiil,@function
_ZL18flash_attn_ext_f16ILi112ELi112ELi16ELi1ELb1ELb0EEvPKcS1_S1_S1_S1_PKiPfP15HIP_vector_typeIfLj2EEffffjfiS5_IjLj3EEiiiiiiiiiiiliiliiiiil: ; @_ZL18flash_attn_ext_f16ILi112ELi112ELi16ELi1ELb1ELb0EEvPKcS1_S1_S1_S1_PKiPfP15HIP_vector_typeIfLj2EEffffjfiS5_IjLj3EEiiiiiiiiiiiliiliiiiil
; %bb.0:
	s_add_u32 s8, s0, 0xd0
	s_addc_u32 s9, s1, 0
	s_getpc_b64 s[0:1]
	s_add_u32 s0, s0, _ZL14no_device_codePKciS0_iS0_@rel32@lo+4
	s_addc_u32 s1, s1, _ZL14no_device_codePKciS0_iS0_@rel32@hi+12
	s_mov_b32 s32, 0
	s_swappc_b64 s[30:31], s[0:1]
	.section	.rodata,"a",@progbits
	.p2align	6, 0x0
	.amdhsa_kernel _ZL18flash_attn_ext_f16ILi112ELi112ELi16ELi1ELb1ELb0EEvPKcS1_S1_S1_S1_PKiPfP15HIP_vector_typeIfLj2EEffffjfiS5_IjLj3EEiiiiiiiiiiiliiliiiiil
		.amdhsa_group_segment_fixed_size 0
		.amdhsa_private_segment_fixed_size 16
		.amdhsa_kernarg_size 464
		.amdhsa_user_sgpr_count 2
		.amdhsa_user_sgpr_dispatch_ptr 0
		.amdhsa_user_sgpr_queue_ptr 0
		.amdhsa_user_sgpr_kernarg_segment_ptr 1
		.amdhsa_user_sgpr_dispatch_id 0
		.amdhsa_user_sgpr_kernarg_preload_length 0
		.amdhsa_user_sgpr_kernarg_preload_offset 0
		.amdhsa_user_sgpr_private_segment_size 0
		.amdhsa_uses_dynamic_stack 0
		.amdhsa_enable_private_segment 1
		.amdhsa_system_sgpr_workgroup_id_x 1
		.amdhsa_system_sgpr_workgroup_id_y 0
		.amdhsa_system_sgpr_workgroup_id_z 0
		.amdhsa_system_sgpr_workgroup_info 0
		.amdhsa_system_vgpr_workitem_id 0
		.amdhsa_next_free_vgpr 50
		.amdhsa_next_free_sgpr 34
		.amdhsa_accum_offset 52
		.amdhsa_reserve_vcc 1
		.amdhsa_float_round_mode_32 0
		.amdhsa_float_round_mode_16_64 0
		.amdhsa_float_denorm_mode_32 3
		.amdhsa_float_denorm_mode_16_64 3
		.amdhsa_dx10_clamp 1
		.amdhsa_ieee_mode 1
		.amdhsa_fp16_overflow 0
		.amdhsa_tg_split 0
		.amdhsa_exception_fp_ieee_invalid_op 0
		.amdhsa_exception_fp_denorm_src 0
		.amdhsa_exception_fp_ieee_div_zero 0
		.amdhsa_exception_fp_ieee_overflow 0
		.amdhsa_exception_fp_ieee_underflow 0
		.amdhsa_exception_fp_ieee_inexact 0
		.amdhsa_exception_int_div_zero 0
	.end_amdhsa_kernel
	.section	.text._ZL18flash_attn_ext_f16ILi112ELi112ELi16ELi1ELb1ELb0EEvPKcS1_S1_S1_S1_PKiPfP15HIP_vector_typeIfLj2EEffffjfiS5_IjLj3EEiiiiiiiiiiiliiliiiiil,"axG",@progbits,_ZL18flash_attn_ext_f16ILi112ELi112ELi16ELi1ELb1ELb0EEvPKcS1_S1_S1_S1_PKiPfP15HIP_vector_typeIfLj2EEffffjfiS5_IjLj3EEiiiiiiiiiiiliiliiiiil,comdat
.Lfunc_end20:
	.size	_ZL18flash_attn_ext_f16ILi112ELi112ELi16ELi1ELb1ELb0EEvPKcS1_S1_S1_S1_PKiPfP15HIP_vector_typeIfLj2EEffffjfiS5_IjLj3EEiiiiiiiiiiiliiliiiiil, .Lfunc_end20-_ZL18flash_attn_ext_f16ILi112ELi112ELi16ELi1ELb1ELb0EEvPKcS1_S1_S1_S1_PKiPfP15HIP_vector_typeIfLj2EEffffjfiS5_IjLj3EEiiiiiiiiiiiliiliiiiil
                                        ; -- End function
	.set _ZL18flash_attn_ext_f16ILi112ELi112ELi16ELi1ELb1ELb0EEvPKcS1_S1_S1_S1_PKiPfP15HIP_vector_typeIfLj2EEffffjfiS5_IjLj3EEiiiiiiiiiiiliiliiiiil.num_vgpr, max(0, .L_ZL14no_device_codePKciS0_iS0_.num_vgpr)
	.set _ZL18flash_attn_ext_f16ILi112ELi112ELi16ELi1ELb1ELb0EEvPKcS1_S1_S1_S1_PKiPfP15HIP_vector_typeIfLj2EEffffjfiS5_IjLj3EEiiiiiiiiiiiliiliiiiil.num_agpr, max(0, .L_ZL14no_device_codePKciS0_iS0_.num_agpr)
	.set _ZL18flash_attn_ext_f16ILi112ELi112ELi16ELi1ELb1ELb0EEvPKcS1_S1_S1_S1_PKiPfP15HIP_vector_typeIfLj2EEffffjfiS5_IjLj3EEiiiiiiiiiiiliiliiiiil.numbered_sgpr, max(33, .L_ZL14no_device_codePKciS0_iS0_.numbered_sgpr)
	.set _ZL18flash_attn_ext_f16ILi112ELi112ELi16ELi1ELb1ELb0EEvPKcS1_S1_S1_S1_PKiPfP15HIP_vector_typeIfLj2EEffffjfiS5_IjLj3EEiiiiiiiiiiiliiliiiiil.num_named_barrier, max(0, .L_ZL14no_device_codePKciS0_iS0_.num_named_barrier)
	.set _ZL18flash_attn_ext_f16ILi112ELi112ELi16ELi1ELb1ELb0EEvPKcS1_S1_S1_S1_PKiPfP15HIP_vector_typeIfLj2EEffffjfiS5_IjLj3EEiiiiiiiiiiiliiliiiiil.private_seg_size, 0+max(.L_ZL14no_device_codePKciS0_iS0_.private_seg_size)
	.set _ZL18flash_attn_ext_f16ILi112ELi112ELi16ELi1ELb1ELb0EEvPKcS1_S1_S1_S1_PKiPfP15HIP_vector_typeIfLj2EEffffjfiS5_IjLj3EEiiiiiiiiiiiliiliiiiil.uses_vcc, or(1, .L_ZL14no_device_codePKciS0_iS0_.uses_vcc)
	.set _ZL18flash_attn_ext_f16ILi112ELi112ELi16ELi1ELb1ELb0EEvPKcS1_S1_S1_S1_PKiPfP15HIP_vector_typeIfLj2EEffffjfiS5_IjLj3EEiiiiiiiiiiiliiliiiiil.uses_flat_scratch, or(0, .L_ZL14no_device_codePKciS0_iS0_.uses_flat_scratch)
	.set _ZL18flash_attn_ext_f16ILi112ELi112ELi16ELi1ELb1ELb0EEvPKcS1_S1_S1_S1_PKiPfP15HIP_vector_typeIfLj2EEffffjfiS5_IjLj3EEiiiiiiiiiiiliiliiiiil.has_dyn_sized_stack, or(0, .L_ZL14no_device_codePKciS0_iS0_.has_dyn_sized_stack)
	.set _ZL18flash_attn_ext_f16ILi112ELi112ELi16ELi1ELb1ELb0EEvPKcS1_S1_S1_S1_PKiPfP15HIP_vector_typeIfLj2EEffffjfiS5_IjLj3EEiiiiiiiiiiiliiliiiiil.has_recursion, or(0, .L_ZL14no_device_codePKciS0_iS0_.has_recursion)
	.set _ZL18flash_attn_ext_f16ILi112ELi112ELi16ELi1ELb1ELb0EEvPKcS1_S1_S1_S1_PKiPfP15HIP_vector_typeIfLj2EEffffjfiS5_IjLj3EEiiiiiiiiiiiliiliiiiil.has_indirect_call, or(0, .L_ZL14no_device_codePKciS0_iS0_.has_indirect_call)
	.section	.AMDGPU.csdata,"",@progbits
; Kernel info:
; codeLenInByte = 40
; TotalNumSgprs: 40
; NumVgprs: 50
; NumAgprs: 0
; TotalNumVgprs: 50
; ScratchSize: 16
; MemoryBound: 0
; FloatMode: 240
; IeeeMode: 1
; LDSByteSize: 0 bytes/workgroup (compile time only)
; SGPRBlocks: 4
; VGPRBlocks: 6
; NumSGPRsForWavesPerEU: 40
; NumVGPRsForWavesPerEU: 50
; AccumOffset: 52
; Occupancy: 8
; WaveLimiterHint : 1
; COMPUTE_PGM_RSRC2:SCRATCH_EN: 1
; COMPUTE_PGM_RSRC2:USER_SGPR: 2
; COMPUTE_PGM_RSRC2:TRAP_HANDLER: 0
; COMPUTE_PGM_RSRC2:TGID_X_EN: 1
; COMPUTE_PGM_RSRC2:TGID_Y_EN: 0
; COMPUTE_PGM_RSRC2:TGID_Z_EN: 0
; COMPUTE_PGM_RSRC2:TIDIG_COMP_CNT: 0
; COMPUTE_PGM_RSRC3_GFX90A:ACCUM_OFFSET: 12
; COMPUTE_PGM_RSRC3_GFX90A:TG_SPLIT: 0
	.section	.text._ZL33flash_attn_stream_k_fixup_uniformILi112ELi16ELi1EEvPfPK15HIP_vector_typeIfLj2EEiiiiiiS1_IjLj3EES5_S5_,"axG",@progbits,_ZL33flash_attn_stream_k_fixup_uniformILi112ELi16ELi1EEvPfPK15HIP_vector_typeIfLj2EEiiiiiiS1_IjLj3EES5_S5_,comdat
	.globl	_ZL33flash_attn_stream_k_fixup_uniformILi112ELi16ELi1EEvPfPK15HIP_vector_typeIfLj2EEiiiiiiS1_IjLj3EES5_S5_ ; -- Begin function _ZL33flash_attn_stream_k_fixup_uniformILi112ELi16ELi1EEvPfPK15HIP_vector_typeIfLj2EEiiiiiiS1_IjLj3EES5_S5_
	.p2align	8
	.type	_ZL33flash_attn_stream_k_fixup_uniformILi112ELi16ELi1EEvPfPK15HIP_vector_typeIfLj2EEiiiiiiS1_IjLj3EES5_S5_,@function
_ZL33flash_attn_stream_k_fixup_uniformILi112ELi16ELi1EEvPfPK15HIP_vector_typeIfLj2EEiiiiiiS1_IjLj3EES5_S5_: ; @_ZL33flash_attn_stream_k_fixup_uniformILi112ELi16ELi1EEvPfPK15HIP_vector_typeIfLj2EEiiiiiiS1_IjLj3EES5_S5_
; %bb.0:
	s_load_dwordx8 s[8:15], s[0:1], 0x1c
	s_load_dwordx2 s[6:7], s[0:1], 0x10
	s_load_dwordx4 s[16:19], s[0:1], 0x3c
	s_waitcnt lgkmcnt(0)
	s_mul_hi_u32 s5, s11, s2
	s_add_i32 s5, s2, s5
	s_lshr_b32 s5, s5, s12
	s_mul_i32 s11, s5, s13
	s_sub_i32 s12, s2, s11
	s_mul_hi_u32 s11, s12, s14
	s_add_i32 s11, s12, s11
	s_lshr_b32 s11, s11, s15
	s_mul_i32 s13, s11, s16
	s_sub_i32 s12, s12, s13
	;; [unrolled: 5-line block ×3, first 2 shown]
	s_lshl_b32 s12, s17, 4
	s_add_i32 s12, s12, s3
	s_cmp_lt_i32 s12, s6
	s_cselect_b64 s[12:13], -1, 0
	s_add_i32 s16, s16, s4
	s_cmp_lt_i32 s16, s9
	s_cselect_b64 s[14:15], -1, 0
	s_and_b64 s[12:13], s[12:13], s[14:15]
	s_andn2_b64 vcc, exec, s[12:13]
	s_cbranch_vccnz .LBB21_6
; %bb.1:
	s_load_dwordx4 s[12:15], s[0:1], 0x0
	s_mul_i32 s0, s5, s6
	s_mul_i32 s11, s11, s9
	s_add_i32 s0, s0, s3
	s_mul_i32 s0, s0, s7
	s_add_i32 s5, s16, s11
	s_mul_i32 s1, s7, s17
	s_add_i32 s0, s5, s0
	s_mulk_i32 s1, 0x700
	s_mulk_i32 s0, 0x70
	s_add_i32 s0, s0, s1
	v_add_u32_e32 v4, s0, v0
	s_waitcnt lgkmcnt(0)
	v_mov_b32_e32 v2, s12
	v_mov_b32_e32 v3, s13
	v_ashrrev_i32_e32 v5, 31, v4
	v_lshl_add_u64 v[2:3], v[4:5], 2, v[2:3]
	global_load_dword v5, v[2:3], off
	s_mul_i32 s6, s10, s2
	s_add_i32 s7, s6, s10
	s_add_i32 s3, s3, s4
	s_lshl_b32 s0, s7, 4
	s_add_i32 s0, s3, s0
	s_add_i32 s0, s0, -16
	s_ashr_i32 s1, s0, 31
	s_lshl_b64 s[0:1], s[0:1], 3
	s_add_u32 s0, s14, s0
	s_addc_u32 s1, s15, s1
	s_load_dword s9, s[0:1], 0x4
	s_add_i32 s4, s7, -2
	s_cmp_lt_i32 s4, s6
	s_cbranch_scc1 .LBB21_4
; %bb.2:
	s_lshl_b32 s4, s8, 6
	s_ashr_i32 s5, s4, 31
	s_lshl_b64 s[4:5], s[4:5], 2
	s_add_u32 s4, s14, s4
	s_addc_u32 s5, s15, s5
	s_load_dword s0, s[0:1], 0x0
	s_add_i32 s2, s2, 1
	s_mul_i32 s10, s10, s2
	s_mul_i32 s1, s3, 0x70
	s_lshl_b32 s2, s10, 4
	s_mulk_i32 s10, 0x700
	s_add_i32 s2, s3, s2
	s_lshl_b32 s3, s8, 4
	s_add_i32 s1, s1, s10
	s_add_i32 s2, s2, s3
	v_add_u32_e32 v0, s1, v0
	s_add_i32 s7, s7, -1
	s_sub_i32 s2, s2, 32
	v_add_u32_e32 v0, 0xfffff200, v0
	s_waitcnt lgkmcnt(0)
	v_mov_b32_e32 v7, s0
	v_mov_b32_e32 v4, s9
	s_mov_b32 s8, 0x3fb8aa3b
	s_mov_b32 s9, 0xc2ce8ed0
	;; [unrolled: 1-line block ×3, first 2 shown]
	v_mov_b32_e32 v6, 0x7f800000
	s_mov_b32 s11, 0xc1a00000
.LBB21_3:                               ; =>This Inner Loop Header: Depth=1
	v_ashrrev_i32_e32 v1, 31, v0
	v_lshl_add_u64 v[8:9], v[0:1], 2, s[4:5]
	global_load_dword v9, v[8:9], off
	s_ashr_i32 s3, s2, 31
	s_lshl_b64 s[0:1], s[2:3], 3
	s_add_u32 s0, s14, s0
	s_addc_u32 s1, s15, s1
	s_load_dwordx2 s[0:1], s[0:1], 0x0
	v_max_f32_e32 v1, v7, v7
	s_add_i32 s7, s7, -1
	s_add_i32 s2, s2, -16
	v_add_u32_e32 v0, 0xfffff900, v0
	s_waitcnt lgkmcnt(0)
	v_max_f32_e64 v10, s0, s0
	v_max_f32_e32 v1, v1, v10
	v_sub_f32_e32 v11, s0, v1
	v_sub_f32_e32 v10, v7, v1
	v_mul_f32_e32 v12, 0x3fb8aa3b, v11
	v_mov_b32_e32 v7, v1
	v_mul_f32_e32 v1, 0x3fb8aa3b, v10
	v_fma_f32 v15, v11, s8, -v12
	v_rndne_f32_e32 v16, v12
	v_fma_f32 v13, v10, s8, -v1
	v_rndne_f32_e32 v14, v1
	v_fmac_f32_e32 v15, 0x32a5705f, v11
	v_sub_f32_e32 v12, v12, v16
	v_fmac_f32_e32 v13, 0x32a5705f, v10
	v_sub_f32_e32 v1, v1, v14
	v_add_f32_e32 v12, v12, v15
	v_cvt_i32_f32_e32 v16, v16
	v_add_f32_e32 v1, v1, v13
	v_exp_f32_e32 v12, v12
	v_cvt_i32_f32_e32 v14, v14
	v_exp_f32_e32 v1, v1
	v_cmp_ngt_f32_e32 vcc, s9, v11
	v_ldexp_f32 v12, v12, v16
	v_mov_b32_e32 v8, s1
	v_ldexp_f32 v1, v1, v14
	v_cmp_ngt_f32_e64 s[0:1], s9, v10
	v_cndmask_b32_e32 v12, 0, v12, vcc
	v_cmp_nlt_f32_e32 vcc, s10, v11
	v_cndmask_b32_e64 v1, 0, v1, s[0:1]
	v_cmp_nlt_f32_e64 s[0:1], s10, v10
	v_cndmask_b32_e32 v12, v6, v12, vcc
	v_cmp_le_f32_e32 vcc, s11, v11
	v_cndmask_b32_e64 v1, v6, v1, s[0:1]
	v_cmp_le_f32_e64 s[0:1], s11, v10
	v_cndmask_b32_e32 v12, 0, v12, vcc
	s_cmp_le_i32 s7, s6
	v_cndmask_b32_e64 v10, 0, v1, s[0:1]
	s_waitcnt vmcnt(0)
	v_pk_mul_f32 v[8:9], v[8:9], v[12:13] op_sel_hi:[1,0]
	s_nop 0
	v_pk_fma_f32 v[4:5], v[4:5], v[10:11], v[8:9] op_sel_hi:[1,0,1]
	s_cbranch_scc0 .LBB21_3
	s_branch .LBB21_5
.LBB21_4:
	s_waitcnt lgkmcnt(0)
	v_mov_b32_e32 v4, s9
.LBB21_5:
	s_waitcnt vmcnt(0)
	v_div_scale_f32 v0, s[0:1], v4, v4, v5
	v_rcp_f32_e32 v1, v0
	v_div_scale_f32 v6, vcc, v5, v4, v5
	v_fma_f32 v7, -v0, v1, 1.0
	v_fmac_f32_e32 v1, v7, v1
	v_mul_f32_e32 v7, v6, v1
	v_fma_f32 v8, -v0, v7, v6
	v_fmac_f32_e32 v7, v8, v1
	v_fma_f32 v0, -v0, v7, v6
	v_div_fmas_f32 v0, v0, v1, v7
	v_div_fixup_f32 v0, v0, v4, v5
	global_store_dword v[2:3], v0, off
.LBB21_6:
	s_endpgm
	.section	.rodata,"a",@progbits
	.p2align	6, 0x0
	.amdhsa_kernel _ZL33flash_attn_stream_k_fixup_uniformILi112ELi16ELi1EEvPfPK15HIP_vector_typeIfLj2EEiiiiiiS1_IjLj3EES5_S5_
		.amdhsa_group_segment_fixed_size 0
		.amdhsa_private_segment_fixed_size 0
		.amdhsa_kernarg_size 76
		.amdhsa_user_sgpr_count 2
		.amdhsa_user_sgpr_dispatch_ptr 0
		.amdhsa_user_sgpr_queue_ptr 0
		.amdhsa_user_sgpr_kernarg_segment_ptr 1
		.amdhsa_user_sgpr_dispatch_id 0
		.amdhsa_user_sgpr_kernarg_preload_length 0
		.amdhsa_user_sgpr_kernarg_preload_offset 0
		.amdhsa_user_sgpr_private_segment_size 0
		.amdhsa_uses_dynamic_stack 0
		.amdhsa_enable_private_segment 0
		.amdhsa_system_sgpr_workgroup_id_x 1
		.amdhsa_system_sgpr_workgroup_id_y 1
		.amdhsa_system_sgpr_workgroup_id_z 1
		.amdhsa_system_sgpr_workgroup_info 0
		.amdhsa_system_vgpr_workitem_id 0
		.amdhsa_next_free_vgpr 17
		.amdhsa_next_free_sgpr 20
		.amdhsa_accum_offset 20
		.amdhsa_reserve_vcc 1
		.amdhsa_float_round_mode_32 0
		.amdhsa_float_round_mode_16_64 0
		.amdhsa_float_denorm_mode_32 3
		.amdhsa_float_denorm_mode_16_64 3
		.amdhsa_dx10_clamp 1
		.amdhsa_ieee_mode 1
		.amdhsa_fp16_overflow 0
		.amdhsa_tg_split 0
		.amdhsa_exception_fp_ieee_invalid_op 0
		.amdhsa_exception_fp_denorm_src 0
		.amdhsa_exception_fp_ieee_div_zero 0
		.amdhsa_exception_fp_ieee_overflow 0
		.amdhsa_exception_fp_ieee_underflow 0
		.amdhsa_exception_fp_ieee_inexact 0
		.amdhsa_exception_int_div_zero 0
	.end_amdhsa_kernel
	.section	.text._ZL33flash_attn_stream_k_fixup_uniformILi112ELi16ELi1EEvPfPK15HIP_vector_typeIfLj2EEiiiiiiS1_IjLj3EES5_S5_,"axG",@progbits,_ZL33flash_attn_stream_k_fixup_uniformILi112ELi16ELi1EEvPfPK15HIP_vector_typeIfLj2EEiiiiiiS1_IjLj3EES5_S5_,comdat
.Lfunc_end21:
	.size	_ZL33flash_attn_stream_k_fixup_uniformILi112ELi16ELi1EEvPfPK15HIP_vector_typeIfLj2EEiiiiiiS1_IjLj3EES5_S5_, .Lfunc_end21-_ZL33flash_attn_stream_k_fixup_uniformILi112ELi16ELi1EEvPfPK15HIP_vector_typeIfLj2EEiiiiiiS1_IjLj3EES5_S5_
                                        ; -- End function
	.set _ZL33flash_attn_stream_k_fixup_uniformILi112ELi16ELi1EEvPfPK15HIP_vector_typeIfLj2EEiiiiiiS1_IjLj3EES5_S5_.num_vgpr, 17
	.set _ZL33flash_attn_stream_k_fixup_uniformILi112ELi16ELi1EEvPfPK15HIP_vector_typeIfLj2EEiiiiiiS1_IjLj3EES5_S5_.num_agpr, 0
	.set _ZL33flash_attn_stream_k_fixup_uniformILi112ELi16ELi1EEvPfPK15HIP_vector_typeIfLj2EEiiiiiiS1_IjLj3EES5_S5_.numbered_sgpr, 20
	.set _ZL33flash_attn_stream_k_fixup_uniformILi112ELi16ELi1EEvPfPK15HIP_vector_typeIfLj2EEiiiiiiS1_IjLj3EES5_S5_.num_named_barrier, 0
	.set _ZL33flash_attn_stream_k_fixup_uniformILi112ELi16ELi1EEvPfPK15HIP_vector_typeIfLj2EEiiiiiiS1_IjLj3EES5_S5_.private_seg_size, 0
	.set _ZL33flash_attn_stream_k_fixup_uniformILi112ELi16ELi1EEvPfPK15HIP_vector_typeIfLj2EEiiiiiiS1_IjLj3EES5_S5_.uses_vcc, 1
	.set _ZL33flash_attn_stream_k_fixup_uniformILi112ELi16ELi1EEvPfPK15HIP_vector_typeIfLj2EEiiiiiiS1_IjLj3EES5_S5_.uses_flat_scratch, 0
	.set _ZL33flash_attn_stream_k_fixup_uniformILi112ELi16ELi1EEvPfPK15HIP_vector_typeIfLj2EEiiiiiiS1_IjLj3EES5_S5_.has_dyn_sized_stack, 0
	.set _ZL33flash_attn_stream_k_fixup_uniformILi112ELi16ELi1EEvPfPK15HIP_vector_typeIfLj2EEiiiiiiS1_IjLj3EES5_S5_.has_recursion, 0
	.set _ZL33flash_attn_stream_k_fixup_uniformILi112ELi16ELi1EEvPfPK15HIP_vector_typeIfLj2EEiiiiiiS1_IjLj3EES5_S5_.has_indirect_call, 0
	.section	.AMDGPU.csdata,"",@progbits
; Kernel info:
; codeLenInByte = 816
; TotalNumSgprs: 26
; NumVgprs: 17
; NumAgprs: 0
; TotalNumVgprs: 17
; ScratchSize: 0
; MemoryBound: 0
; FloatMode: 240
; IeeeMode: 1
; LDSByteSize: 0 bytes/workgroup (compile time only)
; SGPRBlocks: 3
; VGPRBlocks: 2
; NumSGPRsForWavesPerEU: 26
; NumVGPRsForWavesPerEU: 17
; AccumOffset: 20
; Occupancy: 8
; WaveLimiterHint : 0
; COMPUTE_PGM_RSRC2:SCRATCH_EN: 0
; COMPUTE_PGM_RSRC2:USER_SGPR: 2
; COMPUTE_PGM_RSRC2:TRAP_HANDLER: 0
; COMPUTE_PGM_RSRC2:TGID_X_EN: 1
; COMPUTE_PGM_RSRC2:TGID_Y_EN: 1
; COMPUTE_PGM_RSRC2:TGID_Z_EN: 1
; COMPUTE_PGM_RSRC2:TIDIG_COMP_CNT: 0
; COMPUTE_PGM_RSRC3_GFX90A:ACCUM_OFFSET: 4
; COMPUTE_PGM_RSRC3_GFX90A:TG_SPLIT: 0
	.section	.text._ZL33flash_attn_stream_k_fixup_generalILi112ELi16ELi1EEvPfPK15HIP_vector_typeIfLj2EEiiiiS1_IjLj3EES5_S5_S5_,"axG",@progbits,_ZL33flash_attn_stream_k_fixup_generalILi112ELi16ELi1EEvPfPK15HIP_vector_typeIfLj2EEiiiiS1_IjLj3EES5_S5_S5_,comdat
	.globl	_ZL33flash_attn_stream_k_fixup_generalILi112ELi16ELi1EEvPfPK15HIP_vector_typeIfLj2EEiiiiS1_IjLj3EES5_S5_S5_ ; -- Begin function _ZL33flash_attn_stream_k_fixup_generalILi112ELi16ELi1EEvPfPK15HIP_vector_typeIfLj2EEiiiiS1_IjLj3EES5_S5_S5_
	.p2align	8
	.type	_ZL33flash_attn_stream_k_fixup_generalILi112ELi16ELi1EEvPfPK15HIP_vector_typeIfLj2EEiiiiS1_IjLj3EES5_S5_S5_,@function
_ZL33flash_attn_stream_k_fixup_generalILi112ELi16ELi1EEvPfPK15HIP_vector_typeIfLj2EEiiiiS1_IjLj3EES5_S5_S5_: ; @_ZL33flash_attn_stream_k_fixup_generalILi112ELi16ELi1EEvPfPK15HIP_vector_typeIfLj2EEiiiiS1_IjLj3EES5_S5_S5_
; %bb.0:
	s_load_dwordx4 s[8:11], s[0:1], 0x10
	s_load_dword s22, s[0:1], 0x50
	s_mov_b32 s12, 0
	s_waitcnt lgkmcnt(0)
	s_mul_hi_i32 s13, s11, s2
	s_cmp_lg_u64 s[12:13], 0
	s_mul_i32 s5, s11, s2
	s_cbranch_scc0 .LBB22_20
; %bb.1:
	s_add_u32 s6, s22, 0
	s_addc_u32 s7, 0, 0
	s_xor_b64 s[6:7], s[6:7], 0
	v_cvt_f32_u32_e32 v1, s6
	v_cvt_f32_u32_e32 v2, s7
	s_sub_u32 s12, 0, s6
	s_subb_u32 s18, 0, s7
	v_fmamk_f32 v1, v2, 0x4f800000, v1
	v_rcp_f32_e32 v1, v1
	s_nop 0
	v_mul_f32_e32 v1, 0x5f7ffffc, v1
	v_mul_f32_e32 v2, 0x2f800000, v1
	v_trunc_f32_e32 v2, v2
	v_fmamk_f32 v1, v2, 0xcf800000, v1
	v_cvt_u32_f32_e32 v2, v2
	v_cvt_u32_f32_e32 v1, v1
	v_readfirstlane_b32 s19, v2
	v_readfirstlane_b32 s14, v1
	s_mul_i32 s15, s12, s19
	s_mul_hi_u32 s21, s12, s14
	s_mul_i32 s20, s18, s14
	s_add_i32 s15, s21, s15
	s_add_i32 s15, s15, s20
	s_mul_i32 s23, s12, s14
	s_mul_i32 s21, s14, s15
	s_mul_hi_u32 s24, s14, s23
	s_mul_hi_u32 s20, s14, s15
	s_add_u32 s21, s24, s21
	s_addc_u32 s20, 0, s20
	s_mul_hi_u32 s25, s19, s23
	s_mul_i32 s23, s19, s23
	s_add_u32 s21, s21, s23
	s_mul_hi_u32 s24, s19, s15
	s_addc_u32 s20, s20, s25
	s_addc_u32 s21, s24, 0
	s_mul_i32 s15, s19, s15
	s_add_u32 s15, s20, s15
	s_addc_u32 s20, 0, s21
	s_add_u32 s21, s14, s15
	s_cselect_b64 s[14:15], -1, 0
	s_cmp_lg_u64 s[14:15], 0
	s_addc_u32 s19, s19, s20
	s_mul_i32 s14, s12, s19
	s_mul_hi_u32 s15, s12, s21
	s_add_i32 s14, s15, s14
	s_mul_i32 s18, s18, s21
	s_add_i32 s14, s14, s18
	s_mul_i32 s12, s12, s21
	s_mul_hi_u32 s18, s19, s12
	s_mul_i32 s20, s19, s12
	s_mul_i32 s24, s21, s14
	s_mul_hi_u32 s12, s21, s12
	s_mul_hi_u32 s23, s21, s14
	s_add_u32 s12, s12, s24
	s_addc_u32 s23, 0, s23
	s_add_u32 s12, s12, s20
	s_mul_hi_u32 s15, s19, s14
	s_addc_u32 s12, s23, s18
	s_addc_u32 s15, s15, 0
	s_mul_i32 s14, s19, s14
	s_add_u32 s12, s12, s14
	s_addc_u32 s18, 0, s15
	s_add_u32 s20, s21, s12
	s_cselect_b64 s[14:15], -1, 0
	s_cmp_lg_u64 s[14:15], 0
	s_addc_u32 s18, s19, s18
	s_ashr_i32 s14, s13, 31
	s_add_u32 s12, s5, s14
	s_mov_b32 s15, s14
	s_addc_u32 s13, s13, s14
	s_xor_b64 s[12:13], s[12:13], s[14:15]
	s_mul_i32 s21, s12, s18
	s_mul_hi_u32 s23, s12, s20
	s_mul_hi_u32 s19, s12, s18
	s_add_u32 s21, s23, s21
	s_addc_u32 s19, 0, s19
	s_mul_hi_u32 s24, s13, s20
	s_mul_i32 s20, s13, s20
	s_add_u32 s20, s21, s20
	s_mul_hi_u32 s23, s13, s18
	s_addc_u32 s19, s19, s24
	s_addc_u32 s20, s23, 0
	s_mul_i32 s18, s13, s18
	s_add_u32 s23, s19, s18
	s_addc_u32 s24, 0, s20
	s_mul_i32 s18, s6, s24
	s_mul_hi_u32 s19, s6, s23
	s_add_i32 s18, s19, s18
	s_mul_i32 s19, s7, s23
	s_add_i32 s25, s18, s19
	s_sub_i32 s20, s13, s25
	s_mul_i32 s18, s6, s23
	s_sub_u32 s12, s12, s18
	s_cselect_b64 s[18:19], -1, 0
	s_cmp_lg_u64 s[18:19], 0
	s_subb_u32 s26, s20, s7
	s_sub_u32 s27, s12, s6
	s_cselect_b64 s[20:21], -1, 0
	s_cmp_lg_u64 s[20:21], 0
	s_subb_u32 s20, s26, 0
	s_cmp_ge_u32 s20, s7
	s_cselect_b32 s21, -1, 0
	s_cmp_ge_u32 s27, s6
	s_cselect_b32 s26, -1, 0
	s_cmp_eq_u32 s20, s7
	s_cselect_b32 s20, s26, s21
	s_add_u32 s21, s23, 1
	s_addc_u32 s26, s24, 0
	s_add_u32 s27, s23, 2
	s_addc_u32 s28, s24, 0
	s_cmp_lg_u32 s20, 0
	s_cselect_b32 s20, s27, s21
	s_cselect_b32 s21, s28, s26
	s_cmp_lg_u64 s[18:19], 0
	s_subb_u32 s13, s13, s25
	s_cmp_ge_u32 s13, s7
	s_cselect_b32 s18, -1, 0
	s_cmp_ge_u32 s12, s6
	s_cselect_b32 s6, -1, 0
	s_cmp_eq_u32 s13, s7
	s_cselect_b32 s6, s6, s18
	s_cmp_lg_u32 s6, 0
	s_cselect_b32 s7, s21, s24
	s_cselect_b32 s6, s20, s23
	s_xor_b64 s[12:13], s[14:15], 0
	s_xor_b64 s[6:7], s[6:7], s[12:13]
	s_sub_u32 s6, s6, s12
	s_load_dwordx4 s[12:15], s[0:1], 0x44
	s_cbranch_execnz .LBB22_3
.LBB22_2:
	v_cvt_f32_u32_e32 v1, s22
	s_sub_i32 s6, 0, s22
	v_rcp_iflag_f32_e32 v1, v1
	s_nop 0
	v_mul_f32_e32 v1, 0x4f7ffffe, v1
	v_cvt_u32_f32_e32 v1, v1
	s_nop 0
	v_readfirstlane_b32 s7, v1
	s_mul_i32 s6, s6, s7
	s_mul_hi_u32 s6, s7, s6
	s_add_i32 s7, s7, s6
	s_mul_hi_u32 s6, s5, s7
	s_waitcnt lgkmcnt(0)
	s_mul_i32 s15, s6, s22
	s_sub_i32 s5, s5, s15
	s_add_i32 s7, s6, 1
	s_sub_i32 s15, s5, s22
	s_cmp_ge_u32 s5, s22
	s_cselect_b32 s6, s7, s6
	s_cselect_b32 s5, s15, s5
	s_add_i32 s7, s6, 1
	s_cmp_ge_u32 s5, s22
	s_cselect_b32 s6, s7, s6
.LBB22_3:
	s_add_i32 s5, s2, 1
	s_mul_hi_i32 s21, s11, s5
	s_mov_b32 s20, 0
	s_cmp_lg_u64 s[20:21], 0
	s_mul_i32 s5, s11, s5
	s_cbranch_scc0 .LBB22_21
; %bb.4:
	s_add_u32 s16, s22, 0
	s_addc_u32 s17, 0, 0
	s_xor_b64 s[18:19], s[16:17], 0
	v_cvt_f32_u32_e32 v1, s18
	v_cvt_f32_u32_e32 v2, s19
	s_sub_u32 s7, 0, s18
	s_waitcnt lgkmcnt(0)
	s_subb_u32 s15, 0, s19
	v_fmamk_f32 v1, v2, 0x4f800000, v1
	v_rcp_f32_e32 v1, v1
	s_nop 0
	v_mul_f32_e32 v1, 0x5f7ffffc, v1
	v_mul_f32_e32 v2, 0x2f800000, v1
	v_trunc_f32_e32 v2, v2
	v_fmamk_f32 v1, v2, 0xcf800000, v1
	v_cvt_u32_f32_e32 v2, v2
	v_cvt_u32_f32_e32 v1, v1
	v_readfirstlane_b32 s20, v2
	v_readfirstlane_b32 s23, v1
	s_mul_i32 s24, s7, s20
	s_mul_hi_u32 s26, s7, s23
	s_mul_i32 s25, s15, s23
	s_add_i32 s24, s26, s24
	s_add_i32 s24, s24, s25
	s_mul_i32 s27, s7, s23
	s_mul_i32 s26, s23, s24
	s_mul_hi_u32 s28, s23, s27
	s_mul_hi_u32 s25, s23, s24
	s_add_u32 s26, s28, s26
	s_addc_u32 s25, 0, s25
	s_mul_hi_u32 s29, s20, s27
	s_mul_i32 s27, s20, s27
	s_add_u32 s26, s26, s27
	s_mul_hi_u32 s28, s20, s24
	s_addc_u32 s25, s25, s29
	s_addc_u32 s26, s28, 0
	s_mul_i32 s24, s20, s24
	s_add_u32 s24, s25, s24
	s_addc_u32 s26, 0, s26
	s_add_u32 s23, s23, s24
	s_cselect_b64 s[24:25], -1, 0
	s_cmp_lg_u64 s[24:25], 0
	s_addc_u32 s20, s20, s26
	s_mul_i32 s24, s7, s20
	s_mul_hi_u32 s25, s7, s23
	s_add_i32 s24, s25, s24
	s_mul_i32 s15, s15, s23
	s_add_i32 s24, s24, s15
	s_mul_i32 s7, s7, s23
	s_mul_hi_u32 s25, s20, s7
	s_mul_i32 s26, s20, s7
	s_mul_i32 s28, s23, s24
	s_mul_hi_u32 s7, s23, s7
	s_mul_hi_u32 s27, s23, s24
	s_add_u32 s7, s7, s28
	s_addc_u32 s27, 0, s27
	s_add_u32 s7, s7, s26
	s_mul_hi_u32 s15, s20, s24
	s_addc_u32 s7, s27, s25
	s_addc_u32 s15, s15, 0
	s_mul_i32 s24, s20, s24
	s_add_u32 s7, s7, s24
	s_addc_u32 s15, 0, s15
	s_add_u32 s7, s23, s7
	s_cselect_b64 s[24:25], -1, 0
	s_cmp_lg_u64 s[24:25], 0
	s_addc_u32 s15, s20, s15
	s_ashr_i32 s24, s21, 31
	s_add_u32 s20, s5, s24
	s_mov_b32 s25, s24
	s_addc_u32 s21, s21, s24
	s_xor_b64 s[20:21], s[20:21], s[24:25]
	s_mul_i32 s26, s20, s15
	s_mul_hi_u32 s27, s20, s7
	s_mul_hi_u32 s23, s20, s15
	s_add_u32 s26, s27, s26
	s_addc_u32 s23, 0, s23
	s_mul_hi_u32 s28, s21, s7
	s_mul_i32 s7, s21, s7
	s_add_u32 s7, s26, s7
	s_mul_hi_u32 s27, s21, s15
	s_addc_u32 s7, s23, s28
	s_addc_u32 s23, s27, 0
	s_mul_i32 s15, s21, s15
	s_add_u32 s7, s7, s15
	s_addc_u32 s15, 0, s23
	s_mul_i32 s23, s18, s15
	s_mul_hi_u32 s26, s18, s7
	s_add_i32 s23, s26, s23
	s_mul_i32 s26, s19, s7
	s_add_i32 s23, s23, s26
	s_sub_i32 s28, s21, s23
	s_mul_i32 s26, s18, s7
	s_sub_u32 s20, s20, s26
	s_cselect_b64 s[26:27], -1, 0
	s_cmp_lg_u64 s[26:27], 0
	s_subb_u32 s30, s28, s19
	s_sub_u32 s31, s20, s18
	s_cselect_b64 s[28:29], -1, 0
	s_cmp_lg_u64 s[28:29], 0
	s_subb_u32 s28, s30, 0
	s_cmp_ge_u32 s28, s19
	s_cselect_b32 s29, -1, 0
	s_cmp_ge_u32 s31, s18
	s_cselect_b32 s30, -1, 0
	s_cmp_eq_u32 s28, s19
	s_cselect_b32 s28, s30, s29
	s_add_u32 s29, s7, 1
	s_addc_u32 s30, s15, 0
	s_add_u32 s31, s7, 2
	s_addc_u32 s33, s15, 0
	s_cmp_lg_u32 s28, 0
	s_cselect_b32 s28, s31, s29
	s_cselect_b32 s29, s33, s30
	s_cmp_lg_u64 s[26:27], 0
	s_subb_u32 s21, s21, s23
	s_cmp_ge_u32 s21, s19
	s_cselect_b32 s23, -1, 0
	s_cmp_ge_u32 s20, s18
	s_cselect_b32 s18, -1, 0
	s_cmp_eq_u32 s21, s19
	s_cselect_b32 s18, s18, s23
	s_cmp_lg_u32 s18, 0
	s_cselect_b32 s19, s29, s15
	s_cselect_b32 s18, s28, s7
	s_xor_b64 s[20:21], s[24:25], 0
	s_xor_b64 s[18:19], s[18:19], s[20:21]
	s_sub_u32 s18, s18, s20
	s_cbranch_execnz .LBB22_6
.LBB22_5:
	v_cvt_f32_u32_e32 v1, s22
	s_sub_i32 s7, 0, s22
	v_rcp_iflag_f32_e32 v1, v1
	s_nop 0
	v_mul_f32_e32 v1, 0x4f7ffffe, v1
	v_cvt_u32_f32_e32 v1, v1
	s_waitcnt lgkmcnt(0)
	v_readfirstlane_b32 s15, v1
	s_mul_i32 s7, s7, s15
	s_mul_hi_u32 s7, s15, s7
	s_add_i32 s15, s15, s7
	s_mul_hi_u32 s7, s5, s15
	s_mul_i32 s16, s7, s22
	s_sub_i32 s5, s5, s16
	s_add_i32 s15, s7, 1
	s_sub_i32 s16, s5, s22
	s_cmp_ge_u32 s5, s22
	s_cselect_b32 s7, s15, s7
	s_cselect_b32 s5, s16, s5
	s_add_i32 s15, s7, 1
	s_cmp_ge_u32 s5, s22
	s_cselect_b32 s18, s15, s7
.LBB22_6:
	s_cmp_eq_u32 s6, s18
	s_waitcnt lgkmcnt(0)
	s_mul_hi_u32 s5, s6, s12
	s_cselect_b64 s[16:17], -1, 0
	s_add_i32 s5, s5, s6
	s_lshr_b32 s7, s5, s13
	s_mul_i32 s5, s7, s14
	s_cmp_eq_u32 s5, s6
	s_mul_hi_u32 s5, s18, s12
	s_cselect_b64 s[20:21], -1, 0
	s_add_i32 s5, s5, s18
	s_lshr_b32 s5, s5, s13
	s_cmp_eq_u32 s7, s5
	s_mul_i32 s5, s5, s14
	s_cselect_b64 s[24:25], -1, 0
	s_cmp_lg_u32 s5, s18
	s_cselect_b64 s[18:19], -1, 0
	s_and_b64 s[18:19], s[24:25], s[18:19]
	s_or_b64 s[16:17], s[16:17], s[20:21]
	s_or_b64 s[16:17], s[16:17], s[18:19]
	s_and_b64 vcc, exec, s[16:17]
	s_cbranch_vccnz .LBB22_23
; %bb.7:
	s_load_dwordx8 s[24:31], s[0:1], 0x20
	s_load_dword s5, s[0:1], 0x40
	s_waitcnt lgkmcnt(0)
	s_mul_hi_u32 s15, s6, s24
	s_add_i32 s15, s15, s6
	s_lshr_b32 s20, s15, s25
	s_mul_i32 s15, s20, s26
	s_sub_i32 s15, s6, s15
	s_mul_hi_u32 s16, s15, s27
	s_add_i32 s16, s15, s16
	s_lshr_b32 s21, s16, s28
	s_mul_i32 s16, s21, s29
	s_sub_i32 s15, s15, s16
	;; [unrolled: 5-line block ×3, first 2 shown]
	s_mul_hi_u32 s15, s5, s12
	s_add_i32 s5, s5, s15
	s_lshr_b32 s23, s5, s13
	s_lshl_b32 s5, s23, 4
	s_add_i32 s5, s5, s3
	s_cmp_lt_i32 s5, s8
	s_cselect_b64 s[16:17], -1, 0
	s_add_i32 s24, s24, s4
	s_cmp_lt_i32 s24, s10
	s_cselect_b64 s[18:19], -1, 0
	s_and_b64 s[16:17], s[16:17], s[18:19]
	s_andn2_b64 vcc, exec, s[16:17]
	s_cbranch_vccnz .LBB22_23
; %bb.8:
	s_load_dwordx4 s[16:19], s[0:1], 0x0
	s_mov_b32 s0, 0
	s_add_i32 s15, s3, s4
	s_lshl_b32 s4, s22, 6
	s_mov_b32 s5, s0
	s_lshl_b64 s[4:5], s[4:5], 2
	s_waitcnt lgkmcnt(0)
	s_add_u32 s4, s18, s4
	s_mul_i32 s1, s20, s8
	s_addc_u32 s5, s19, s5
	s_mul_i32 s21, s21, s10
	s_add_i32 s1, s1, s3
	s_mul_i32 s1, s1, s9
	s_add_i32 s3, s24, s21
	;; [unrolled: 2-line block ×3, first 2 shown]
	s_mulk_i32 s8, 0x700
	s_mulk_i32 s1, 0x70
	s_add_i32 s8, s8, s1
	v_add_u32_e32 v4, s8, v0
	v_mov_b32_e32 v2, s16
	v_mov_b32_e32 v3, s17
	v_ashrrev_i32_e32 v5, 31, v4
	v_lshl_add_u64 v[2:3], v[4:5], 2, v[2:3]
	global_load_dword v1, v[2:3], off
	v_cvt_f32_u32_e32 v4, s22
	s_lshl_b32 s1, s2, 4
	s_add_i32 s8, s1, s15
	s_ashr_i32 s9, s8, 31
	s_lshl_b64 s[8:9], s[8:9], 3
	v_rcp_iflag_f32_e32 v4, v4
	s_add_u32 s8, s18, s8
	s_addc_u32 s9, s19, s9
	s_load_dwordx2 s[8:9], s[8:9], 0x0
	v_mul_f32_e32 v4, 0x4f7ffffe, v4
	v_cvt_u32_f32_e32 v7, v4
	s_mul_i32 s1, s15, 0x70
	s_add_i32 s21, s2, -1
	v_add_u32_e32 v6, s1, v0
	s_waitcnt lgkmcnt(0)
	v_mov_b32_e32 v0, s9
	v_mov_b32_e32 v9, s8
	s_mov_b32 s10, 0x3fb8aa3b
	s_mov_b32 s20, 0xc2ce8ed0
	;; [unrolled: 1-line block ×4, first 2 shown]
	v_mov_b32_e32 v8, 0x7f800000
	s_mul_hi_i32 s1, s21, s11
	s_cmp_lg_u64 s[0:1], 0
	s_mul_i32 s16, s21, s11
	s_cbranch_scc0 .LBB22_19
.LBB22_9:
	s_add_u32 s2, s22, 0
	s_addc_u32 s3, 0, 0
	s_xor_b64 s[2:3], s[2:3], 0
	v_cvt_f32_u32_e32 v4, s2
	v_cvt_f32_u32_e32 v5, s3
	s_sub_u32 s17, 0, s2
	s_subb_u32 s25, 0, s3
	v_fmac_f32_e32 v4, 0x4f800000, v5
	v_rcp_f32_e32 v4, v4
	s_nop 0
	v_mul_f32_e32 v4, 0x5f7ffffc, v4
	v_mul_f32_e32 v5, 0x2f800000, v4
	v_trunc_f32_e32 v5, v5
	v_fmac_f32_e32 v4, 0xcf800000, v5
	v_cvt_u32_f32_e32 v5, v5
	v_cvt_u32_f32_e32 v4, v4
	v_readfirstlane_b32 s26, v5
	v_readfirstlane_b32 s8, v4
	s_mul_i32 s9, s17, s26
	s_mul_hi_u32 s28, s17, s8
	s_mul_i32 s27, s25, s8
	s_add_i32 s9, s28, s9
	s_mul_i32 s29, s17, s8
	s_add_i32 s9, s9, s27
	s_mul_i32 s28, s8, s9
	s_mul_hi_u32 s30, s8, s29
	s_mul_hi_u32 s27, s8, s9
	s_add_u32 s28, s30, s28
	s_addc_u32 s27, 0, s27
	s_mul_hi_u32 s31, s26, s29
	s_mul_i32 s29, s26, s29
	s_add_u32 s28, s28, s29
	s_mul_hi_u32 s30, s26, s9
	s_addc_u32 s27, s27, s31
	s_addc_u32 s28, s30, 0
	s_mul_i32 s9, s26, s9
	s_add_u32 s9, s27, s9
	s_addc_u32 s27, 0, s28
	s_add_u32 s28, s8, s9
	s_cselect_b64 s[8:9], -1, 0
	s_cmp_lg_u64 s[8:9], 0
	s_addc_u32 s26, s26, s27
	s_mul_i32 s8, s17, s26
	s_mul_hi_u32 s9, s17, s28
	s_add_i32 s8, s9, s8
	s_mul_i32 s25, s25, s28
	s_add_i32 s8, s8, s25
	s_mul_i32 s17, s17, s28
	s_mul_hi_u32 s25, s26, s17
	s_mul_i32 s27, s26, s17
	s_mul_i32 s30, s28, s8
	s_mul_hi_u32 s17, s28, s17
	s_mul_hi_u32 s29, s28, s8
	s_add_u32 s17, s17, s30
	s_addc_u32 s29, 0, s29
	s_add_u32 s17, s17, s27
	s_mul_hi_u32 s9, s26, s8
	s_addc_u32 s17, s29, s25
	s_addc_u32 s9, s9, 0
	s_mul_i32 s8, s26, s8
	s_add_u32 s8, s17, s8
	s_addc_u32 s17, 0, s9
	s_add_u32 s25, s28, s8
	s_cselect_b64 s[8:9], -1, 0
	s_cmp_lg_u64 s[8:9], 0
	s_addc_u32 s17, s26, s17
	s_ashr_i32 s8, s1, 31
	s_add_u32 s26, s16, s8
	s_mov_b32 s9, s8
	s_addc_u32 s27, s1, s8
	s_xor_b64 s[26:27], s[26:27], s[8:9]
	s_mul_i32 s28, s26, s17
	s_mul_hi_u32 s29, s26, s25
	s_mul_hi_u32 s1, s26, s17
	s_add_u32 s28, s29, s28
	s_addc_u32 s1, 0, s1
	s_mul_hi_u32 s30, s27, s25
	s_mul_i32 s25, s27, s25
	s_add_u32 s25, s28, s25
	s_mul_hi_u32 s29, s27, s17
	s_addc_u32 s1, s1, s30
	s_addc_u32 s25, s29, 0
	s_mul_i32 s17, s27, s17
	s_add_u32 s1, s1, s17
	s_addc_u32 s17, 0, s25
	s_mul_i32 s25, s2, s17
	s_mul_hi_u32 s28, s2, s1
	s_add_i32 s25, s28, s25
	s_mul_i32 s28, s3, s1
	s_add_i32 s25, s25, s28
	s_sub_i32 s30, s27, s25
	s_mul_i32 s28, s2, s1
	s_sub_u32 s26, s26, s28
	s_cselect_b64 s[28:29], -1, 0
	s_cmp_lg_u64 s[28:29], 0
	s_subb_u32 s33, s30, s3
	s_sub_u32 s34, s26, s2
	s_cselect_b64 s[30:31], -1, 0
	s_cmp_lg_u64 s[30:31], 0
	s_subb_u32 s30, s33, 0
	s_cmp_ge_u32 s30, s3
	s_cselect_b32 s31, -1, 0
	s_cmp_ge_u32 s34, s2
	s_cselect_b32 s33, -1, 0
	s_cmp_eq_u32 s30, s3
	s_cselect_b32 s30, s33, s31
	s_add_u32 s31, s1, 1
	s_addc_u32 s33, s17, 0
	s_add_u32 s34, s1, 2
	s_addc_u32 s35, s17, 0
	s_cmp_lg_u32 s30, 0
	s_cselect_b32 s30, s34, s31
	s_cselect_b32 s31, s35, s33
	s_cmp_lg_u64 s[28:29], 0
	s_subb_u32 s25, s27, s25
	s_cmp_ge_u32 s25, s3
	s_cselect_b32 s27, -1, 0
	s_cmp_ge_u32 s26, s2
	s_cselect_b32 s2, -1, 0
	s_cmp_eq_u32 s25, s3
	s_cselect_b32 s2, s2, s27
	s_cmp_lg_u32 s2, 0
	s_cselect_b32 s3, s31, s17
	s_cselect_b32 s2, s30, s1
	s_xor_b64 s[8:9], s[8:9], 0
	s_xor_b64 s[2:3], s[2:3], s[8:9]
	s_sub_u32 s8, s2, s8
	s_cbranch_execnz .LBB22_11
.LBB22_10:
	s_sub_i32 s1, 0, s22
	v_readfirstlane_b32 s2, v7
	s_mul_i32 s1, s1, s2
	s_mul_hi_u32 s1, s2, s1
	s_add_i32 s2, s2, s1
	s_mul_hi_u32 s1, s16, s2
	s_mul_i32 s3, s1, s22
	s_sub_i32 s3, s16, s3
	s_add_i32 s2, s1, 1
	s_sub_i32 s8, s3, s22
	s_cmp_ge_u32 s3, s22
	s_cselect_b32 s1, s2, s1
	s_cselect_b32 s3, s8, s3
	s_add_i32 s2, s1, 1
	s_cmp_ge_u32 s3, s22
	s_cselect_b32 s8, s2, s1
.LBB22_11:
	s_cmp_lg_u32 s6, s8
	s_cbranch_scc0 .LBB22_15
; %bb.12:
	s_add_i32 s1, s21, s22
	s_lshl_b32 s1, s1, 4
	s_add_i32 s2, s1, s15
	s_mov_b32 s3, s0
	s_lshl_b64 s[2:3], s[2:3], 3
	s_add_u32 s16, s18, s2
	s_mul_hi_u32 s1, s8, s12
	s_addc_u32 s17, s19, s3
	s_add_i32 s1, s1, s8
	s_lshr_b32 s1, s1, s13
	s_mul_i32 s2, s1, s14
	s_cmp_eq_u32 s2, s8
	s_cselect_b64 s[2:3], -1, 0
	s_cmp_lt_u32 s1, s7
	s_cselect_b64 s[26:27], -1, 0
	s_or_b64 s[26:27], s[26:27], s[2:3]
	s_mov_b64 s[2:3], -1
	s_and_b64 vcc, exec, s[26:27]
	s_mov_b32 s1, s21
	s_mov_b32 s25, s6
	s_cbranch_vccnz .LBB22_14
; %bb.13:
	s_add_i32 s1, s21, -1
	s_mov_b64 s[2:3], 0
	s_mov_b32 s25, s8
.LBB22_14:
	s_mul_i32 s8, s21, 0x700
	v_add_u32_e32 v4, s8, v6
	v_ashrrev_i32_e32 v5, 31, v4
	v_lshl_add_u64 v[4:5], v[4:5], 2, s[4:5]
	global_load_dword v5, v[4:5], off
	s_load_dwordx2 s[8:9], s[16:17], 0x0
	v_max_f32_e32 v4, v9, v9
	s_waitcnt lgkmcnt(0)
	v_max_f32_e64 v10, s8, s8
	v_max_f32_e32 v10, v4, v10
	v_sub_f32_e32 v11, v9, v10
	v_sub_f32_e32 v13, s8, v10
	v_mul_f32_e32 v4, 0x3fb8aa3b, v11
	v_mul_f32_e32 v12, 0x3fb8aa3b, v13
	v_fma_f32 v14, v11, s10, -v4
	v_rndne_f32_e32 v15, v4
	v_fma_f32 v16, v13, s10, -v12
	v_rndne_f32_e32 v17, v12
	v_fmac_f32_e32 v14, 0x32a5705f, v11
	v_sub_f32_e32 v4, v4, v15
	v_fmac_f32_e32 v16, 0x32a5705f, v13
	v_sub_f32_e32 v12, v12, v17
	v_add_f32_e32 v4, v4, v14
	v_cvt_i32_f32_e32 v15, v15
	v_add_f32_e32 v12, v12, v16
	v_exp_f32_e32 v14, v4
	v_cvt_i32_f32_e32 v17, v17
	v_exp_f32_e32 v12, v12
	v_cmp_ngt_f32_e32 vcc, s20, v11
	v_ldexp_f32 v14, v14, v15
	v_mov_b32_e32 v4, s9
	v_ldexp_f32 v12, v12, v17
	v_cndmask_b32_e32 v14, 0, v14, vcc
	v_cmp_ngt_f32_e32 vcc, s20, v13
	s_nop 1
	v_cndmask_b32_e32 v12, 0, v12, vcc
	v_cmp_nlt_f32_e32 vcc, s23, v11
	s_nop 1
	v_cndmask_b32_e32 v14, v8, v14, vcc
	v_cmp_nlt_f32_e32 vcc, s23, v13
	s_nop 1
	v_cndmask_b32_e32 v15, v8, v12, vcc
	v_cmp_le_f32_e32 vcc, s24, v11
	s_nop 1
	v_cndmask_b32_e32 v12, 0, v14, vcc
	v_cmp_le_f32_e32 vcc, s24, v13
	s_nop 1
	v_cndmask_b32_e32 v14, 0, v15, vcc
	s_waitcnt vmcnt(0)
	v_pk_mul_f32 v[4:5], v[4:5], v[14:15] op_sel_hi:[1,0]
	s_nop 0
	v_pk_fma_f32 v[4:5], v[0:1], v[12:13], v[4:5] op_sel_hi:[1,0,1]
	s_cbranch_execz .LBB22_16
	s_branch .LBB22_17
.LBB22_15:
                                        ; implicit-def: $vgpr4_vgpr5
                                        ; implicit-def: $sgpr2_sgpr3
                                        ; implicit-def: $vgpr10
                                        ; implicit-def: $sgpr1
                                        ; implicit-def: $sgpr25
.LBB22_16:
	s_add_i32 s1, s21, -1
	s_mov_b64 s[2:3], 0
	s_mov_b32 s25, s6
	v_mov_b32_e32 v10, v9
	s_waitcnt vmcnt(0)
	v_mov_b64_e32 v[4:5], v[0:1]
.LBB22_17:
	s_andn2_b64 vcc, exec, s[2:3]
	s_cbranch_vccz .LBB22_22
; %bb.18:
	s_mov_b32 s6, s25
	s_mov_b32 s21, s1
	v_mov_b32_e32 v9, v10
	s_waitcnt vmcnt(0)
	v_mov_b64_e32 v[0:1], v[4:5]
	s_mul_hi_i32 s1, s21, s11
	s_cmp_lg_u64 s[0:1], 0
	s_mul_i32 s16, s21, s11
	s_cbranch_scc1 .LBB22_9
.LBB22_19:
                                        ; implicit-def: $sgpr8_sgpr9
	s_branch .LBB22_10
.LBB22_20:
                                        ; implicit-def: $sgpr6_sgpr7
	s_load_dwordx4 s[12:15], s[0:1], 0x44
	s_branch .LBB22_2
.LBB22_21:
                                        ; implicit-def: $sgpr18_sgpr19
	s_branch .LBB22_5
.LBB22_22:
	v_div_scale_f32 v0, s[0:1], v4, v4, v5
	s_waitcnt vmcnt(0)
	v_rcp_f32_e32 v1, v0
	v_div_scale_f32 v6, vcc, v5, v4, v5
	v_fma_f32 v7, -v0, v1, 1.0
	v_fmac_f32_e32 v1, v7, v1
	v_mul_f32_e32 v7, v6, v1
	v_fma_f32 v8, -v0, v7, v6
	v_fmac_f32_e32 v7, v8, v1
	v_fma_f32 v0, -v0, v7, v6
	v_div_fmas_f32 v0, v0, v1, v7
	v_div_fixup_f32 v0, v0, v4, v5
	global_store_dword v[2:3], v0, off
.LBB22_23:
	s_endpgm
	.section	.rodata,"a",@progbits
	.p2align	6, 0x0
	.amdhsa_kernel _ZL33flash_attn_stream_k_fixup_generalILi112ELi16ELi1EEvPfPK15HIP_vector_typeIfLj2EEiiiiS1_IjLj3EES5_S5_S5_
		.amdhsa_group_segment_fixed_size 0
		.amdhsa_private_segment_fixed_size 0
		.amdhsa_kernarg_size 336
		.amdhsa_user_sgpr_count 2
		.amdhsa_user_sgpr_dispatch_ptr 0
		.amdhsa_user_sgpr_queue_ptr 0
		.amdhsa_user_sgpr_kernarg_segment_ptr 1
		.amdhsa_user_sgpr_dispatch_id 0
		.amdhsa_user_sgpr_kernarg_preload_length 0
		.amdhsa_user_sgpr_kernarg_preload_offset 0
		.amdhsa_user_sgpr_private_segment_size 0
		.amdhsa_uses_dynamic_stack 0
		.amdhsa_enable_private_segment 0
		.amdhsa_system_sgpr_workgroup_id_x 1
		.amdhsa_system_sgpr_workgroup_id_y 1
		.amdhsa_system_sgpr_workgroup_id_z 1
		.amdhsa_system_sgpr_workgroup_info 0
		.amdhsa_system_vgpr_workitem_id 0
		.amdhsa_next_free_vgpr 18
		.amdhsa_next_free_sgpr 36
		.amdhsa_accum_offset 20
		.amdhsa_reserve_vcc 1
		.amdhsa_float_round_mode_32 0
		.amdhsa_float_round_mode_16_64 0
		.amdhsa_float_denorm_mode_32 3
		.amdhsa_float_denorm_mode_16_64 3
		.amdhsa_dx10_clamp 1
		.amdhsa_ieee_mode 1
		.amdhsa_fp16_overflow 0
		.amdhsa_tg_split 0
		.amdhsa_exception_fp_ieee_invalid_op 0
		.amdhsa_exception_fp_denorm_src 0
		.amdhsa_exception_fp_ieee_div_zero 0
		.amdhsa_exception_fp_ieee_overflow 0
		.amdhsa_exception_fp_ieee_underflow 0
		.amdhsa_exception_fp_ieee_inexact 0
		.amdhsa_exception_int_div_zero 0
	.end_amdhsa_kernel
	.section	.text._ZL33flash_attn_stream_k_fixup_generalILi112ELi16ELi1EEvPfPK15HIP_vector_typeIfLj2EEiiiiS1_IjLj3EES5_S5_S5_,"axG",@progbits,_ZL33flash_attn_stream_k_fixup_generalILi112ELi16ELi1EEvPfPK15HIP_vector_typeIfLj2EEiiiiS1_IjLj3EES5_S5_S5_,comdat
.Lfunc_end22:
	.size	_ZL33flash_attn_stream_k_fixup_generalILi112ELi16ELi1EEvPfPK15HIP_vector_typeIfLj2EEiiiiS1_IjLj3EES5_S5_S5_, .Lfunc_end22-_ZL33flash_attn_stream_k_fixup_generalILi112ELi16ELi1EEvPfPK15HIP_vector_typeIfLj2EEiiiiS1_IjLj3EES5_S5_S5_
                                        ; -- End function
	.set _ZL33flash_attn_stream_k_fixup_generalILi112ELi16ELi1EEvPfPK15HIP_vector_typeIfLj2EEiiiiS1_IjLj3EES5_S5_S5_.num_vgpr, 18
	.set _ZL33flash_attn_stream_k_fixup_generalILi112ELi16ELi1EEvPfPK15HIP_vector_typeIfLj2EEiiiiS1_IjLj3EES5_S5_S5_.num_agpr, 0
	.set _ZL33flash_attn_stream_k_fixup_generalILi112ELi16ELi1EEvPfPK15HIP_vector_typeIfLj2EEiiiiS1_IjLj3EES5_S5_S5_.numbered_sgpr, 36
	.set _ZL33flash_attn_stream_k_fixup_generalILi112ELi16ELi1EEvPfPK15HIP_vector_typeIfLj2EEiiiiS1_IjLj3EES5_S5_S5_.num_named_barrier, 0
	.set _ZL33flash_attn_stream_k_fixup_generalILi112ELi16ELi1EEvPfPK15HIP_vector_typeIfLj2EEiiiiS1_IjLj3EES5_S5_S5_.private_seg_size, 0
	.set _ZL33flash_attn_stream_k_fixup_generalILi112ELi16ELi1EEvPfPK15HIP_vector_typeIfLj2EEiiiiS1_IjLj3EES5_S5_S5_.uses_vcc, 1
	.set _ZL33flash_attn_stream_k_fixup_generalILi112ELi16ELi1EEvPfPK15HIP_vector_typeIfLj2EEiiiiS1_IjLj3EES5_S5_S5_.uses_flat_scratch, 0
	.set _ZL33flash_attn_stream_k_fixup_generalILi112ELi16ELi1EEvPfPK15HIP_vector_typeIfLj2EEiiiiS1_IjLj3EES5_S5_S5_.has_dyn_sized_stack, 0
	.set _ZL33flash_attn_stream_k_fixup_generalILi112ELi16ELi1EEvPfPK15HIP_vector_typeIfLj2EEiiiiS1_IjLj3EES5_S5_S5_.has_recursion, 0
	.set _ZL33flash_attn_stream_k_fixup_generalILi112ELi16ELi1EEvPfPK15HIP_vector_typeIfLj2EEiiiiS1_IjLj3EES5_S5_S5_.has_indirect_call, 0
	.section	.AMDGPU.csdata,"",@progbits
; Kernel info:
; codeLenInByte = 2936
; TotalNumSgprs: 42
; NumVgprs: 18
; NumAgprs: 0
; TotalNumVgprs: 18
; ScratchSize: 0
; MemoryBound: 0
; FloatMode: 240
; IeeeMode: 1
; LDSByteSize: 0 bytes/workgroup (compile time only)
; SGPRBlocks: 5
; VGPRBlocks: 2
; NumSGPRsForWavesPerEU: 42
; NumVGPRsForWavesPerEU: 18
; AccumOffset: 20
; Occupancy: 8
; WaveLimiterHint : 0
; COMPUTE_PGM_RSRC2:SCRATCH_EN: 0
; COMPUTE_PGM_RSRC2:USER_SGPR: 2
; COMPUTE_PGM_RSRC2:TRAP_HANDLER: 0
; COMPUTE_PGM_RSRC2:TGID_X_EN: 1
; COMPUTE_PGM_RSRC2:TGID_Y_EN: 1
; COMPUTE_PGM_RSRC2:TGID_Z_EN: 1
; COMPUTE_PGM_RSRC2:TIDIG_COMP_CNT: 0
; COMPUTE_PGM_RSRC3_GFX90A:ACCUM_OFFSET: 4
; COMPUTE_PGM_RSRC3_GFX90A:TG_SPLIT: 0
	.section	.text._ZL26flash_attn_combine_resultsILi112EEvPKfPK15HIP_vector_typeIfLj2EEPfi,"axG",@progbits,_ZL26flash_attn_combine_resultsILi112EEvPKfPK15HIP_vector_typeIfLj2EEPfi,comdat
	.globl	_ZL26flash_attn_combine_resultsILi112EEvPKfPK15HIP_vector_typeIfLj2EEPfi ; -- Begin function _ZL26flash_attn_combine_resultsILi112EEvPKfPK15HIP_vector_typeIfLj2EEPfi
	.p2align	8
	.type	_ZL26flash_attn_combine_resultsILi112EEvPKfPK15HIP_vector_typeIfLj2EEPfi,@function
_ZL26flash_attn_combine_resultsILi112EEvPKfPK15HIP_vector_typeIfLj2EEPfi: ; @_ZL26flash_attn_combine_resultsILi112EEvPKfPK15HIP_vector_typeIfLj2EEPfi
; %bb.0:
	s_load_dwordx2 s[6:7], s[0:1], 0x20
	s_load_dword s23, s[0:1], 0x18
	s_load_dwordx4 s[16:19], s[0:1], 0x0
	s_load_dwordx2 s[14:15], s[0:1], 0x10
	s_waitcnt lgkmcnt(0)
	s_mul_i32 s0, s6, s4
	s_add_i32 s0, s0, s2
	s_mul_i32 s22, s0, s7
	s_add_i32 s22, s22, s3
	s_lshl_b32 s12, s23, 1
	s_mul_i32 s2, s22, s23
	v_cmp_gt_i32_e32 vcc, s12, v0
	s_and_saveexec_b64 s[0:1], vcc
	s_cbranch_execz .LBB23_13
; %bb.1:
	v_xad_u32 v1, v0, -1, s12
	s_movk_i32 s4, 0x6f
	s_ashr_i32 s3, s2, 31
	v_cmp_lt_u32_e32 vcc, s4, v1
	s_mov_b64 s[6:7], -1
	v_mov_b32_e32 v2, v0
	s_and_saveexec_b64 s[4:5], vcc
	s_cbranch_execz .LBB23_10
; %bb.2:
	v_lshrrev_b32_e32 v1, 4, v1
	s_mov_b32 s6, 0x24924925
	v_mul_hi_u32 v6, v1, s6
	s_lshl_b64 s[6:7], s[2:3], 3
	v_add_u32_e32 v2, -1, v6
	s_add_u32 s6, s18, s6
	v_add_u32_e32 v1, 0x70, v0
	v_lshrrev_b32_e32 v3, 1, v2
	s_addc_u32 s7, s19, s7
	v_add_u32_e32 v7, 1, v3
	v_cmp_lt_u32_e32 vcc, 13, v2
	v_mov_b32_e32 v4, 0
	v_mov_b64_e32 v[2:3], v[0:1]
	s_and_saveexec_b64 s[8:9], vcc
	s_cbranch_execz .LBB23_6
; %bb.3:
	v_and_b32_e32 v8, -8, v7
	s_mov_b32 s13, 0
	v_lshl_add_u32 v9, v0, 2, 0
	s_mov_b64 s[10:11], 0
	v_mov_b32_e32 v5, 0
	v_mov_b64_e32 v[2:3], v[0:1]
.LBB23_4:                               ; =>This Inner Loop Header: Depth=1
	v_mov_b32_e32 v4, v2
	v_lshl_add_u64 v[24:25], v[4:5], 2, s[6:7]
	v_mov_b32_e32 v4, v3
	v_add_u32_e32 v10, 0xe0, v3
	v_mov_b32_e32 v11, v5
	v_lshl_add_u64 v[26:27], v[4:5], 2, s[6:7]
	v_add_u32_e32 v4, 0xe0, v2
	v_lshl_add_u64 v[10:11], v[10:11], 2, s[6:7]
	global_load_dword v1, v[24:25], off
	v_lshl_add_u64 v[24:25], v[4:5], 2, s[6:7]
	v_add_u32_e32 v4, 0x1c0, v2
	global_load_dword v28, v[26:27], off
	global_load_dword v29, v[24:25], off
	;; [unrolled: 1-line block ×3, first 2 shown]
	v_lshl_add_u64 v[10:11], v[4:5], 2, s[6:7]
	v_add_u32_e32 v4, 0x2a0, v2
	v_add_u32_e32 v12, 0x1c0, v3
	v_mov_b32_e32 v13, v5
	v_add_u32_e32 v14, 0x2a0, v3
	v_mov_b32_e32 v15, v5
	v_lshl_add_u64 v[24:25], v[4:5], 2, s[6:7]
	v_add_u32_e32 v4, 0x380, v2
	v_lshl_add_u64 v[12:13], v[12:13], 2, s[6:7]
	v_lshl_add_u64 v[14:15], v[14:15], 2, s[6:7]
	global_load_dword v26, v[10:11], off
	global_load_dword v27, v[12:13], off
	;; [unrolled: 1-line block ×4, first 2 shown]
	v_lshl_add_u64 v[10:11], v[4:5], 2, s[6:7]
	v_add_u32_e32 v4, 0x460, v2
	v_add_u32_e32 v16, 0x380, v3
	v_mov_b32_e32 v17, v5
	v_add_u32_e32 v18, 0x460, v3
	v_mov_b32_e32 v19, v5
	v_lshl_add_u64 v[12:13], v[4:5], 2, s[6:7]
	v_add_u32_e32 v4, 0x540, v2
	v_add_u32_e32 v20, 0x540, v3
	v_mov_b32_e32 v21, v5
	v_add_u32_e32 v22, 0x620, v3
	v_mov_b32_e32 v23, v5
	v_lshl_add_u64 v[16:17], v[16:17], 2, s[6:7]
	v_lshl_add_u64 v[18:19], v[18:19], 2, s[6:7]
	global_load_dword v14, v[10:11], off
	global_load_dword v15, v[16:17], off
	;; [unrolled: 1-line block ×4, first 2 shown]
	v_lshl_add_u64 v[10:11], v[4:5], 2, s[6:7]
	v_add_u32_e32 v4, 0x620, v2
	v_lshl_add_u64 v[20:21], v[20:21], 2, s[6:7]
	v_lshl_add_u64 v[22:23], v[22:23], 2, s[6:7]
	;; [unrolled: 1-line block ×3, first 2 shown]
	global_load_dword v16, v[10:11], off
	global_load_dword v17, v[20:21], off
	;; [unrolled: 1-line block ×4, first 2 shown]
	v_add_u32_e32 v8, -8, v8
	s_add_i32 s13, s13, 16
	v_cmp_eq_u32_e32 vcc, 0, v8
	v_add_u32_e32 v10, 0x200, v9
	v_add_u32_e32 v11, 0x600, v9
	v_add_u32_e32 v12, 0xa00, v9
	v_add_u32_e32 v13, 0xc00, v9
	v_add_u32_e32 v20, 0x1000, v9
	v_add_u32_e32 v21, 0x1400, v9
	v_add_u32_e32 v22, 0x1800, v9
	v_add_u32_e32 v3, 0x700, v3
	v_mov_b32_e32 v4, s13
	s_or_b64 s[10:11], vcc, s[10:11]
	v_add_u32_e32 v2, 0x700, v2
	s_waitcnt vmcnt(14)
	ds_write2_b32 v9, v1, v28 offset1:112
	v_add_u32_e32 v9, 0x1c00, v9
	s_waitcnt vmcnt(12)
	ds_write2_b32 v10, v29, v30 offset0:96 offset1:208
	s_waitcnt vmcnt(10)
	ds_write2_b32 v11, v26, v27 offset0:64 offset1:176
	s_waitcnt vmcnt(8)
	ds_write2_b32 v12, v31, v32 offset0:32 offset1:144
	s_waitcnt vmcnt(6)
	ds_write2_b32 v13, v14, v15 offset0:128 offset1:240
	s_waitcnt vmcnt(4)
	ds_write2_b32 v20, v24, v25 offset0:96 offset1:208
	s_waitcnt vmcnt(2)
	ds_write2_b32 v21, v16, v17 offset0:64 offset1:176
	s_waitcnt vmcnt(0)
	ds_write2_b32 v22, v18, v19 offset0:32 offset1:144
	s_andn2_b64 exec, exec, s[10:11]
	s_cbranch_execnz .LBB23_4
; %bb.5:
	s_or_b64 exec, exec, s[10:11]
.LBB23_6:
	s_or_b64 exec, exec, s[8:9]
	v_and_b32_e32 v1, 7, v7
	v_cmp_ne_u32_e32 vcc, 0, v1
	s_and_saveexec_b64 s[8:9], vcc
	s_cbranch_execz .LBB23_9
; %bb.7:
	s_movk_i32 s10, 0x1c0
	v_mul_lo_u32 v4, v4, s10
	v_lshlrev_b32_e32 v5, 2, v0
	v_add3_u32 v7, v4, v5, 0
	s_mov_b64 s[10:11], 0
	v_mov_b32_e32 v5, 0
.LBB23_8:                               ; =>This Inner Loop Header: Depth=1
	v_mov_b32_e32 v4, v2
	v_lshl_add_u64 v[8:9], v[4:5], 2, s[6:7]
	v_mov_b32_e32 v4, v3
	v_lshl_add_u64 v[10:11], v[4:5], 2, s[6:7]
	global_load_dword v4, v[8:9], off
	global_load_dword v12, v[10:11], off
	v_add_u32_e32 v1, -1, v1
	v_cmp_eq_u32_e32 vcc, 0, v1
	v_add_u32_e32 v2, 0xe0, v2
	v_add_u32_e32 v3, 0xe0, v3
	s_or_b64 s[10:11], vcc, s[10:11]
	s_waitcnt vmcnt(0)
	ds_write2_b32 v7, v4, v12 offset1:112
	v_add_u32_e32 v7, 0x380, v7
	s_andn2_b64 exec, exec, s[10:11]
	s_cbranch_execnz .LBB23_8
.LBB23_9:
	s_or_b64 exec, exec, s[8:9]
	v_add_u32_e32 v1, 1, v6
	v_and_b32_e32 v4, 0x7fffffe, v1
	s_movk_i32 s6, 0x70
	v_mad_u64_u32 v[2:3], s[6:7], v4, s6, v[0:1]
	v_cmp_ne_u32_e32 vcc, v1, v4
	s_orn2_b64 s[6:7], vcc, exec
.LBB23_10:
	s_or_b64 exec, exec, s[4:5]
	s_and_b64 exec, exec, s[6:7]
	s_cbranch_execz .LBB23_13
; %bb.11:
	s_lshl_b64 s[4:5], s[2:3], 3
	s_add_u32 s4, s18, s4
	v_mov_b32_e32 v3, 0
	s_addc_u32 s5, s19, s5
	v_lshl_add_u64 v[4:5], v[2:3], 2, s[4:5]
	v_lshl_add_u32 v1, v2, 2, 0
	s_mov_b64 s[4:5], 0
	s_mov_b64 s[6:7], 0x1c0
.LBB23_12:                              ; =>This Inner Loop Header: Depth=1
	global_load_dword v3, v[4:5], off
	v_add_u32_e32 v2, 0x70, v2
	v_cmp_le_i32_e32 vcc, s12, v2
	v_lshl_add_u64 v[4:5], v[4:5], 0, s[6:7]
	s_or_b64 s[4:5], vcc, s[4:5]
	s_waitcnt vmcnt(0)
	ds_write_b32 v1, v3
	v_add_u32_e32 v1, 0x1c0, v1
	s_andn2_b64 exec, exec, s[4:5]
	s_cbranch_execnz .LBB23_12
.LBB23_13:
	s_or_b64 exec, exec, s[0:1]
	v_mov_b32_e32 v1, 0
	s_waitcnt lgkmcnt(0)
	s_barrier
	ds_read_b32 v1, v1
	s_cmp_lt_i32 s23, 2
	s_cbranch_scc1 .LBB23_21
; %bb.14:
	s_cmp_eq_u32 s23, 2
	s_cbranch_scc1 .LBB23_18
; %bb.15:
	s_add_i32 s3, s23, -1
	s_and_b32 s4, s3, -2
	s_add_i32 s6, 0, 8
	s_mov_b32 s5, 2
	s_waitcnt lgkmcnt(0)
	v_mov_b32_e32 v4, v1
.LBB23_16:                              ; =>This Inner Loop Header: Depth=1
	v_mov_b32_e32 v2, v1
	v_mov_b32_e32 v1, s6
	;; [unrolled: 1-line block ×3, first 2 shown]
	ds_read2_b32 v[4:5], v1 offset1:2
	s_cmp_lg_u32 s4, s5
	s_cselect_b64 s[8:9], -1, 0
	v_max_f32_e32 v1, v3, v3
	v_max_f32_e32 v6, v2, v2
	s_waitcnt lgkmcnt(0)
	v_cmp_u_f32_e32 vcc, v5, v5
	v_max_f32_e32 v7, v5, v5
	v_max_f32_e32 v8, v4, v4
	v_cndmask_b32_e64 v5, 0, 1, vcc
	v_cmp_u_f32_e32 vcc, v4, v4
	v_readfirstlane_b32 s0, v5
	s_lshl_b32 s0, s0, 1
	v_cndmask_b32_e64 v9, 0, 1, vcc
	v_max_f32_e32 v4, v1, v7
	v_readfirstlane_b32 s1, v9
	s_or_b32 s0, s1, s0
	s_and_b32 s7, s0, 3
	s_cmp_lg_u32 s7, 0
	s_cselect_b64 s[0:1], -1, 0
	s_cmp_eq_u32 s7, 0
	s_cselect_b64 s[10:11], -1, 0
	s_and_b64 s[8:9], s[10:11], s[8:9]
	v_max_f32_e32 v1, v6, v8
	s_add_i32 s5, s5, 2
	s_add_i32 s6, s6, 16
	s_and_b64 vcc, exec, s[8:9]
	s_cbranch_vccnz .LBB23_16
; %bb.17:
	s_add_i32 s5, s5, -4
	s_and_b64 s[6:7], s[0:1], exec
	s_cselect_b32 s5, s5, s3
	s_or_b32 s5, s5, 1
	v_cndmask_b32_e64 v1, v1, v2, s[0:1]
	v_cndmask_b32_e64 v2, v4, v3, s[0:1]
	s_cmp_lg_u32 s3, s4
	v_max_f32_e32 v2, v2, v2
	v_max_f32_e32 v1, v1, v1
	s_cselect_b64 s[6:7], -1, 0
	v_max_f32_e32 v1, v1, v2
	s_or_b64 s[0:1], s[6:7], s[0:1]
	s_and_b64 vcc, exec, s[0:1]
	s_cbranch_vccnz .LBB23_19
	s_branch .LBB23_21
.LBB23_18:
	s_mov_b32 s5, 1
	s_cbranch_execz .LBB23_21
.LBB23_19:
	s_lshl_b32 s1, s5, 3
	s_sub_i32 s0, s23, s5
	s_add_i32 s1, s1, 0
.LBB23_20:                              ; =>This Inner Loop Header: Depth=1
	v_mov_b32_e32 v2, s1
	ds_read_b32 v2, v2
	s_waitcnt lgkmcnt(1)
	v_max_f32_e32 v1, v1, v1
	s_add_i32 s0, s0, -1
	s_add_i32 s1, s1, 8
	s_cmp_eq_u32 s0, 0
	s_waitcnt lgkmcnt(0)
	v_max_f32_e32 v2, v2, v2
	v_max_f32_e32 v1, v1, v2
	s_cbranch_scc0 .LBB23_20
.LBB23_21:
	s_cmp_lt_i32 s23, 1
	s_cbranch_scc1 .LBB23_26
; %bb.22:
	s_mul_i32 s18, s2, 0x70
	s_ashr_i32 s19, s18, 31
	s_cmp_lt_u32 s23, 8
	s_cbranch_scc1 .LBB23_27
; %bb.23:
	s_lshl_b64 s[0:1], s[18:19], 2
	s_add_u32 s20, s16, s0
	v_mov_b32_e32 v7, 0
	s_addc_u32 s21, s17, s1
	s_and_b32 s24, s23, 0x7ffffff8
	v_add_u32_e32 v4, 0x1c0, v0
	s_mov_b32 s25, 0
	s_mov_b32 s26, 0x3fb8aa3b
	;; [unrolled: 1-line block ×4, first 2 shown]
	v_mov_b32_e32 v8, 0x7f800000
	s_mov_b32 s29, 0
	v_mov_b32_e32 v2, v7
	v_mov_b32_e32 v3, v7
.LBB23_24:                              ; =>This Inner Loop Header: Depth=1
	v_add_u32_e32 v6, 0xfffffe40, v4
	v_mov_b32_e32 v9, s25
	v_lshl_add_u64 v[26:27], v[6:7], 2, s[20:21]
	v_add_u32_e32 v6, 0xfffffeb0, v4
	ds_read2_b64 v[10:13], v9 offset1:1
	ds_read2_b64 v[14:17], v9 offset0:2 offset1:3
	ds_read2_b64 v[18:21], v9 offset0:4 offset1:5
	;; [unrolled: 1-line block ×3, first 2 shown]
	v_lshl_add_u64 v[30:31], v[6:7], 2, s[20:21]
	v_add_u32_e32 v6, 0xffffff20, v4
	global_load_dword v33, v[26:27], off
	global_load_dword v35, v[30:31], off
	v_lshl_add_u64 v[26:27], v[6:7], 2, s[20:21]
	v_add_u32_e32 v6, 0xffffff90, v4
	v_mov_b32_e32 v5, v7
	v_lshl_add_u64 v[30:31], v[6:7], 2, s[20:21]
	v_add_u32_e32 v6, 0x70, v4
	v_lshl_add_u64 v[28:29], v[4:5], 2, s[20:21]
	global_load_dword v37, v[26:27], off
	global_load_dword v39, v[30:31], off
	;; [unrolled: 1-line block ×3, first 2 shown]
	v_lshl_add_u64 v[26:27], v[6:7], 2, s[20:21]
	v_add_u32_e32 v6, 0xe0, v4
	s_waitcnt lgkmcnt(3)
	v_mov_b32_e32 v32, v11
	v_sub_f32_e32 v9, v12, v1
	v_mov_b32_e32 v34, v13
	global_load_dword v11, v[26:27], off
	v_lshl_add_u64 v[12:13], v[6:7], 2, s[20:21]
	v_add_u32_e32 v6, 0x150, v4
	s_waitcnt lgkmcnt(2)
	v_mov_b32_e32 v36, v15
	global_load_dword v15, v[12:13], off
	v_lshl_add_u64 v[12:13], v[6:7], 2, s[20:21]
	v_mov_b32_e32 v38, v17
	global_load_dword v17, v[12:13], off
	v_sub_f32_e32 v5, v10, v1
	s_waitcnt lgkmcnt(1)
	v_mov_b32_e32 v40, v19
	v_sub_f32_e32 v19, v20, v1
	s_waitcnt lgkmcnt(0)
	v_sub_f32_e32 v20, v22, v1
	v_mul_f32_e32 v22, 0x3fb8aa3b, v5
	v_sub_f32_e32 v28, v14, v1
	v_sub_f32_e32 v29, v16, v1
	v_mov_b32_e32 v14, v23
	v_mul_f32_e32 v23, 0x3fb8aa3b, v9
	v_fma_f32 v6, v5, s26, -v22
	v_rndne_f32_e32 v42, v22
	v_sub_f32_e32 v18, v18, v1
	v_mov_b32_e32 v10, v21
	v_sub_f32_e32 v21, v24, v1
	v_mov_b32_e32 v16, v25
	v_mul_f32_e32 v24, 0x3fb8aa3b, v28
	v_mul_f32_e32 v25, 0x3fb8aa3b, v29
	v_fma_f32 v43, v9, s26, -v23
	v_rndne_f32_e32 v44, v23
	v_fmac_f32_e32 v6, 0x32a5705f, v5
	v_sub_f32_e32 v12, v22, v42
	v_mul_f32_e32 v26, 0x3fb8aa3b, v18
	v_mul_f32_e32 v27, 0x3fb8aa3b, v19
	;; [unrolled: 1-line block ×3, first 2 shown]
	v_fma_f32 v45, v28, s26, -v24
	v_rndne_f32_e32 v46, v24
	v_fma_f32 v47, v29, s26, -v25
	v_rndne_f32_e32 v48, v25
	v_fmac_f32_e32 v43, 0x32a5705f, v9
	v_sub_f32_e32 v22, v23, v44
	v_add_f32_e32 v6, v12, v6
	v_fma_f32 v49, v18, s26, -v26
	v_rndne_f32_e32 v50, v26
	v_fma_f32 v51, v19, s26, -v27
	v_rndne_f32_e32 v52, v27
	;; [unrolled: 2-line block ×3, first 2 shown]
	v_cvt_i32_f32_e32 v13, v42
	v_fmac_f32_e32 v45, 0x32a5705f, v28
	v_sub_f32_e32 v24, v24, v46
	v_fmac_f32_e32 v47, 0x32a5705f, v29
	v_sub_f32_e32 v25, v25, v48
	v_add_f32_e32 v12, v22, v43
	v_exp_f32_e32 v6, v6
	v_cvt_i32_f32_e32 v23, v44
	v_fmac_f32_e32 v49, 0x32a5705f, v18
	v_sub_f32_e32 v26, v26, v50
	v_fmac_f32_e32 v51, 0x32a5705f, v19
	v_sub_f32_e32 v27, v27, v52
	;; [unrolled: 2-line block ×3, first 2 shown]
	v_add_f32_e32 v22, v24, v45
	v_add_f32_e32 v24, v25, v47
	v_exp_f32_e32 v12, v12
	v_mul_f32_e32 v31, 0x3fb8aa3b, v21
	v_cvt_i32_f32_e32 v42, v46
	v_cvt_i32_f32_e32 v44, v48
	v_add_f32_e32 v25, v26, v49
	v_add_f32_e32 v26, v27, v51
	;; [unrolled: 1-line block ×3, first 2 shown]
	v_exp_f32_e32 v22, v22
	v_exp_f32_e32 v24, v24
	v_fma_f32 v55, v21, s26, -v31
	v_rndne_f32_e32 v56, v31
	v_cvt_i32_f32_e32 v46, v50
	v_cvt_i32_f32_e32 v48, v52
	;; [unrolled: 1-line block ×3, first 2 shown]
	v_exp_f32_e32 v25, v25
	v_exp_f32_e32 v26, v26
	;; [unrolled: 1-line block ×3, first 2 shown]
	v_fmac_f32_e32 v55, 0x32a5705f, v21
	v_sub_f32_e32 v31, v31, v56
	v_ldexp_f32 v6, v6, v13
	v_cmp_ngt_f32_e64 s[12:13], s27, v5
	v_add_f32_e32 v30, v31, v55
	v_ldexp_f32 v12, v12, v23
	v_cmp_ngt_f32_e32 vcc, s27, v9
	v_cndmask_b32_e64 v6, 0, v6, s[12:13]
	v_cmp_nlt_f32_e64 s[12:13], s28, v5
	v_cvt_i32_f32_e32 v52, v56
	v_exp_f32_e32 v30, v30
	v_ldexp_f32 v13, v22, v42
	v_cmp_ngt_f32_e64 s[0:1], s27, v28
	v_ldexp_f32 v22, v24, v44
	v_cmp_ngt_f32_e64 s[2:3], s27, v29
	v_cndmask_b32_e32 v12, 0, v12, vcc
	v_cmp_nlt_f32_e32 vcc, s28, v9
	v_cndmask_b32_e64 v6, v8, v6, s[12:13]
	v_ldexp_f32 v23, v25, v46
	v_cmp_ngt_f32_e64 s[4:5], s27, v18
	v_ldexp_f32 v24, v26, v48
	v_cmp_ngt_f32_e64 s[6:7], s27, v19
	;; [unrolled: 2-line block ×3, first 2 shown]
	v_cndmask_b32_e64 v9, 0, v13, s[0:1]
	v_cmp_nlt_f32_e64 s[0:1], s28, v28
	v_cndmask_b32_e64 v13, 0, v22, s[2:3]
	v_cndmask_b32_e32 v12, v8, v12, vcc
	s_waitcnt vmcnt(7)
	v_pk_fma_f32 v[2:3], v[6:7], v[32:33], v[2:3] op_sel_hi:[0,1,1]
	v_cmp_nlt_f32_e64 s[2:3], s28, v29
	v_cndmask_b32_e64 v22, 0, v23, s[4:5]
	v_cmp_nlt_f32_e64 s[4:5], s28, v18
	v_cndmask_b32_e64 v23, 0, v24, s[6:7]
	;; [unrolled: 2-line block ×3, first 2 shown]
	v_cndmask_b32_e64 v18, v8, v9, s[0:1]
	s_waitcnt vmcnt(6)
	v_pk_fma_f32 v[2:3], v[12:13], v[34:35], v[2:3] op_sel_hi:[0,1,1]
	v_cmp_nlt_f32_e64 s[8:9], s28, v20
	v_cndmask_b32_e64 v20, v8, v13, s[2:3]
	s_waitcnt vmcnt(5)
	v_pk_fma_f32 v[2:3], v[18:19], v[36:37], v[2:3] op_sel_hi:[0,1,1]
	v_ldexp_f32 v26, v30, v52
	v_cmp_ngt_f32_e64 s[10:11], s27, v21
	v_cndmask_b32_e64 v22, v8, v22, s[4:5]
	s_waitcnt vmcnt(4)
	v_pk_fma_f32 v[2:3], v[20:21], v[38:39], v[2:3] op_sel_hi:[0,1,1]
	v_cndmask_b32_e64 v25, 0, v26, s[10:11]
	v_cndmask_b32_e64 v24, v8, v23, s[6:7]
	s_waitcnt vmcnt(3)
	v_pk_fma_f32 v[2:3], v[22:23], v[40:41], v[2:3] op_sel_hi:[0,1,1]
	v_cmp_nlt_f32_e64 s[10:11], s28, v21
	v_cndmask_b32_e64 v26, v8, v19, s[8:9]
	s_waitcnt vmcnt(2)
	v_pk_fma_f32 v[2:3], v[24:25], v[10:11], v[2:3] op_sel_hi:[0,1,1]
	s_add_i32 s29, s29, 8
	s_add_i32 s25, s25, 64
	v_cndmask_b32_e64 v28, v8, v25, s[10:11]
	s_waitcnt vmcnt(1)
	v_pk_fma_f32 v[2:3], v[26:27], v[14:15], v[2:3] op_sel_hi:[0,1,1]
	s_cmp_eq_u32 s24, s29
	v_add_u32_e32 v4, 0x380, v4
	s_waitcnt vmcnt(0)
	v_pk_fma_f32 v[2:3], v[28:29], v[16:17], v[2:3] op_sel_hi:[0,1,1]
	s_cbranch_scc0 .LBB23_24
; %bb.25:
	s_and_b32 s2, s23, 7
	s_cmp_eq_u32 s2, 0
	s_cbranch_scc0 .LBB23_28
	s_branch .LBB23_30
.LBB23_26:
	s_waitcnt lgkmcnt(0)
	v_mov_b32_e32 v1, 0x7fc00000
	s_branch .LBB23_31
.LBB23_27:
	v_mov_b32_e32 v2, 0
	s_mov_b32 s24, 0
	v_mov_b32_e32 v3, v2
	s_and_b32 s2, s23, 7
	s_cmp_eq_u32 s2, 0
	s_cbranch_scc1 .LBB23_30
.LBB23_28:
	s_lshl_b64 s[0:1], s[18:19], 2
	s_mul_i32 s3, s24, 0x70
	s_add_u32 s0, s16, s0
	v_add_u32_e32 v4, s3, v0
	v_mov_b32_e32 v5, 0
	s_addc_u32 s1, s17, s1
	v_lshl_add_u64 v[4:5], v[4:5], 2, s[0:1]
	s_lshl_b32 s0, s24, 3
	s_add_i32 s3, s0, 0
	s_mov_b32 s4, 0x3fb8aa3b
	s_mov_b32 s5, 0xc2ce8ed0
	;; [unrolled: 1-line block ×3, first 2 shown]
	v_mov_b32_e32 v6, 0x7f800000
	s_mov_b64 s[0:1], 0x1c0
.LBB23_29:                              ; =>This Inner Loop Header: Depth=1
	global_load_dword v9, v[4:5], off
	v_mov_b32_e32 v7, s3
	ds_read_b64 v[10:11], v7
	s_add_i32 s3, s3, 8
	s_add_i32 s2, s2, -1
	v_lshl_add_u64 v[4:5], v[4:5], 0, s[0:1]
	s_cmp_lg_u32 s2, 0
	s_waitcnt lgkmcnt(0)
	v_sub_f32_e32 v7, v10, v1
	v_mul_f32_e32 v8, 0x3fb8aa3b, v7
	v_fma_f32 v10, v7, s4, -v8
	v_rndne_f32_e32 v12, v8
	v_fmac_f32_e32 v10, 0x32a5705f, v7
	v_sub_f32_e32 v8, v8, v12
	v_add_f32_e32 v8, v8, v10
	v_cvt_i32_f32_e32 v12, v12
	v_exp_f32_e32 v10, v8
	v_cmp_ngt_f32_e32 vcc, s5, v7
	v_mov_b32_e32 v8, v11
	v_ldexp_f32 v10, v10, v12
	v_cndmask_b32_e32 v10, 0, v10, vcc
	v_cmp_nlt_f32_e32 vcc, s6, v7
	s_nop 1
	v_cndmask_b32_e32 v10, v6, v10, vcc
	s_waitcnt vmcnt(0)
	v_pk_fma_f32 v[2:3], v[10:11], v[8:9], v[2:3] op_sel_hi:[0,1,1]
	s_cbranch_scc1 .LBB23_29
.LBB23_30:
	s_waitcnt lgkmcnt(0)
	v_div_scale_f32 v1, s[0:1], v2, v2, v3
	v_rcp_f32_e32 v4, v1
	v_div_scale_f32 v5, vcc, v3, v2, v3
	v_fma_f32 v6, -v1, v4, 1.0
	v_fmac_f32_e32 v4, v6, v4
	v_mul_f32_e32 v6, v5, v4
	v_fma_f32 v7, -v1, v6, v5
	v_fmac_f32_e32 v6, v7, v4
	v_fma_f32 v1, -v1, v6, v5
	v_div_fmas_f32 v1, v1, v4, v6
	v_div_fixup_f32 v1, v1, v2, v3
.LBB23_31:
	s_mul_i32 s0, s22, 0x70
	s_ashr_i32 s1, s0, 31
	s_lshl_b64 s[0:1], s[0:1], 2
	s_add_u32 s0, s14, s0
	s_addc_u32 s1, s15, s1
	v_lshlrev_b32_e32 v0, 2, v0
	global_store_dword v0, v1, s[0:1]
	s_endpgm
	.section	.rodata,"a",@progbits
	.p2align	6, 0x0
	.amdhsa_kernel _ZL26flash_attn_combine_resultsILi112EEvPKfPK15HIP_vector_typeIfLj2EEPfi
		.amdhsa_group_segment_fixed_size 0
		.amdhsa_private_segment_fixed_size 0
		.amdhsa_kernarg_size 288
		.amdhsa_user_sgpr_count 2
		.amdhsa_user_sgpr_dispatch_ptr 0
		.amdhsa_user_sgpr_queue_ptr 0
		.amdhsa_user_sgpr_kernarg_segment_ptr 1
		.amdhsa_user_sgpr_dispatch_id 0
		.amdhsa_user_sgpr_kernarg_preload_length 0
		.amdhsa_user_sgpr_kernarg_preload_offset 0
		.amdhsa_user_sgpr_private_segment_size 0
		.amdhsa_uses_dynamic_stack 0
		.amdhsa_enable_private_segment 0
		.amdhsa_system_sgpr_workgroup_id_x 1
		.amdhsa_system_sgpr_workgroup_id_y 1
		.amdhsa_system_sgpr_workgroup_id_z 1
		.amdhsa_system_sgpr_workgroup_info 0
		.amdhsa_system_vgpr_workitem_id 0
		.amdhsa_next_free_vgpr 57
		.amdhsa_next_free_sgpr 30
		.amdhsa_accum_offset 60
		.amdhsa_reserve_vcc 1
		.amdhsa_float_round_mode_32 0
		.amdhsa_float_round_mode_16_64 0
		.amdhsa_float_denorm_mode_32 3
		.amdhsa_float_denorm_mode_16_64 3
		.amdhsa_dx10_clamp 1
		.amdhsa_ieee_mode 1
		.amdhsa_fp16_overflow 0
		.amdhsa_tg_split 0
		.amdhsa_exception_fp_ieee_invalid_op 0
		.amdhsa_exception_fp_denorm_src 0
		.amdhsa_exception_fp_ieee_div_zero 0
		.amdhsa_exception_fp_ieee_overflow 0
		.amdhsa_exception_fp_ieee_underflow 0
		.amdhsa_exception_fp_ieee_inexact 0
		.amdhsa_exception_int_div_zero 0
	.end_amdhsa_kernel
	.section	.text._ZL26flash_attn_combine_resultsILi112EEvPKfPK15HIP_vector_typeIfLj2EEPfi,"axG",@progbits,_ZL26flash_attn_combine_resultsILi112EEvPKfPK15HIP_vector_typeIfLj2EEPfi,comdat
.Lfunc_end23:
	.size	_ZL26flash_attn_combine_resultsILi112EEvPKfPK15HIP_vector_typeIfLj2EEPfi, .Lfunc_end23-_ZL26flash_attn_combine_resultsILi112EEvPKfPK15HIP_vector_typeIfLj2EEPfi
                                        ; -- End function
	.set _ZL26flash_attn_combine_resultsILi112EEvPKfPK15HIP_vector_typeIfLj2EEPfi.num_vgpr, 57
	.set _ZL26flash_attn_combine_resultsILi112EEvPKfPK15HIP_vector_typeIfLj2EEPfi.num_agpr, 0
	.set _ZL26flash_attn_combine_resultsILi112EEvPKfPK15HIP_vector_typeIfLj2EEPfi.numbered_sgpr, 30
	.set _ZL26flash_attn_combine_resultsILi112EEvPKfPK15HIP_vector_typeIfLj2EEPfi.num_named_barrier, 0
	.set _ZL26flash_attn_combine_resultsILi112EEvPKfPK15HIP_vector_typeIfLj2EEPfi.private_seg_size, 0
	.set _ZL26flash_attn_combine_resultsILi112EEvPKfPK15HIP_vector_typeIfLj2EEPfi.uses_vcc, 1
	.set _ZL26flash_attn_combine_resultsILi112EEvPKfPK15HIP_vector_typeIfLj2EEPfi.uses_flat_scratch, 0
	.set _ZL26flash_attn_combine_resultsILi112EEvPKfPK15HIP_vector_typeIfLj2EEPfi.has_dyn_sized_stack, 0
	.set _ZL26flash_attn_combine_resultsILi112EEvPKfPK15HIP_vector_typeIfLj2EEPfi.has_recursion, 0
	.set _ZL26flash_attn_combine_resultsILi112EEvPKfPK15HIP_vector_typeIfLj2EEPfi.has_indirect_call, 0
	.section	.AMDGPU.csdata,"",@progbits
; Kernel info:
; codeLenInByte = 3040
; TotalNumSgprs: 36
; NumVgprs: 57
; NumAgprs: 0
; TotalNumVgprs: 57
; ScratchSize: 0
; MemoryBound: 0
; FloatMode: 240
; IeeeMode: 1
; LDSByteSize: 0 bytes/workgroup (compile time only)
; SGPRBlocks: 4
; VGPRBlocks: 7
; NumSGPRsForWavesPerEU: 36
; NumVGPRsForWavesPerEU: 57
; AccumOffset: 60
; Occupancy: 8
; WaveLimiterHint : 0
; COMPUTE_PGM_RSRC2:SCRATCH_EN: 0
; COMPUTE_PGM_RSRC2:USER_SGPR: 2
; COMPUTE_PGM_RSRC2:TRAP_HANDLER: 0
; COMPUTE_PGM_RSRC2:TGID_X_EN: 1
; COMPUTE_PGM_RSRC2:TGID_Y_EN: 1
; COMPUTE_PGM_RSRC2:TGID_Z_EN: 1
; COMPUTE_PGM_RSRC2:TIDIG_COMP_CNT: 0
; COMPUTE_PGM_RSRC3_GFX90A:ACCUM_OFFSET: 14
; COMPUTE_PGM_RSRC3_GFX90A:TG_SPLIT: 0
	.section	.text._ZL18flash_attn_ext_f16ILi128ELi128ELi16ELi1ELb0ELb0EEvPKcS1_S1_S1_S1_PKiPfP15HIP_vector_typeIfLj2EEffffjfiS5_IjLj3EEiiiiiiiiiiiliiliiiiil,"axG",@progbits,_ZL18flash_attn_ext_f16ILi128ELi128ELi16ELi1ELb0ELb0EEvPKcS1_S1_S1_S1_PKiPfP15HIP_vector_typeIfLj2EEffffjfiS5_IjLj3EEiiiiiiiiiiiliiliiiiil,comdat
	.globl	_ZL18flash_attn_ext_f16ILi128ELi128ELi16ELi1ELb0ELb0EEvPKcS1_S1_S1_S1_PKiPfP15HIP_vector_typeIfLj2EEffffjfiS5_IjLj3EEiiiiiiiiiiiliiliiiiil ; -- Begin function _ZL18flash_attn_ext_f16ILi128ELi128ELi16ELi1ELb0ELb0EEvPKcS1_S1_S1_S1_PKiPfP15HIP_vector_typeIfLj2EEffffjfiS5_IjLj3EEiiiiiiiiiiiliiliiiiil
	.p2align	8
	.type	_ZL18flash_attn_ext_f16ILi128ELi128ELi16ELi1ELb0ELb0EEvPKcS1_S1_S1_S1_PKiPfP15HIP_vector_typeIfLj2EEffffjfiS5_IjLj3EEiiiiiiiiiiiliiliiiiil,@function
_ZL18flash_attn_ext_f16ILi128ELi128ELi16ELi1ELb0ELb0EEvPKcS1_S1_S1_S1_PKiPfP15HIP_vector_typeIfLj2EEffffjfiS5_IjLj3EEiiiiiiiiiiiliiliiiiil: ; @_ZL18flash_attn_ext_f16ILi128ELi128ELi16ELi1ELb0ELb0EEvPKcS1_S1_S1_S1_PKiPfP15HIP_vector_typeIfLj2EEffffjfiS5_IjLj3EEiiiiiiiiiiiliiliiiiil
; %bb.0:
	s_load_dwordx2 s[10:11], s[0:1], 0x80
	s_load_dwordx4 s[52:55], s[0:1], 0x64
	s_mov_b32 s61, s2
                                        ; implicit-def: $vgpr220 : SGPR spill to VGPR lane
	s_load_dword s60, s[0:1], 0xd0
	s_mov_b32 s4, 0
	s_waitcnt lgkmcnt(0)
	s_abs_i32 s2, s11
	v_cvt_f32_u32_e32 v1, s2
	s_sub_i32 s6, 0, s2
	s_abs_i32 s5, s53
	s_xor_b32 s3, s53, s11
	v_rcp_iflag_f32_e32 v1, v1
	s_ashr_i32 s3, s3, 31
	v_mul_f32_e32 v1, 0x4f7ffffe, v1
	v_cvt_u32_f32_e32 v1, v1
	s_nop 0
	v_readfirstlane_b32 s7, v1
	s_mul_i32 s6, s6, s7
	s_mul_hi_u32 s6, s7, s6
	s_add_i32 s7, s7, s6
	s_mul_hi_u32 s6, s5, s7
	s_mul_i32 s7, s6, s2
	s_sub_i32 s5, s5, s7
	s_add_i32 s8, s6, 1
	s_sub_i32 s7, s5, s2
	s_cmp_ge_u32 s5, s2
	s_cselect_b32 s6, s8, s6
	s_cselect_b32 s5, s7, s5
	s_add_i32 s7, s6, 1
	s_cmp_ge_u32 s5, s2
	s_cselect_b32 s2, s7, s6
	s_add_i32 s5, s10, 63
	s_xor_b32 s2, s2, s3
	s_ashr_i32 s6, s5, 31
	s_sub_i32 s3, s2, s3
	s_lshr_b32 s2, s6, 26
	s_add_i32 s5, s5, s2
	s_add_i32 s2, s52, 15
	s_lshr_b32 s2, s2, 4
	s_ashr_i32 s5, s5, 6
	v_writelane_b32 v220, s2, 0
	v_writelane_b32 v220, s5, 1
	s_mul_i32 s2, s2, s5
	v_writelane_b32 v220, s3, 2
	v_writelane_b32 v220, s2, 3
	s_mul_i32 s3, s2, s3
	s_mov_b32 s2, s10
	v_writelane_b32 v220, s2, 4
	s_nop 1
	v_writelane_b32 v220, s3, 5
	s_mul_i32 s2, s3, s11
	s_mul_i32 s8, s2, s54
	v_writelane_b32 v220, s3, 6
	s_ashr_i32 s9, s8, 31
	v_writelane_b32 v220, s2, 7
	s_mul_i32 s2, s9, s61
	s_mul_hi_u32 s3, s8, s61
	s_add_i32 s5, s3, s2
	s_cmp_lg_u64 s[4:5], 0
	s_mul_i32 s4, s8, s61
	s_cbranch_scc0 .LBB24_2
; %bb.1:
	s_add_u32 s2, s60, 0
	s_addc_u32 s3, 0, 0
	s_xor_b64 s[6:7], s[2:3], 0
	v_cvt_f32_u32_e32 v1, s6
	v_cvt_f32_u32_e32 v2, s7
	s_sub_u32 s12, 0, s6
	s_subb_u32 s13, 0, s7
	s_mov_b64 s[2:3], 0
	v_fmamk_f32 v1, v2, 0x4f800000, v1
	v_rcp_f32_e32 v1, v1
	s_nop 0
	v_mul_f32_e32 v1, 0x5f7ffffc, v1
	v_mul_f32_e32 v2, 0x2f800000, v1
	v_trunc_f32_e32 v2, v2
	v_fmamk_f32 v1, v2, 0xcf800000, v1
	v_cvt_u32_f32_e32 v2, v2
	v_cvt_u32_f32_e32 v1, v1
	v_readfirstlane_b32 s14, v2
	v_readfirstlane_b32 s10, v1
	s_mul_i32 s11, s12, s14
	s_mul_hi_u32 s16, s12, s10
	s_mul_i32 s15, s13, s10
	s_add_i32 s11, s16, s11
	s_add_i32 s11, s11, s15
	s_mul_i32 s17, s12, s10
	s_mul_i32 s16, s10, s11
	s_mul_hi_u32 s18, s10, s17
	s_mul_hi_u32 s15, s10, s11
	s_add_u32 s16, s18, s16
	s_addc_u32 s15, 0, s15
	s_mul_hi_u32 s19, s14, s17
	s_mul_i32 s17, s14, s17
	s_add_u32 s16, s16, s17
	s_mul_hi_u32 s18, s14, s11
	s_addc_u32 s15, s15, s19
	s_addc_u32 s16, s18, 0
	s_mul_i32 s11, s14, s11
	s_add_u32 s11, s15, s11
	s_addc_u32 s15, 0, s16
	s_add_u32 s16, s10, s11
	s_cselect_b64 s[10:11], -1, 0
	s_cmp_lg_u64 s[10:11], 0
	s_addc_u32 s14, s14, s15
	s_mul_i32 s10, s12, s14
	s_mul_hi_u32 s11, s12, s16
	s_add_i32 s10, s11, s10
	s_mul_i32 s13, s13, s16
	s_add_i32 s10, s10, s13
	s_mul_i32 s12, s12, s16
	s_mul_hi_u32 s13, s14, s12
	s_mul_i32 s15, s14, s12
	s_mul_i32 s18, s16, s10
	s_mul_hi_u32 s12, s16, s12
	s_mul_hi_u32 s17, s16, s10
	s_add_u32 s12, s12, s18
	s_addc_u32 s17, 0, s17
	s_add_u32 s12, s12, s15
	s_mul_hi_u32 s11, s14, s10
	s_addc_u32 s12, s17, s13
	s_addc_u32 s11, s11, 0
	s_mul_i32 s10, s14, s10
	s_add_u32 s10, s12, s10
	s_addc_u32 s12, 0, s11
	s_add_u32 s15, s16, s10
	s_cselect_b64 s[10:11], -1, 0
	s_cmp_lg_u64 s[10:11], 0
	s_addc_u32 s14, s14, s12
	s_ashr_i32 s10, s5, 31
	s_add_u32 s12, s4, s10
	s_mov_b32 s11, s10
	s_addc_u32 s13, s5, s10
	s_xor_b64 s[12:13], s[12:13], s[10:11]
	s_mul_i32 s16, s12, s14
	s_mul_hi_u32 s17, s12, s15
	s_mul_hi_u32 s5, s12, s14
	s_add_u32 s16, s17, s16
	s_addc_u32 s5, 0, s5
	s_mul_hi_u32 s18, s13, s15
	s_mul_i32 s15, s13, s15
	s_add_u32 s15, s16, s15
	s_mul_hi_u32 s17, s13, s14
	s_addc_u32 s5, s5, s18
	s_addc_u32 s15, s17, 0
	s_mul_i32 s14, s13, s14
	s_add_u32 s5, s5, s14
	s_addc_u32 s18, 0, s15
	s_mul_i32 s14, s6, s18
	s_mul_hi_u32 s15, s6, s5
	s_add_i32 s14, s15, s14
	s_mul_i32 s15, s7, s5
	s_add_i32 s19, s14, s15
	s_sub_i32 s16, s13, s19
	s_mul_i32 s14, s6, s5
	s_sub_u32 s12, s12, s14
	s_cselect_b64 s[14:15], -1, 0
	s_cmp_lg_u64 s[14:15], 0
	s_subb_u32 s20, s16, s7
	s_sub_u32 s21, s12, s6
	s_cselect_b64 s[16:17], -1, 0
	s_cmp_lg_u64 s[16:17], 0
	s_subb_u32 s16, s20, 0
	s_cmp_ge_u32 s16, s7
	s_cselect_b32 s17, -1, 0
	s_cmp_ge_u32 s21, s6
	s_cselect_b32 s20, -1, 0
	s_cmp_eq_u32 s16, s7
	s_cselect_b32 s16, s20, s17
	s_add_u32 s17, s5, 1
	s_addc_u32 s20, s18, 0
	s_add_u32 s21, s5, 2
	s_addc_u32 s22, s18, 0
	s_cmp_lg_u32 s16, 0
	s_cselect_b32 s16, s21, s17
	s_cselect_b32 s17, s22, s20
	s_cmp_lg_u64 s[14:15], 0
	s_subb_u32 s13, s13, s19
	s_cmp_ge_u32 s13, s7
	s_cselect_b32 s14, -1, 0
	s_cmp_ge_u32 s12, s6
	s_cselect_b32 s6, -1, 0
	s_cmp_eq_u32 s13, s7
	s_cselect_b32 s6, s6, s14
	s_cmp_lg_u32 s6, 0
	s_cselect_b32 s7, s17, s18
	s_cselect_b32 s6, s16, s5
	s_xor_b64 s[10:11], s[10:11], 0
	s_xor_b64 s[6:7], s[6:7], s[10:11]
	s_sub_u32 s78, s6, s10
	s_branch .LBB24_3
.LBB24_2:
	s_mov_b64 s[2:3], -1
                                        ; implicit-def: $sgpr78_sgpr79
.LBB24_3:
	s_load_dwordx2 s[6:7], s[0:1], 0x74
	v_cvt_f32_u32_e32 v1, s60
	s_andn2_b64 vcc, exec, s[2:3]
	s_waitcnt lgkmcnt(0)
	v_writelane_b32 v220, s6, 8
	s_nop 1
	v_writelane_b32 v220, s7, 9
	s_cbranch_vccnz .LBB24_5
; %bb.4:
	v_rcp_iflag_f32_e32 v2, v1
	s_sub_i32 s2, 0, s60
	v_mul_f32_e32 v2, 0x4f7ffffe, v2
	v_cvt_u32_f32_e32 v2, v2
	s_nop 0
	v_readfirstlane_b32 s3, v2
	s_mul_i32 s2, s2, s3
	s_mul_hi_u32 s2, s3, s2
	s_add_i32 s3, s3, s2
	s_mul_hi_u32 s2, s4, s3
	s_mul_i32 s5, s2, s60
	s_sub_i32 s4, s4, s5
	s_add_i32 s3, s2, 1
	s_sub_i32 s5, s4, s60
	s_cmp_ge_u32 s4, s60
	s_cselect_b32 s2, s3, s2
	s_cselect_b32 s4, s5, s4
	s_add_i32 s3, s2, 1
	s_cmp_ge_u32 s4, s60
	s_cselect_b32 s78, s3, s2
.LBB24_5:
	s_add_i32 s2, s61, 1
	s_mul_i32 s3, s9, s2
	s_mul_hi_u32 s4, s8, s2
	s_add_i32 s7, s4, s3
	s_mov_b32 s6, 0
	s_cmp_lg_u64 s[6:7], 0
	s_mul_i32 s6, s8, s2
	s_cbranch_scc0 .LBB24_300
; %bb.6:
	s_add_u32 s2, s60, 0
	s_addc_u32 s3, 0, 0
	s_xor_b64 s[4:5], s[2:3], 0
	v_cvt_f32_u32_e32 v2, s4
	v_cvt_f32_u32_e32 v3, s5
	s_sub_u32 s10, 0, s4
	s_subb_u32 s11, 0, s5
	v_fmamk_f32 v2, v3, 0x4f800000, v2
	v_rcp_f32_e32 v2, v2
	s_nop 0
	v_mul_f32_e32 v2, 0x5f7ffffc, v2
	v_mul_f32_e32 v3, 0x2f800000, v2
	v_trunc_f32_e32 v3, v3
	v_fmamk_f32 v2, v3, 0xcf800000, v2
	v_cvt_u32_f32_e32 v3, v3
	v_cvt_u32_f32_e32 v2, v2
	v_readfirstlane_b32 s12, v3
	v_readfirstlane_b32 s8, v2
	s_mul_i32 s9, s10, s12
	s_mul_hi_u32 s14, s10, s8
	s_mul_i32 s13, s11, s8
	s_add_i32 s9, s14, s9
	s_add_i32 s9, s9, s13
	s_mul_i32 s15, s10, s8
	s_mul_i32 s14, s8, s9
	s_mul_hi_u32 s16, s8, s15
	s_mul_hi_u32 s13, s8, s9
	s_add_u32 s14, s16, s14
	s_addc_u32 s13, 0, s13
	s_mul_hi_u32 s17, s12, s15
	s_mul_i32 s15, s12, s15
	s_add_u32 s14, s14, s15
	s_mul_hi_u32 s16, s12, s9
	s_addc_u32 s13, s13, s17
	s_addc_u32 s14, s16, 0
	s_mul_i32 s9, s12, s9
	s_add_u32 s9, s13, s9
	s_addc_u32 s13, 0, s14
	s_add_u32 s14, s8, s9
	s_cselect_b64 s[8:9], -1, 0
	s_cmp_lg_u64 s[8:9], 0
	s_addc_u32 s12, s12, s13
	s_mul_i32 s8, s10, s12
	s_mul_hi_u32 s9, s10, s14
	s_add_i32 s8, s9, s8
	s_mul_i32 s11, s11, s14
	s_add_i32 s8, s8, s11
	s_mul_i32 s10, s10, s14
	s_mul_hi_u32 s11, s12, s10
	s_mul_i32 s13, s12, s10
	s_mul_i32 s16, s14, s8
	s_mul_hi_u32 s10, s14, s10
	s_mul_hi_u32 s15, s14, s8
	s_add_u32 s10, s10, s16
	s_addc_u32 s15, 0, s15
	s_add_u32 s10, s10, s13
	s_mul_hi_u32 s9, s12, s8
	s_addc_u32 s10, s15, s11
	s_addc_u32 s9, s9, 0
	s_mul_i32 s8, s12, s8
	s_add_u32 s8, s10, s8
	s_addc_u32 s10, 0, s9
	s_add_u32 s13, s14, s8
	s_cselect_b64 s[8:9], -1, 0
	s_cmp_lg_u64 s[8:9], 0
	s_addc_u32 s12, s12, s10
	s_ashr_i32 s8, s7, 31
	s_add_u32 s10, s6, s8
	s_mov_b32 s9, s8
	s_addc_u32 s11, s7, s8
	s_xor_b64 s[10:11], s[10:11], s[8:9]
	s_mul_i32 s14, s10, s12
	s_mul_hi_u32 s15, s10, s13
	s_mul_hi_u32 s7, s10, s12
	s_add_u32 s14, s15, s14
	s_addc_u32 s7, 0, s7
	s_mul_hi_u32 s16, s11, s13
	s_mul_i32 s13, s11, s13
	s_add_u32 s13, s14, s13
	s_mul_hi_u32 s15, s11, s12
	s_addc_u32 s7, s7, s16
	s_addc_u32 s13, s15, 0
	s_mul_i32 s12, s11, s12
	s_add_u32 s7, s7, s12
	s_addc_u32 s16, 0, s13
	s_mul_i32 s12, s4, s16
	s_mul_hi_u32 s13, s4, s7
	s_add_i32 s12, s13, s12
	s_mul_i32 s13, s5, s7
	s_add_i32 s17, s12, s13
	s_sub_i32 s14, s11, s17
	s_mul_i32 s12, s4, s7
	s_sub_u32 s10, s10, s12
	s_cselect_b64 s[12:13], -1, 0
	s_cmp_lg_u64 s[12:13], 0
	s_subb_u32 s18, s14, s5
	s_sub_u32 s19, s10, s4
	s_cselect_b64 s[14:15], -1, 0
	s_cmp_lg_u64 s[14:15], 0
	s_subb_u32 s14, s18, 0
	s_cmp_ge_u32 s14, s5
	s_cselect_b32 s15, -1, 0
	s_cmp_ge_u32 s19, s4
	s_cselect_b32 s18, -1, 0
	s_cmp_eq_u32 s14, s5
	s_cselect_b32 s14, s18, s15
	s_add_u32 s15, s7, 1
	s_addc_u32 s18, s16, 0
	s_add_u32 s19, s7, 2
	s_addc_u32 s20, s16, 0
	s_cmp_lg_u32 s14, 0
	s_cselect_b32 s14, s19, s15
	s_cselect_b32 s15, s20, s18
	s_cmp_lg_u64 s[12:13], 0
	s_subb_u32 s11, s11, s17
	s_cmp_ge_u32 s11, s5
	s_cselect_b32 s12, -1, 0
	s_cmp_ge_u32 s10, s4
	s_cselect_b32 s4, -1, 0
	s_cmp_eq_u32 s11, s5
	s_cselect_b32 s4, s4, s12
	s_cmp_lg_u32 s4, 0
	s_cselect_b32 s5, s15, s16
	s_cselect_b32 s4, s14, s7
	s_xor_b64 s[8:9], s[8:9], 0
	s_xor_b64 s[4:5], s[4:5], s[8:9]
	s_sub_u32 s4, s4, s8
	v_writelane_b32 v220, s4, 10
	s_nop 1
	v_writelane_b32 v220, s5, 11
	s_load_dwordx2 s[68:69], s[0:1], 0x5c
	s_cbranch_execnz .LBB24_8
.LBB24_7:
	v_rcp_iflag_f32_e32 v1, v1
	s_sub_i32 s2, 0, s60
	v_mul_f32_e32 v1, 0x4f7ffffe, v1
	v_cvt_u32_f32_e32 v1, v1
	s_nop 0
	v_readfirstlane_b32 s3, v1
	s_mul_i32 s2, s2, s3
	s_mul_hi_u32 s2, s3, s2
	s_add_i32 s3, s3, s2
	s_mul_hi_u32 s2, s6, s3
	s_mul_i32 s4, s2, s60
	s_sub_i32 s4, s6, s4
	s_add_i32 s3, s2, 1
	s_sub_i32 s5, s4, s60
	s_cmp_ge_u32 s4, s60
	s_cselect_b32 s2, s3, s2
	s_cselect_b32 s4, s5, s4
	s_add_i32 s3, s2, 1
	s_cmp_ge_u32 s4, s60
	s_cselect_b32 s2, s3, s2
	v_writelane_b32 v220, s2, 10
	s_nop 1
	v_writelane_b32 v220, s3, 11
.LBB24_8:
	s_load_dwordx16 s[36:51], s[0:1], 0x0
	s_load_dwordx4 s[12:15], s[0:1], 0x40
	s_load_dword s2, s[0:1], 0x50
	s_ashr_i32 s93, s55, 3
	v_bfe_u32 v113, v0, 10, 10
	s_mov_b32 s87, 0
	s_waitcnt lgkmcnt(0)
	v_cvt_f16_f32_e32 v117, s12
	v_writelane_b32 v220, s2, 12
	s_load_dwordx2 s[2:3], s[0:1], 0x8c
	s_load_dwordx4 s[56:59], s[0:1], 0x98
	s_load_dwordx2 s[76:77], s[0:1], 0xa8
	s_load_dwordx2 s[18:19], s[0:1], 0xb8
	s_nop 0
	s_load_dwordx2 s[0:1], s[0:1], 0xc8
	s_waitcnt lgkmcnt(0)
	s_ashr_i32 s66, s2, 2
	s_ashr_i32 s54, s58, 2
	v_lshlrev_b32_e32 v114, 2, v113
	s_ashr_i32 s70, s19, 1
	v_writelane_b32 v220, s0, 13
	v_add_u32_e32 v116, 4, v113
	v_add_u32_e32 v59, 8, v113
	v_writelane_b32 v220, s1, 14
	s_mov_b32 s1, s3
	v_readlane_b32 s6, v220, 1
	s_abs_i32 s85, s6
	v_cvt_f32_u32_e32 v1, s85
	s_sub_i32 s2, 0, s85
	v_writelane_b32 v220, s0, 15
	v_add_u32_e32 v55, 12, v113
	v_rcp_iflag_f32_e32 v1, v1
	v_writelane_b32 v220, s1, 16
	s_ashr_i32 s1, s6, 31
	v_writelane_b32 v220, s1, 17
	v_mul_f32_e32 v1, 0x4f7ffffe, v1
	v_cvt_u32_f32_e32 v1, v1
	s_abs_i32 s1, s78
	s_ashr_i32 s0, s78, 31
	v_lshlrev_b32_e32 v112, 4, v113
	v_readfirstlane_b32 s3, v1
	s_mul_i32 s2, s2, s3
	s_mul_hi_u32 s2, s3, s2
	s_add_i32 s58, s3, s2
	s_mul_hi_u32 s2, s1, s58
	s_mul_i32 s2, s2, s85
	s_sub_i32 s1, s1, s2
	s_sub_i32 s2, s1, s85
	s_cmp_ge_u32 s1, s85
	s_cselect_b32 s1, s2, s1
	s_sub_i32 s2, s1, s85
	s_cmp_ge_u32 s1, s85
	s_cselect_b32 s1, s2, s1
	s_xor_b32 s1, s1, s0
	s_sub_i32 s30, s1, s0
	v_readlane_b32 s0, v220, 10
	s_mov_b32 s8, s0
	s_sub_i32 s0, s0, s78
	s_add_i32 s2, s0, s30
	s_min_i32 s62, s6, s2
	s_cmp_gt_i32 s8, s78
	v_readlane_b32 s1, v220, 11
	s_cselect_b64 s[4:5], -1, 0
	s_cmp_le_i32 s8, s78
	s_cselect_b64 s[0:1], -1, 0
	s_cmp_gt_i32 s6, s2
	s_cselect_b64 s[2:3], -1, 0
	s_or_b64 s[0:1], s[2:3], s[0:1]
	s_and_b64 vcc, exec, s[0:1]
	v_mbcnt_lo_u32_b32 v115, -1, 0
	s_cbranch_vccz .LBB24_11
; %bb.9:
	s_andn2_b64 vcc, exec, s[4:5]
	s_cbranch_vccz .LBB24_268
.LBB24_10:
	s_endpgm
.LBB24_11:
	s_cmp_lg_u64 s[42:43], 0
	v_writelane_b32 v220, s60, 18
	s_cselect_b64 s[0:1], -1, 0
	v_writelane_b32 v220, s0, 19
	s_cmp_eq_u64 s[44:45], 0
	s_mov_b64 s[2:3], s[14:15]
	v_writelane_b32 v220, s1, 20
	s_mul_i32 s0, s52, s53
	v_writelane_b32 v220, s0, 21
	s_cselect_b64 s[0:1], -1, 0
	v_writelane_b32 v220, s0, 22
	v_and_b32_e32 v54, 0x3ff, v0
	v_lshlrev_b32_e32 v1, 2, v54
	v_writelane_b32 v220, s1, 23
	s_mov_b32 s1, s13
	v_writelane_b32 v220, s0, 24
	v_bfe_u32 v9, v0, 4, 6
	v_add_u32_e32 v120, v9, v114
	v_writelane_b32 v220, s1, 25
	v_writelane_b32 v220, s2, 26
	v_and_b32_e32 v58, 60, v1
	v_writelane_b32 v220, s3, 27
	v_add_u32_e32 v118, 0, v1
	v_and_b32_e32 v2, 0x3f0, v114
	s_movk_i32 s2, 0x110
	v_and_b32_e32 v4, 15, v0
	v_lshrrev_b32_e32 v6, 1, v0
	v_and_b32_e32 v7, 48, v112
	v_mul_u32_u24_e32 v9, 0x110, v120
	v_lshlrev_b32_e32 v1, 2, v58
	v_mad_u32_u24 v3, v2, s2, 0
	v_mul_u32_u24_e32 v5, 0x110, v4
	v_and_b32_e32 v6, 0x78, v6
	v_mad_u32_u24 v8, v7, s2, 0
	v_add3_u32 v121, 0, v9, v1
	v_bfe_u32 v1, v0, 2, 8
	v_add3_u32 v119, v3, v5, v6
	v_add3_u32 v122, v8, v5, v6
	v_and_b32_e32 v5, 60, v1
	v_add_u32_e32 v123, v5, v7
	v_add_u16_e32 v7, v5, v7
	v_cmp_nle_f32_e64 s[0:1], s13, 0
	v_or_b32_e32 v2, v2, v4
	v_lshrrev_b16_e32 v7, 1, v7
	v_writelane_b32 v220, s0, 28
	s_cmp_lg_u64 s[46:47], 0
	v_mul_u32_u24_e32 v2, 0x90, v2
	v_lshlrev_b32_e32 v7, 2, v7
	v_or_b32_e32 v1, 3, v1
	v_writelane_b32 v220, s1, 29
	s_cselect_b64 s[0:1], -1, 0
	v_add3_u32 v124, 0, v2, v7
	v_mul_u32_u24_e32 v2, 0x110, v5
	v_mul_u32_u24_e32 v1, 0x110, v1
	v_lshlrev_b32_e32 v5, 1, v4
	v_writelane_b32 v220, s0, 30
	v_add3_u32 v126, v8, v1, v5
	v_bfe_u32 v1, v0, 10, 2
	v_writelane_b32 v220, s1, 31
	v_cmp_eq_u32_e64 s[2:3], 0, v1
	v_add3_u32 v125, v8, v2, v5
	v_bfe_u32 v2, v113, 2, 4
	v_writelane_b32 v220, s2, 32
	s_movk_i32 s6, 0xc0
	s_lshl_b32 s86, s61, 4
	v_writelane_b32 v220, s3, 33
	v_cmp_ne_u32_e64 s[2:3], 0, v1
	v_or_b32_e32 v1, v114, v54
	v_lshlrev_b32_e32 v56, 3, v1
	v_or_b32_e32 v1, v112, v4
	v_mul_u32_u24_e32 v1, 0x110, v1
	v_add3_u32 v127, 0, v1, v6
	v_lshrrev_b32_e32 v1, 10, v0
	v_bfe_u32 v128, v1, 2, 8
	v_add_u32_e32 v129, 1, v128
	v_and_or_b32 v1, v1, s6, v2
	v_lshlrev_b32_e32 v2, 2, v129
	v_and_b32_e32 v5, 15, v129
	s_movk_i32 s6, 0x1c0
	v_add_u32_e32 v130, 2, v128
	v_and_or_b32 v2, v2, s6, v5
	v_lshlrev_b32_e32 v5, 2, v130
	v_and_b32_e32 v6, 15, v130
	v_add_u32_e32 v131, 3, v128
	v_and_or_b32 v5, v5, s6, v6
	v_lshlrev_b32_e32 v6, 2, v131
	v_and_b32_e32 v7, 15, v131
	;; [unrolled: 4-line block ×8, first 2 shown]
	v_add_u32_e32 v138, 10, v128
	v_writelane_b32 v220, s2, 34
	v_and_or_b32 v12, v12, s6, v13
	v_lshlrev_b32_e32 v13, 2, v138
	v_and_b32_e32 v14, 15, v138
	v_add_u32_e32 v139, 11, v128
	v_writelane_b32 v220, s3, 35
	v_and_or_b32 v13, v13, s6, v14
	v_lshlrev_b32_e32 v14, 2, v139
	v_and_b32_e32 v15, 15, v139
	v_add_u32_e32 v140, 12, v128
	s_ashr_i32 s71, s70, 31
	s_ashr_i32 s67, s66, 31
	;; [unrolled: 1-line block ×3, first 2 shown]
	s_lshl_b32 s5, s66, 4
	s_lshl_b32 s16, s54, 4
	v_writelane_b32 v220, s61, 36
	s_lshl_b64 s[2:3], s[86:87], 3
	v_and_or_b32 v14, v14, s6, v15
	v_lshlrev_b32_e32 v15, 2, v140
	v_and_b32_e32 v16, 15, v140
	v_add_u32_e32 v141, 13, v128
	s_mov_b64 s[88:89], src_private_base
	s_add_u32 s2, s50, s2
	v_and_or_b32 v15, v15, s6, v16
	v_lshlrev_b32_e32 v16, 2, v141
	v_and_b32_e32 v17, 15, v141
	v_add_u32_e32 v142, 14, v128
	v_readlane_b32 s23, v220, 7
	s_addc_u32 s3, s51, s3
	v_and_or_b32 v16, v16, s6, v17
	v_lshlrev_b32_e32 v17, 2, v142
	v_and_b32_e32 v18, 15, v142
	s_abs_i32 s88, s23
	v_and_or_b32 v17, v17, s6, v18
	v_cvt_f32_u32_e32 v18, s88
	v_readlane_b32 s22, v220, 6
	s_abs_i32 s61, s22
	v_cvt_f32_u32_e32 v19, s61
	v_rcp_iflag_f32_e32 v18, v18
	v_add_u32_e32 v143, 15, v128
	v_lshlrev_b32_e32 v20, 2, v143
	v_and_b32_e32 v21, 15, v143
	v_mul_f32_e32 v18, 0x4f7ffffe, v18
	v_readlane_b32 s21, v220, 3
	v_mul_lo_u32 v62, s66, v120
	v_rcp_iflag_f32_e32 v19, v19
	v_and_or_b32 v20, v20, s6, v21
	v_cvt_u32_f32_e32 v18, v18
	s_abs_i32 s63, s21
	s_mov_b32 s6, s18
	v_add_u32_e32 v64, s5, v62
	v_cvt_f32_u32_e32 v21, s63
	v_writelane_b32 v220, s6, 37
	v_add_u32_e32 v66, s5, v64
	v_add_u32_e32 v68, s5, v66
	v_writelane_b32 v220, s7, 38
	s_lshl_b32 s5, s53, 6
	v_writelane_b32 v220, s5, 39
	s_ashr_i32 s5, s23, 31
	v_mul_f32_e32 v19, 0x4f7ffffe, v19
	s_abs_i32 s24, s18
	v_readfirstlane_b32 s17, v18
	v_writelane_b32 v220, s5, 40
	s_sub_i32 s5, 0, s88
	v_cvt_u32_f32_e32 v19, v19
	v_cvt_f32_u32_e32 v22, s24
	v_rcp_iflag_f32_e32 v18, v21
	s_mul_i32 s5, s5, s17
	s_mul_hi_u32 s5, s17, s5
	s_add_i32 s5, s17, s5
	v_writelane_b32 v220, s5, 41
	s_ashr_i32 s5, s22, 31
	v_readfirstlane_b32 s18, v19
	v_rcp_iflag_f32_e32 v19, v22
	v_mul_f32_e32 v18, 0x4f7ffffe, v18
	v_writelane_b32 v220, s5, 42
	s_sub_i32 s5, 0, s61
	v_cvt_u32_f32_e32 v18, v18
	s_mul_i32 s5, s5, s18
	s_mul_hi_u32 s5, s18, s5
	s_add_i32 s5, s18, s5
	v_mul_f32_e32 v19, 0x4f7ffffe, v19
	v_writelane_b32 v220, s5, 43
	s_ashr_i32 s5, s21, 31
	v_cvt_u32_f32_e32 v19, v19
	v_readfirstlane_b32 s19, v18
	v_writelane_b32 v220, s5, 44
	s_sub_i32 s5, 0, s63
	s_mul_i32 s5, s5, s19
	s_mul_hi_u32 s5, s19, s5
	s_add_i32 s5, s19, s5
	v_readfirstlane_b32 s20, v19
	v_writelane_b32 v220, s5, 45
	s_sub_i32 s5, 0, s24
	s_mul_i32 s5, s5, s20
	s_mul_hi_u32 s5, s20, s5
	v_mov_b32_e32 v57, 0
	v_writelane_b32 v220, s24, 46
	s_add_i32 s5, s20, s5
	v_writelane_b32 v220, s5, 47
	v_lshl_add_u64 v[80:81], s[2:3], 0, v[56:57]
	v_cmp_gt_u32_e64 s[2:3], 16, v54
	v_mul_lo_u32 v70, s54, v120
	v_add_u32_e32 v72, s16, v70
	v_writelane_b32 v220, s2, 48
	v_add_u32_e32 v74, s16, v72
	v_mul_u32_u24_e32 v3, 0x90, v113
	v_writelane_b32 v220, s3, 49
	s_mov_b32 s2, s70
	v_writelane_b32 v220, s2, 50
	v_lshlrev_b32_e32 v60, 1, v54
	v_add_u32_e32 v76, s16, v74
	v_writelane_b32 v220, s3, 51
	s_lshl_b64 s[2:3], s[70:71], 1
	s_mov_b32 s4, 0x10001
	v_add3_u32 v144, 0, v3, v60
	v_ashrrev_i32_e32 v63, 31, v62
	v_ashrrev_i32_e32 v65, 31, v64
	;; [unrolled: 1-line block ×8, first 2 shown]
	v_add_u32_e32 v3, v112, v54
	v_writelane_b32 v220, s2, 52
	v_cmp_gt_u32_e64 s[0:1], 64, v54
	v_cmp_gt_u32_e64 s[6:7], 64, v120
	;; [unrolled: 1-line block ×6, first 2 shown]
	v_mul_u32_u24_e32 v145, 0x110, v3
	v_mul_u32_u24_e32 v146, 0x110, v1
	;; [unrolled: 1-line block ×17, first 2 shown]
	v_mov_b32_e32 v61, v57
	v_lshlrev_b32_e32 v78, 4, v4
	v_mov_b32_e32 v79, v57
	s_mov_b32 s53, 0x42b17218
	s_mov_b32 s33, 0x3fb8aa3b
	v_mov_b32_e32 v2, v57
	s_mov_b32 s65, 0xc2ce8ed0
	s_mov_b32 s64, 0xc1a00000
	v_mov_b32_e32 v3, v57
	v_mov_b32_e32 v4, v57
	v_mov_b32_e32 v5, v57
	s_mov_b32 s22, 0x5040100
	v_mul_lo_u32 v162, v117, s4
	v_add_u32_e32 v163, 0x240, v144
	v_add_u32_e32 v164, 0x480, v144
	;; [unrolled: 1-line block ×9, first 2 shown]
	v_or_b32_e32 v172, 1, v123
	v_or_b32_e32 v173, 2, v123
	;; [unrolled: 1-line block ×3, first 2 shown]
	v_mul_u32_u24_e32 v175, 0x110, v113
	v_mov_b32_e32 v176, 0x3e91f4c4
	v_mov_b32_e32 v177, 0x37000000
	;; [unrolled: 1-line block ×4, first 2 shown]
	v_mbcnt_hi_u32_b32 v180, -1, v115
	v_mov_b32_e32 v181, 0
	v_lshl_add_u64 v[82:83], v[70:71], 2, s[40:41]
	v_lshl_add_u64 v[84:85], v[72:73], 2, s[40:41]
	;; [unrolled: 1-line block ×8, first 2 shown]
	v_cmp_gt_u32_e64 s[16:17], 63, v123
	v_cmp_gt_u32_e64 s[18:19], 62, v123
	;; [unrolled: 1-line block ×3, first 2 shown]
	v_writelane_b32 v220, s3, 53
	s_lshl_b64 s[82:83], s[54:55], 8
	s_lshl_b64 s[90:91], s[66:67], 8
	s_mov_b64 s[2:3], 0x80
                                        ; implicit-def: $vgpr1
	v_writelane_b32 v220, s58, 54
	s_branch .LBB24_14
.LBB24_12:                              ;   in Loop: Header=BB24_14 Depth=1
	s_or_b64 exec, exec, s[24:25]
	s_barrier
.LBB24_13:                              ;   in Loop: Header=BB24_14 Depth=1
	v_readlane_b32 s25, v220, 1
	s_add_i32 s4, s78, s25
	s_abs_i32 s23, s4
	v_readlane_b32 s58, v220, 54
	s_mul_hi_u32 s24, s23, s58
	s_mul_i32 s24, s24, s85
	s_sub_i32 s23, s23, s24
	s_ashr_i32 s5, s4, 31
	s_sub_i32 s24, s23, s85
	s_cmp_ge_u32 s23, s85
	s_cselect_b32 s23, s24, s23
	s_sub_i32 s24, s23, s85
	s_cmp_ge_u32 s23, s85
	s_cselect_b32 s23, s24, s23
	s_xor_b32 s23, s23, s5
	s_sub_i32 s5, s5, s23
	s_add_i32 s78, s4, s5
	v_readlane_b32 s4, v220, 10
	s_sub_i32 s23, s4, s78
	s_min_i32 s62, s25, s23
	v_readlane_b32 s5, v220, 11
	s_cmp_gt_i32 s4, s78
	s_cselect_b64 s[4:5], -1, 0
	s_cmp_le_i32 s25, s23
	s_cselect_b64 s[24:25], -1, 0
	s_and_b64 s[24:25], s[24:25], s[4:5]
	s_mov_b32 s30, 0
	s_and_b64 vcc, exec, s[24:25]
	s_cbranch_vccz .LBB24_267
.LBB24_14:                              ; =>This Loop Header: Depth=1
                                        ;     Child Loop BB24_167 Depth 2
                                        ;     Child Loop BB24_39 Depth 2
	s_ashr_i32 s4, s78, 31
	v_readlane_b32 s5, v220, 40
	s_xor_b32 s4, s4, s5
	s_abs_i32 s5, s78
	v_readlane_b32 s23, v220, 41
	s_mul_hi_u32 s23, s5, s23
	s_mul_i32 s24, s23, s88
	s_sub_i32 s5, s5, s24
	s_add_i32 s24, s23, 1
	s_sub_i32 s25, s5, s88
	s_cmp_ge_u32 s5, s88
	s_cselect_b32 s23, s24, s23
	s_cselect_b32 s5, s25, s5
	s_add_i32 s24, s23, 1
	s_cmp_ge_u32 s5, s88
	s_cselect_b32 s5, s24, s23
	s_xor_b32 s5, s5, s4
	v_readlane_b32 s24, v220, 19
	s_sub_i32 s4, s5, s4
	v_readlane_b32 s25, v220, 20
	s_ashr_i32 s5, s4, 31
	s_andn2_b64 vcc, exec, s[24:25]
	s_mov_b64 s[96:97], 0
	s_cbranch_vccnz .LBB24_16
; %bb.15:                               ;   in Loop: Header=BB24_14 Depth=1
	s_abs_i32 s23, s4
	v_readlane_b32 s24, v220, 47
	s_mul_hi_u32 s24, s23, s24
	v_readlane_b32 s25, v220, 46
	s_mul_i32 s24, s24, s25
	s_sub_i32 s23, s23, s24
	s_sub_i32 s24, s23, s25
	s_cmp_ge_u32 s23, s25
	s_cselect_b32 s23, s24, s23
	s_sub_i32 s24, s23, s25
	s_cmp_ge_u32 s23, s25
	s_cselect_b32 s23, s24, s23
	s_xor_b32 s23, s23, s5
	s_sub_i32 s23, s23, s5
	s_ashr_i32 s24, s23, 31
	v_readlane_b32 s26, v220, 13
	v_readlane_b32 s27, v220, 14
	s_mul_i32 s24, s26, s24
	s_mul_hi_u32 s25, s26, s23
	s_add_i32 s24, s25, s24
	s_mul_i32 s25, s27, s23
	s_add_i32 s24, s24, s25
	s_mul_i32 s23, s26, s23
	s_add_u32 s96, s42, s23
	s_addc_u32 s97, s43, s24
.LBB24_16:                              ;   in Loop: Header=BB24_14 Depth=1
	v_readlane_b32 s23, v220, 7
	s_mul_i32 s23, s4, s23
	s_sub_i32 s23, s78, s23
	s_ashr_i32 s24, s23, 31
	v_readlane_b32 s25, v220, 42
	s_xor_b32 s24, s24, s25
	s_abs_i32 s25, s23
	v_readlane_b32 s26, v220, 43
	s_mul_hi_u32 s26, s25, s26
	s_mul_i32 s27, s26, s61
	s_sub_i32 s25, s25, s27
	s_add_i32 s27, s26, 1
	s_sub_i32 s28, s25, s61
	s_cmp_ge_u32 s25, s61
	s_cselect_b32 s26, s27, s26
	s_cselect_b32 s25, s28, s25
	s_add_i32 s27, s26, 1
	s_cmp_ge_u32 s25, s61
	s_cselect_b32 s25, s27, s26
	s_xor_b32 s25, s25, s24
	s_sub_i32 s31, s25, s24
	v_readlane_b32 s24, v220, 6
	s_mul_i32 s24, s31, s24
	s_sub_i32 s23, s23, s24
	s_ashr_i32 s24, s23, 31
	v_readlane_b32 s25, v220, 44
	s_xor_b32 s24, s24, s25
	s_abs_i32 s25, s23
	v_readlane_b32 s26, v220, 45
	s_mul_hi_u32 s26, s25, s26
	s_mul_i32 s27, s26, s63
	s_sub_i32 s25, s25, s27
	s_add_i32 s27, s26, 1
	s_sub_i32 s28, s25, s63
	s_cmp_ge_u32 s25, s63
	s_cselect_b32 s26, s27, s26
	s_cselect_b32 s25, s28, s25
	s_add_i32 s27, s26, 1
	s_cmp_ge_u32 s25, s63
	s_cselect_b32 s25, s27, s26
	s_xor_b32 s25, s25, s24
	s_sub_i32 s29, s25, s24
	v_readlane_b32 s24, v220, 2
	s_mul_i32 s24, s31, s24
	s_add_i32 s28, s24, s29
	v_readlane_b32 s24, v220, 28
	v_readlane_b32 s25, v220, 29
	s_andn2_b64 vcc, exec, s[24:25]
	v_mov_b32_e32 v98, 1.0
	s_cbranch_vccnz .LBB24_18
; %bb.17:                               ;   in Loop: Header=BB24_14 Depth=1
	v_readlane_b32 s24, v220, 12
	s_brev_b32 s60, -2
	s_nop 0
	v_mov_b32_e32 v1, s24
	v_readlane_b32 s24, v220, 24
	v_sub_co_u32_e32 v1, vcc, s28, v1
	s_add_i32 s24, s28, 1
	v_lshlrev_b32_e32 v1, 1, v1
	v_mov_b32_e32 v7, s24
	v_or_b32_e32 v1, 1, v1
	v_cndmask_b32_e32 v1, v1, v7, vcc
	v_readlane_b32 s26, v220, 26
	v_readlane_b32 s27, v220, 27
	v_cvt_f32_i32_e32 v1, v1
	v_mov_b32_e32 v7, s26
	v_mov_b32_e32 v6, s27
	v_cndmask_b32_e32 v6, v6, v7, vcc
	v_cmp_neq_f32_e32 vcc, 1.0, v6
	s_mov_b32 s24, 0x3f2aaaab
	s_movk_i32 s26, 0x204
	v_cndmask_b32_e32 v1, 1.0, v1, vcc
	v_cmp_neq_f32_e32 vcc, 0, v1
	v_readlane_b32 s25, v220, 25
	s_nop 0
	v_cndmask_b32_e32 v22, 1.0, v6, vcc
	v_frexp_mant_f32_e64 v6, |v22|
	v_cmp_gt_f32_e32 vcc, s24, v6
	s_mov_b32 s24, 0x3f317218
	v_cmp_class_f32_e64 s[34:35], v22, s26
	v_cndmask_b32_e64 v7, 1.0, 2.0, vcc
	v_mul_f32_e32 v6, v6, v7
	v_add_f32_e32 v9, 1.0, v6
	v_rcp_f32_e32 v14, v9
	v_add_f32_e32 v7, -1.0, v9
	v_sub_f32_e32 v11, v6, v7
	v_add_f32_e32 v7, -1.0, v6
	v_mul_f32_e32 v15, v7, v14
	v_mul_f32_e32 v8, v9, v15
	v_fma_f32 v10, v15, v9, -v8
	v_fmac_f32_e32 v10, v15, v11
	v_add_f32_e32 v6, v8, v10
	v_sub_f32_e32 v9, v7, v6
	v_pk_add_f32 v[12:13], v[6:7], v[8:9] neg_lo:[0,1] neg_hi:[0,1]
	v_mov_b32_e32 v11, v6
	v_pk_add_f32 v[6:7], v[12:13], v[10:11] neg_lo:[0,1] neg_hi:[0,1]
	s_nop 0
	v_add_f32_e32 v6, v6, v7
	v_add_f32_e32 v6, v9, v6
	v_mul_f32_e32 v7, v14, v6
	v_add_f32_e32 v6, v15, v7
	v_sub_f32_e32 v8, v6, v15
	v_sub_f32_e32 v16, v7, v8
	v_mul_f32_e32 v7, v6, v6
	v_fma_f32 v9, v6, v6, -v7
	v_add_f32_e32 v8, v16, v16
	v_fmac_f32_e32 v9, v6, v8
	v_add_f32_e32 v8, v7, v9
	v_fmamk_f32 v10, v8, 0x3e76c4e1, v176
	v_fmaak_f32 v10, v8, v10, 0x3ecccdef
	v_sub_f32_e32 v7, v8, v7
	v_sub_f32_e32 v17, v9, v7
	v_mul_f32_e32 v7, v8, v10
	v_fma_f32 v9, v8, v10, -v7
	v_fmac_f32_e32 v9, v17, v10
	v_add_f32_e32 v10, v7, v9
	v_add_f32_e32 v11, 0x3f2aaaaa, v10
	v_sub_f32_e32 v7, v10, v7
	v_sub_f32_e32 v7, v9, v7
	v_add_f32_e32 v9, 0xbf2aaaaa, v11
	v_add_f32_e32 v7, 0x31739010, v7
	v_sub_f32_e32 v9, v10, v9
	v_pk_mul_f32 v[12:13], v[6:7], v[8:9]
	v_pk_add_f32 v[14:15], v[6:7], v[8:9]
	v_fma_f32 v10, v8, v6, -v12
	v_fmac_f32_e32 v10, v8, v16
	v_mov_b32_e32 v13, v15
	v_fmac_f32_e32 v10, v17, v6
	v_pk_add_f32 v[8:9], v[12:13], v[10:11]
	v_ldexp_f32 v18, v16, 1
	v_sub_f32_e32 v7, v8, v12
	v_sub_f32_e32 v7, v10, v7
	;; [unrolled: 1-line block ×3, first 2 shown]
	v_add_f32_e32 v14, v15, v10
	v_pk_mul_f32 v[10:11], v[8:9], v[8:9] op_sel:[0,1] op_sel_hi:[1,0]
	v_cvt_f64_f32_e64 v[12:13], |v22|
	v_frexp_exp_i32_f64_e32 v11, v[12:13]
	v_subbrev_co_u32_e32 v11, vcc, 0, v11, vcc
	v_cvt_f32_i32_e32 v11, v11
	v_fma_f32 v12, v8, v9, -v10
	v_fmac_f32_e32 v12, v8, v14
	v_fmac_f32_e32 v12, v7, v9
	v_mul_f32_e32 v8, 0x3f317218, v11
	v_fma_f32 v14, v11, s24, -v8
	v_fmac_f32_e32 v14, 0xb102e308, v11
	v_ldexp_f32 v15, v6, 1
	v_add_f32_e32 v9, v10, v12
	v_pk_add_f32 v[6:7], v[8:9], v[14:15]
	v_mov_b32_e32 v16, v9
	v_mov_b32_e32 v17, v7
	;; [unrolled: 1-line block ×3, first 2 shown]
	v_pk_add_f32 v[10:11], v[16:17], v[10:11] neg_lo:[0,1] neg_hi:[0,1]
	v_mov_b32_e32 v13, v9
	v_pk_add_f32 v[10:11], v[12:13], v[10:11] neg_lo:[0,1] neg_hi:[0,1]
	v_mov_b32_e32 v15, v6
	v_add_f32_e32 v9, v18, v10
	v_add_f32_e32 v9, v9, v11
	v_pk_add_f32 v[10:11], v[6:7], v[8:9] neg_lo:[0,1] neg_hi:[0,1]
	v_pk_add_f32 v[12:13], v[6:7], v[8:9]
	v_mov_b32_e32 v20, v7
	v_mov_b32_e32 v11, v13
	v_pk_add_f32 v[16:17], v[14:15], v[10:11] neg_lo:[0,1] neg_hi:[0,1]
	v_pk_add_f32 v[10:11], v[14:15], v[10:11]
	v_mov_b32_e32 v8, v9
	v_pk_add_f32 v[14:15], v[10:11], v[6:7] op_sel:[1,0] op_sel_hi:[0,1] neg_lo:[0,1] neg_hi:[0,1]
	v_pk_add_f32 v[18:19], v[12:13], v[14:15] op_sel_hi:[1,0] neg_lo:[0,1] neg_hi:[0,1]
	v_mov_b32_e32 v12, v13
	v_mov_b32_e32 v13, v11
	;; [unrolled: 1-line block ×3, first 2 shown]
	v_pk_add_f32 v[12:13], v[12:13], v[20:21] neg_lo:[0,1] neg_hi:[0,1]
	v_mov_b32_e32 v9, v6
	v_pk_add_f32 v[6:7], v[8:9], v[12:13] neg_lo:[0,1] neg_hi:[0,1]
	v_mov_b32_e32 v18, v16
	v_pk_add_f32 v[8:9], v[18:19], v[6:7]
	v_mov_b32_e32 v17, v11
	v_pk_add_f32 v[12:13], v[8:9], v[8:9] op_sel:[0,1] op_sel_hi:[1,0]
	s_mov_b32 s24, 0x7f800000
	v_pk_add_f32 v[10:11], v[10:11], v[12:13] op_sel:[1,0] op_sel_hi:[0,1]
	v_mov_b32_e32 v9, v10
	v_pk_add_f32 v[14:15], v[8:9], v[16:17] neg_lo:[0,1] neg_hi:[0,1]
	v_mov_b32_e32 v7, v12
	v_sub_f32_e32 v8, v8, v14
	v_pk_add_f32 v[6:7], v[6:7], v[14:15] neg_lo:[0,1] neg_hi:[0,1]
	v_sub_f32_e32 v8, v16, v8
	v_add_f32_e32 v6, v6, v8
	v_add_f32_e32 v6, v6, v7
	;; [unrolled: 1-line block ×3, first 2 shown]
	v_sub_f32_e32 v8, v7, v10
	v_sub_f32_e32 v6, v6, v8
	v_mul_f32_e32 v8, v1, v7
	v_fma_f32 v7, v1, v7, -v8
	v_fmac_f32_e32 v7, v1, v6
	v_add_f32_e32 v6, v8, v7
	v_cmp_class_f32_e64 vcc, v8, s26
	v_sub_f32_e32 v9, v6, v8
	v_sub_f32_e32 v7, v7, v9
	v_cndmask_b32_e32 v6, v6, v8, vcc
	v_cmp_eq_f32_e32 vcc, s53, v6
	s_nop 1
	v_cndmask_b32_e32 v8, 0, v177, vcc
	v_sub_f32_e32 v9, v6, v8
	v_mul_f32_e32 v10, 0x3fb8aa3b, v9
	v_fma_f32 v11, v9, s33, -v10
	v_rndne_f32_e32 v12, v10
	v_fmac_f32_e32 v11, 0x32a5705f, v9
	v_sub_f32_e32 v10, v10, v12
	v_add_f32_e32 v10, v10, v11
	v_exp_f32_e32 v10, v10
	v_cvt_i32_f32_e32 v11, v12
	v_cmp_neq_f32_e64 vcc, |v6|, s24
	s_nop 1
	v_cndmask_b32_e32 v6, 0, v7, vcc
	v_ldexp_f32 v7, v10, v11
	v_cmp_ngt_f32_e32 vcc, s65, v9
	v_add_f32_e32 v6, v8, v6
	s_nop 0
	v_cndmask_b32_e32 v7, 0, v7, vcc
	v_cmp_nlt_f32_e32 vcc, s53, v9
	s_nop 1
	v_cndmask_b32_e32 v7, v178, v7, vcc
	v_fma_f32 v6, v7, v6, v7
	v_cmp_class_f32_e64 vcc, v7, s26
	v_cmp_gt_f32_e64 s[26:27], 0, v1
	s_nop 0
	v_cndmask_b32_e32 v6, v6, v7, vcc
	v_trunc_f32_e32 v7, v1
	v_cmp_eq_f32_e32 vcc, v7, v1
	v_mul_f32_e32 v7, 0.5, v1
	v_trunc_f32_e32 v8, v7
	v_cmp_neq_f32_e64 s[24:25], v8, v7
	s_and_b64 s[24:25], vcc, s[24:25]
	s_nop 0
	v_cndmask_b32_e64 v7, 1.0, v22, s[24:25]
	v_bfi_b32 v6, s60, v6, v7
	v_cndmask_b32_e32 v7, v179, v6, vcc
	v_cmp_gt_f32_e32 vcc, 0, v22
	s_nop 1
	v_cndmask_b32_e32 v6, v6, v7, vcc
	v_cmp_eq_f32_e32 vcc, 0, v22
	s_xor_b64 s[26:27], s[26:27], vcc
	v_cndmask_b32_e64 v1, v178, 0, s[26:27]
	v_cndmask_b32_e64 v7, 0, v22, s[24:25]
	v_bfi_b32 v1, s60, v1, v7
	s_or_b64 vcc, vcc, s[34:35]
	v_cndmask_b32_e32 v1, v6, v1, vcc
	v_cmp_o_f32_e32 vcc, v22, v22
	s_nop 1
	v_cndmask_b32_e32 v98, v179, v1, vcc
.LBB24_18:                              ;   in Loop: Header=BB24_14 Depth=1
	v_readlane_b32 s24, v220, 3
	s_mul_i32 s29, s29, s24
	s_sub_i32 s23, s23, s29
	s_ashr_i32 s24, s23, 31
	v_readlane_b32 s25, v220, 17
	s_abs_i32 s23, s23
	s_xor_b32 s24, s24, s25
	s_mul_hi_u32 s25, s23, s58
	s_mul_i32 s26, s25, s85
	s_sub_i32 s23, s23, s26
	s_add_i32 s26, s25, 1
	s_sub_i32 s27, s23, s85
	s_cmp_ge_u32 s23, s85
	s_cselect_b32 s25, s26, s25
	s_cselect_b32 s23, s27, s23
	s_add_i32 s26, s25, 1
	s_cmp_ge_u32 s23, s85
	s_cselect_b32 s23, s26, s25
	v_readlane_b32 s26, v220, 30
	s_xor_b32 s23, s23, s24
	v_readlane_b32 s27, v220, 31
	s_andn2_b64 vcc, exec, s[26:27]
	s_sub_i32 s84, s23, s24
	s_cbranch_vccnz .LBB24_20
; %bb.19:                               ;   in Loop: Header=BB24_14 Depth=1
	v_readlane_b32 s23, v220, 0
	s_mul_i32 s23, s4, s23
	s_add_i32 s24, s84, s23
	s_ashr_i32 s25, s24, 31
	s_lshl_b64 s[24:25], s[24:25], 2
	s_add_u32 s24, s46, s24
	s_addc_u32 s25, s47, s25
	global_load_dword v1, v57, s[24:25]
	s_waitcnt vmcnt(0)
	v_readfirstlane_b32 s23, v1
	s_ashr_i32 s24, s23, 31
	s_lshr_b32 s24, s24, 26
	s_add_i32 s23, s23, s24
	s_ashr_i32 s23, s23, 6
	s_min_i32 s62, s62, s23
.LBB24_20:                              ;   in Loop: Header=BB24_14 Depth=1
	v_readlane_b32 s23, v220, 21
	s_mul_i32 s23, s23, s4
	s_add_i32 s23, s28, s23
	s_lshl_b32 s86, s23, 6
	s_lshl_b64 s[24:25], s[86:87], 3
	s_add_u32 s24, s48, s24
	s_addc_u32 s25, s49, s25
	v_writelane_b32 v220, s24, 55
	s_mul_i32 s23, s76, s5
	s_mul_i32 s79, s76, s4
	v_writelane_b32 v220, s25, 56
	s_mul_hi_u32 s24, s76, s4
	s_add_i32 s23, s24, s23
	s_mul_i32 s24, s77, s4
	s_add_i32 s86, s23, s24
	s_add_u32 s23, s40, s79
	s_mul_i32 s34, s31, s59
	s_addc_u32 s24, s41, s86
	s_ashr_i32 s35, s34, 31
	s_add_u32 s71, s23, s34
	s_addc_u32 s23, s24, s35
	s_ashr_i32 s29, s28, 31
	s_lshl_b64 s[24:25], s[28:29], 2
	s_add_u32 s26, s44, s24
	s_addc_u32 s27, s45, s25
	v_readlane_b32 s24, v220, 22
	v_readlane_b32 s25, v220, 23
	s_and_b64 s[24:25], s[24:25], exec
	s_cselect_b32 s95, 0, s27
	s_cselect_b32 s94, 0, s26
	v_readlane_b32 s26, v220, 8
	v_readlane_b32 s27, v220, 9
	s_mul_i32 s24, s4, s27
	s_ashr_i32 s25, s24, 31
	s_add_u32 s24, s36, s24
	s_mul_i32 s26, s28, s26
	s_addc_u32 s25, s37, s25
	s_ashr_i32 s27, s26, 31
	s_add_u32 s98, s24, s26
	s_mul_i32 s5, s56, s5
	s_mul_hi_u32 s24, s56, s4
	s_addc_u32 s99, s25, s27
	s_add_i32 s5, s24, s5
	s_mul_i32 s24, s57, s4
	s_add_i32 s80, s5, s24
	v_readlane_b32 s24, v220, 15
	s_mul_i32 s81, s56, s4
	v_readlane_b32 s25, v220, 16
	s_add_u32 s4, s38, s81
	s_mul_i32 s70, s31, s25
	s_addc_u32 s5, s39, s80
	s_ashr_i32 s58, s70, 31
	s_add_u32 s72, s4, s70
	s_addc_u32 s73, s5, s58
	s_cmp_lg_u32 s30, 0
	s_cbranch_scc0 .LBB24_47
; %bb.21:                               ;   in Loop: Header=BB24_14 Depth=1
	s_lshl_b32 s60, s84, 4
	v_add_u32_e32 v183, s60, v113
	v_cmp_le_i32_e32 vcc, s52, v183
	s_and_saveexec_b64 s[4:5], vcc
	s_xor_b64 s[4:5], exec, s[4:5]
; %bb.22:                               ;   in Loop: Header=BB24_14 Depth=1
	v_add_u32_e32 v1, v118, v175
	ds_write_b32 v1, v57
; %bb.23:                               ;   in Loop: Header=BB24_14 Depth=1
	s_andn2_saveexec_b64 s[4:5], s[4:5]
	s_cbranch_execz .LBB24_25
; %bb.24:                               ;   in Loop: Header=BB24_14 Depth=1
	v_mad_u64_u32 v[6:7], s[24:25], v183, s93, v[54:55]
	v_ashrrev_i32_e32 v7, 31, v6
	v_lshl_add_u64 v[6:7], v[6:7], 3, s[98:99]
	global_load_dwordx2 v[6:7], v[6:7], off
	s_waitcnt vmcnt(0)
	v_cvt_pk_f16_f32 v1, v6, v7
	v_pk_mul_f16 v1, v1, v162
	v_add_u32_e32 v6, v118, v175
	ds_write_b32 v6, v1
.LBB24_25:                              ;   in Loop: Header=BB24_14 Depth=1
	s_or_b64 exec, exec, s[4:5]
	v_add_u32_e32 v184, s60, v116
	v_cmp_le_i32_e32 vcc, s52, v184
	s_and_saveexec_b64 s[4:5], vcc
	s_xor_b64 s[4:5], exec, s[4:5]
; %bb.26:                               ;   in Loop: Header=BB24_14 Depth=1
	v_add_u32_e32 v1, v118, v175
	ds_write_b32 v1, v57 offset:1088
; %bb.27:                               ;   in Loop: Header=BB24_14 Depth=1
	s_andn2_saveexec_b64 s[4:5], s[4:5]
	s_cbranch_execz .LBB24_29
; %bb.28:                               ;   in Loop: Header=BB24_14 Depth=1
	v_mad_u64_u32 v[6:7], s[24:25], v184, s93, v[54:55]
	v_ashrrev_i32_e32 v7, 31, v6
	v_lshl_add_u64 v[6:7], v[6:7], 3, s[98:99]
	global_load_dwordx2 v[6:7], v[6:7], off
	s_waitcnt vmcnt(0)
	v_cvt_pk_f16_f32 v1, v6, v7
	v_pk_mul_f16 v1, v1, v162
	v_add_u32_e32 v6, v118, v175
	ds_write_b32 v6, v1 offset:1088
.LBB24_29:                              ;   in Loop: Header=BB24_14 Depth=1
	s_or_b64 exec, exec, s[4:5]
	v_add_u32_e32 v185, s60, v59
	v_cmp_le_i32_e32 vcc, s52, v185
	s_and_saveexec_b64 s[4:5], vcc
	s_xor_b64 s[4:5], exec, s[4:5]
; %bb.30:                               ;   in Loop: Header=BB24_14 Depth=1
	v_add_u32_e32 v1, v118, v175
	ds_write_b32 v1, v57 offset:2176
; %bb.31:                               ;   in Loop: Header=BB24_14 Depth=1
	s_andn2_saveexec_b64 s[4:5], s[4:5]
	s_cbranch_execz .LBB24_33
; %bb.32:                               ;   in Loop: Header=BB24_14 Depth=1
	v_mad_u64_u32 v[6:7], s[24:25], v185, s93, v[54:55]
	v_ashrrev_i32_e32 v7, 31, v6
	v_lshl_add_u64 v[6:7], v[6:7], 3, s[98:99]
	global_load_dwordx2 v[6:7], v[6:7], off
	s_waitcnt vmcnt(0)
	v_cvt_pk_f16_f32 v1, v6, v7
	v_pk_mul_f16 v1, v1, v162
	v_add_u32_e32 v6, v118, v175
	ds_write_b32 v6, v1 offset:2176
.LBB24_33:                              ;   in Loop: Header=BB24_14 Depth=1
	;; [unrolled: 22-line block ×3, first 2 shown]
	s_or_b64 exec, exec, s[4:5]
	s_waitcnt lgkmcnt(0)
	s_barrier
	ds_read2_b64 v[18:21], v119 offset1:4
	ds_read2_b64 v[14:17], v119 offset0:8 offset1:12
	ds_read2_b64 v[10:13], v119 offset0:16 offset1:20
	;; [unrolled: 1-line block ×3, first 2 shown]
	s_add_i32 s31, s62, -1
	s_cmp_ge_i32 s30, s31
	s_waitcnt lgkmcnt(0)
	s_barrier
	s_cbranch_scc1 .LBB24_48
; %bb.38:                               ;   in Loop: Header=BB24_14 Depth=1
	v_mul_hi_u32 v1, s68, v183
	v_add_u32_e32 v1, v183, v1
	v_lshrrev_b32_e32 v1, s69, v1
	v_mul_lo_u32 v1, v1, s52
	v_readlane_b32 s4, v220, 50
	v_sub_u32_e32 v1, v183, v1
	v_readlane_b32 s5, v220, 51
	s_mov_b32 s24, s4
	v_mad_i64_i32 v[102:103], s[4:5], v1, s24, 0
	v_mul_hi_u32 v1, s68, v184
	v_add_u32_e32 v1, v184, v1
	v_lshrrev_b32_e32 v1, s69, v1
	v_mul_lo_u32 v1, v1, s52
	v_sub_u32_e32 v1, v184, v1
	v_mad_i64_i32 v[104:105], s[4:5], v1, s24, 0
	v_mul_hi_u32 v1, s68, v185
	v_add_u32_e32 v1, v185, v1
	v_lshrrev_b32_e32 v1, s69, v1
	v_mul_lo_u32 v1, v1, s52
	v_sub_u32_e32 v1, v185, v1
	;; [unrolled: 6-line block ×3, first 2 shown]
	v_mad_i64_i32 v[108:109], s[4:5], v1, s24, 0
	v_and_b32_e32 v1, 64, v180
	v_add_u32_e32 v1, 64, v1
	v_xor_b32_e32 v22, 32, v180
	v_cmp_lt_i32_e32 vcc, v22, v1
	s_cmp_lg_u64 s[96:97], 0
	v_lshlrev_b32_e32 v56, 1, v54
	v_cndmask_b32_e32 v22, v180, v22, vcc
	v_lshlrev_b32_e32 v187, 2, v22
	v_xor_b32_e32 v22, 16, v180
	v_cmp_lt_i32_e32 vcc, v22, v1
	s_cselect_b64 s[26:27], -1, 0
	v_lshl_add_u64 v[100:101], s[96:97], 0, v[56:57]
	v_cndmask_b32_e32 v1, v180, v22, vcc
	v_lshlrev_b32_e32 v188, 2, v1
	v_mov_b32_e32 v110, v98
	v_mov_b32_e32 v111, v98
	s_lshl_b32 s28, s30, 6
	v_mov_b32_e32 v50, 0
	v_mov_b32_e32 v33, 0xfeffffff
	;; [unrolled: 1-line block ×18, first 2 shown]
.LBB24_39:                              ;   Parent Loop BB24_14 Depth=1
                                        ; =>  This Inner Loop Header: Depth=2
	v_cndmask_b32_e64 v1, 0, 1, s[26:27]
	v_cmp_ne_u32_e64 s[24:25], 1, v1
	s_andn2_b64 vcc, exec, s[26:27]
	s_ashr_i32 s29, s28, 31
	s_cbranch_vccnz .LBB24_43
; %bb.40:                               ;   in Loop: Header=BB24_39 Depth=2
	v_mov_b32_e32 v1, 0
	v_mov_b32_e32 v22, 0
	;; [unrolled: 1-line block ×4, first 2 shown]
	s_and_saveexec_b64 s[4:5], s[0:1]
	s_cbranch_execz .LBB24_42
; %bb.41:                               ;   in Loop: Header=BB24_39 Depth=2
	v_lshl_add_u64 v[24:25], s[28:29], 1, v[100:101]
	v_lshl_add_u64 v[22:23], v[102:103], 1, v[24:25]
	global_load_ushort v1, v[22:23], off
	v_lshl_add_u64 v[22:23], v[104:105], 1, v[24:25]
	v_lshl_add_u64 v[36:37], v[106:107], 1, v[24:25]
	v_lshl_add_u64 v[24:25], v[108:109], 1, v[24:25]
	global_load_ushort v22, v[22:23], off
	s_nop 0
	global_load_ushort v24, v[24:25], off
	s_nop 0
	global_load_ushort v23, v[36:37], off
.LBB24_42:                              ;   in Loop: Header=BB24_39 Depth=2
	s_or_b64 exec, exec, s[4:5]
	s_waitcnt vmcnt(3)
	ds_write_b16 v144, v1 offset:17408
	s_waitcnt vmcnt(2)
	ds_write_b16 v163, v22 offset:17408
	s_waitcnt vmcnt(0)
	ds_write_b16 v164, v23 offset:17408
	ds_write_b16 v165, v24 offset:17408
.LBB24_43:                              ;   in Loop: Header=BB24_39 Depth=2
	s_mul_hi_i32 s5, s28, s66
	s_mul_i32 s4, s28, s66
	s_lshl_b64 s[4:5], s[4:5], 2
	s_add_u32 s4, s72, s4
	s_addc_u32 s5, s73, s5
	v_lshl_add_u64 v[22:23], v[62:63], 2, s[4:5]
	v_lshlrev_b32_e32 v56, 2, v58
	v_lshl_add_u64 v[22:23], v[22:23], 0, v[56:57]
	v_mov_b32_e32 v1, s89
	v_cndmask_b32_e64 v23, v1, v23, s[6:7]
	v_cndmask_b32_e64 v22, v181, v22, s[6:7]
	scratch_store_dwordx4 off, v[2:5], off
	flat_load_dwordx4 v[22:25], v[22:23]
	v_lshl_add_u64 v[36:37], v[64:65], 2, s[4:5]
	v_lshl_add_u64 v[36:37], v[36:37], 0, v[56:57]
	v_cndmask_b32_e64 v37, v1, v37, s[8:9]
	v_cndmask_b32_e64 v36, v181, v36, s[8:9]
	s_and_b64 vcc, exec, s[24:25]
	s_waitcnt vmcnt(0) lgkmcnt(0)
	ds_write_b128 v121, v[22:25]
	flat_load_dwordx4 v[22:25], v[36:37]
	v_lshl_add_u64 v[36:37], v[66:67], 2, s[4:5]
	v_lshl_add_u64 v[36:37], v[36:37], 0, v[56:57]
	v_cndmask_b32_e64 v37, v1, v37, s[10:11]
	v_cndmask_b32_e64 v36, v181, v36, s[10:11]
	s_waitcnt vmcnt(0) lgkmcnt(0)
	ds_write_b128 v167, v[22:25]
	flat_load_dwordx4 v[22:25], v[36:37]
	v_lshl_add_u64 v[36:37], v[68:69], 2, s[4:5]
	v_lshl_add_u64 v[36:37], v[36:37], 0, v[56:57]
	v_cndmask_b32_e64 v37, v1, v37, s[12:13]
	v_cndmask_b32_e64 v36, v181, v36, s[12:13]
	s_waitcnt vmcnt(0) lgkmcnt(0)
	ds_write_b128 v169, v[22:25]
	flat_load_dwordx4 v[22:25], v[36:37]
	s_waitcnt vmcnt(0) lgkmcnt(0)
	ds_write_b128 v171, v[22:25]
	s_waitcnt lgkmcnt(0)
	s_barrier
	ds_read2_b64 v[22:25], v122 offset1:4
	s_waitcnt lgkmcnt(0)
	v_mfma_f32_16x16x16_f16 v[190:193], v[22:23], v[18:19], 0
	v_mfma_f32_16x16x16_f16 v[22:25], v[24:25], v[20:21], v[190:193]
	s_nop 6
	ds_read2_b64 v[190:193], v122 offset0:8 offset1:12
	s_waitcnt lgkmcnt(0)
	v_mfma_f32_16x16x16_f16 v[22:25], v[190:191], v[14:15], v[22:25]
	v_mfma_f32_16x16x16_f16 v[22:25], v[192:193], v[16:17], v[22:25]
	ds_read2_b64 v[190:193], v122 offset0:16 offset1:20
	s_waitcnt lgkmcnt(0)
	v_mfma_f32_16x16x16_f16 v[22:25], v[190:191], v[10:11], v[22:25]
	v_mfma_f32_16x16x16_f16 v[22:25], v[192:193], v[12:13], v[22:25]
	ds_read2_b64 v[190:193], v122 offset0:24 offset1:28
	s_waitcnt lgkmcnt(0)
	s_barrier
	v_mfma_f32_16x16x16_f16 v[22:25], v[190:191], v[6:7], v[22:25]
	v_mfma_f32_16x16x16_f16 v[22:25], v[192:193], v[8:9], v[22:25]
	s_cbranch_vccnz .LBB24_45
; %bb.44:                               ;   in Loop: Header=BB24_39 Depth=2
	v_add_u32_e32 v1, 0x4400, v124
	ds_read2_b32 v[36:37], v1 offset1:1
	v_mov_b32_e32 v99, v98
	s_waitcnt lgkmcnt(0)
	v_cvt_f32_f16_e32 v40, v36
	v_cvt_f32_f16_e32 v48, v37
	v_cvt_f32_f16_sdwa v49, v37 dst_sel:DWORD dst_unused:UNUSED_PAD src0_sel:WORD_1
	v_cvt_f32_f16_sdwa v41, v36 dst_sel:DWORD dst_unused:UNUSED_PAD src0_sel:WORD_1
	v_pk_fma_f32 v[24:25], v[98:99], v[48:49], v[24:25]
	v_pk_fma_f32 v[22:23], v[110:111], v[40:41], v[22:23]
.LBB24_45:                              ;   in Loop: Header=BB24_39 Depth=2
	s_nop 0
	v_add_f32_e32 v1, 0x40051340, v22
	v_max_f32_e32 v36, v33, v33
	v_max_f32_e32 v1, v36, v1
	v_cndmask_b32_e64 v1, v33, v1, s[14:15]
	v_add_f32_e32 v36, 0x40051340, v23
	v_max_f32_e32 v37, v1, v1
	v_max_f32_e32 v36, v37, v36
	v_cndmask_b32_e64 v1, v1, v36, s[16:17]
	;; [unrolled: 4-line block ×4, first 2 shown]
	ds_bpermute_b32 v36, v187, v1
	v_max_f32_e32 v1, v1, v1
	s_mul_hi_i32 s5, s28, s54
	s_mul_i32 s4, s28, s54
	s_lshl_b64 s[4:5], s[4:5], 2
	s_waitcnt lgkmcnt(0)
	v_max_f32_e32 v36, v36, v36
	v_max_f32_e32 v1, v1, v36
	ds_bpermute_b32 v36, v188, v1
	s_add_u32 s4, s71, s4
	s_addc_u32 s5, s23, s5
	scratch_store_dwordx4 off, v[2:5], off
	v_lshl_add_u64 v[48:49], v[76:77], 2, s[4:5]
	s_waitcnt lgkmcnt(0)
	v_max_f32_e32 v36, v36, v36
	v_max_f32_e32 v182, v1, v36
	v_sub_f32_e32 v1, v22, v182
	v_mul_f32_e32 v22, 0x3fb8aa3b, v1
	v_fma_f32 v36, v1, s33, -v22
	v_rndne_f32_e32 v37, v22
	v_fmac_f32_e32 v36, 0x32a5705f, v1
	v_sub_f32_e32 v22, v22, v37
	v_add_f32_e32 v22, v22, v36
	v_exp_f32_e32 v22, v22
	v_cvt_i32_f32_e32 v36, v37
	v_cmp_ngt_f32_e32 vcc, s65, v1
	v_sub_f32_e32 v24, v24, v182
	v_lshl_add_u64 v[48:49], v[48:49], 0, v[56:57]
	v_ldexp_f32 v22, v22, v36
	v_cndmask_b32_e32 v22, 0, v22, vcc
	v_cmp_nlt_f32_e32 vcc, s53, v1
	v_cndmask_b32_e64 v48, v181, v48, s[12:13]
	s_add_i32 s30, s30, 1
	v_cndmask_b32_e32 v1, v178, v22, vcc
	v_cndmask_b32_e64 v22, 0, v1, s[14:15]
	v_sub_f32_e32 v1, v23, v182
	v_mul_f32_e32 v23, 0x3fb8aa3b, v1
	v_fma_f32 v36, v1, s33, -v23
	v_rndne_f32_e32 v37, v23
	v_fmac_f32_e32 v36, 0x32a5705f, v1
	v_sub_f32_e32 v23, v23, v37
	v_add_f32_e32 v23, v23, v36
	v_exp_f32_e32 v23, v23
	v_cvt_i32_f32_e32 v36, v37
	v_cmp_ngt_f32_e32 vcc, s65, v1
	s_add_i32 s28, s28, 64
	s_cmp_lt_i32 s30, s31
	v_ldexp_f32 v23, v23, v36
	v_cndmask_b32_e32 v23, 0, v23, vcc
	v_cmp_nlt_f32_e32 vcc, s53, v1
	v_mov_b32_e32 v1, s87
	s_nop 0
	v_cndmask_b32_e32 v23, v178, v23, vcc
	v_add_f32_e32 v36, v23, v22
	v_cndmask_b32_e64 v1, v1, v23, s[16:17]
	v_cndmask_b32_e64 v23, v22, v36, s[16:17]
	v_mul_f32_e32 v36, 0x3fb8aa3b, v24
	v_fma_f32 v37, v24, s33, -v36
	v_rndne_f32_e32 v38, v36
	v_fmac_f32_e32 v37, 0x32a5705f, v24
	v_sub_f32_e32 v36, v36, v38
	v_add_f32_e32 v36, v36, v37
	v_exp_f32_e32 v36, v36
	v_cvt_i32_f32_e32 v37, v38
	v_cmp_ngt_f32_e32 vcc, s65, v24
	v_cvt_pk_f16_f32 v194, v22, v1
	v_ldexp_f32 v36, v36, v37
	v_cndmask_b32_e32 v36, 0, v36, vcc
	v_cmp_nlt_f32_e32 vcc, s53, v24
	v_mov_b32_e32 v24, s87
	s_nop 0
	v_cndmask_b32_e32 v36, v178, v36, vcc
	v_add_f32_e32 v37, v23, v36
	v_cndmask_b32_e64 v24, v24, v36, s[18:19]
	v_cndmask_b32_e64 v36, v23, v37, s[18:19]
	v_sub_f32_e32 v23, v25, v182
	v_mul_f32_e32 v25, 0x3fb8aa3b, v23
	v_fma_f32 v37, v23, s33, -v25
	v_rndne_f32_e32 v38, v25
	v_fmac_f32_e32 v37, 0x32a5705f, v23
	v_sub_f32_e32 v25, v25, v38
	v_add_f32_e32 v25, v25, v37
	v_exp_f32_e32 v25, v25
	v_cvt_i32_f32_e32 v37, v38
	v_cmp_ngt_f32_e32 vcc, s65, v23
	v_ldexp_f32 v25, v25, v37
	s_nop 0
	v_cndmask_b32_e32 v25, 0, v25, vcc
	v_cmp_nlt_f32_e32 vcc, s53, v23
	v_mov_b32_e32 v23, s87
	s_nop 0
	v_cndmask_b32_e32 v25, v178, v25, vcc
	v_add_f32_e32 v37, v36, v25
	v_cndmask_b32_e64 v23, v23, v25, s[20:21]
	v_sub_f32_e32 v25, v33, v182
	v_mul_f32_e32 v33, 0x3fb8aa3b, v25
	v_cndmask_b32_e64 v99, v36, v37, s[20:21]
	v_fma_f32 v36, v25, s33, -v33
	v_rndne_f32_e32 v37, v33
	v_fmac_f32_e32 v36, 0x32a5705f, v25
	v_sub_f32_e32 v33, v33, v37
	v_add_f32_e32 v33, v33, v36
	v_exp_f32_e32 v33, v33
	v_cvt_i32_f32_e32 v36, v37
	v_cmp_ngt_f32_e32 vcc, s65, v25
	v_cvt_pk_f16_f32 v195, v24, v23
	v_ldexp_f32 v33, v33, v36
	v_cndmask_b32_e32 v33, 0, v33, vcc
	v_cmp_nlt_f32_e32 vcc, s53, v25
	v_lshl_add_u64 v[36:37], v[72:73], 2, s[4:5]
	v_lshl_add_u64 v[36:37], v[36:37], 0, v[56:57]
	v_cndmask_b32_e32 v33, v178, v33, vcc
	v_cmp_le_f32_e32 vcc, s64, v25
	v_cndmask_b32_e64 v36, v181, v36, s[8:9]
	s_nop 0
	v_cndmask_b32_e32 v25, 0, v33, vcc
	v_fmac_f32_e32 v99, v32, v25
	v_cvt_f16_f32_e32 v25, v25
	v_mul_u32_u24_e32 v32, 0x10001, v25
	v_pk_mul_f16 v29, v29, v32
	v_pk_mul_f16 v25, v28, v32
	;; [unrolled: 1-line block ×16, first 2 shown]
	v_lshl_add_u64 v[32:33], v[70:71], 2, s[4:5]
	v_lshl_add_u64 v[32:33], v[32:33], 0, v[56:57]
	v_mov_b32_e32 v28, s89
	v_cndmask_b32_e64 v33, v28, v33, s[6:7]
	v_cndmask_b32_e64 v32, v181, v32, s[6:7]
	flat_load_dwordx4 v[190:193], v[32:33]
	v_cndmask_b32_e64 v37, v28, v37, s[8:9]
	v_lshl_add_u64 v[44:45], v[74:75], 2, s[4:5]
	v_lshl_add_u64 v[44:45], v[44:45], 0, v[56:57]
	v_cndmask_b32_e64 v45, v28, v45, s[10:11]
	v_cndmask_b32_e64 v44, v181, v44, s[10:11]
	;; [unrolled: 1-line block ×3, first 2 shown]
	v_cvt_f32_f16_e32 v24, v25
	v_cvt_f32_f16_sdwa v25, v25 dst_sel:DWORD dst_unused:UNUSED_PAD src0_sel:WORD_1
	s_waitcnt vmcnt(0) lgkmcnt(0)
	ds_write_b128 v121, v[190:193]
	flat_load_dwordx4 v[190:193], v[36:37]
	s_waitcnt vmcnt(0) lgkmcnt(0)
	ds_write_b128 v167, v[190:193]
	flat_load_dwordx4 v[190:193], v[44:45]
	s_waitcnt vmcnt(0) lgkmcnt(0)
	ds_write_b128 v169, v[190:193]
	flat_load_dwordx4 v[190:193], v[48:49]
	s_waitcnt vmcnt(0) lgkmcnt(0)
	ds_write_b128 v171, v[190:193]
	s_waitcnt lgkmcnt(0)
	s_barrier
	ds_read_u16 v1, v125 offset:272
	ds_read_u16 v22, v125 offset:544
	ds_read_u16 v23, v126
	ds_read_u16 v28, v126 offset:32
	v_cvt_f32_f16_e32 v190, v27
	v_cvt_f32_f16_sdwa v191, v27 dst_sel:DWORD dst_unused:UNUSED_PAD src0_sel:WORD_1
	v_cvt_f32_f16_e32 v192, v26
	s_waitcnt lgkmcnt(1)
	v_perm_b32 v33, v23, v22, s22
	ds_read_u16 v22, v125
	ds_read_u16 v36, v125 offset:32
	v_cvt_f32_f16_sdwa v23, v29 dst_sel:DWORD dst_unused:UNUSED_PAD src0_sel:WORD_1
	v_cvt_f32_f16_sdwa v193, v26 dst_sel:DWORD dst_unused:UNUSED_PAD src0_sel:WORD_1
	s_waitcnt lgkmcnt(1)
	v_perm_b32 v32, v1, v22, s22
	v_cvt_f32_f16_e32 v22, v29
	ds_read_u16 v1, v125 offset:304
	ds_read_u16 v29, v125 offset:576
	v_mfma_f32_16x16x16_f16 v[22:25], v[32:33], v[194:195], v[22:25]
	s_waitcnt lgkmcnt(0)
	v_perm_b32 v29, v28, v29, s22
	v_perm_b32 v28, v1, v36, s22
	ds_read_u16 v1, v125 offset:64
	ds_read_u16 v32, v125 offset:336
	;; [unrolled: 1-line block ×4, first 2 shown]
	v_mfma_f32_16x16x16_f16 v[26:29], v[28:29], v[194:195], v[190:193]
	s_waitcnt lgkmcnt(0)
	v_perm_b32 v33, v36, v33, s22
	v_perm_b32 v32, v32, v1, s22
	ds_read_u16 v1, v125 offset:96
	ds_read_u16 v36, v125 offset:368
	;; [unrolled: 1-line block ×4, first 2 shown]
	v_cvt_f32_f16_e32 v190, v31
	v_cvt_f32_f16_sdwa v191, v31 dst_sel:DWORD dst_unused:UNUSED_PAD src0_sel:WORD_1
	v_cvt_f32_f16_e32 v192, v30
	v_cvt_f32_f16_sdwa v193, v30 dst_sel:DWORD dst_unused:UNUSED_PAD src0_sel:WORD_1
	s_waitcnt lgkmcnt(0)
	v_perm_b32 v37, v39, v37, s22
	v_perm_b32 v36, v36, v1, s22
	ds_read_u16 v1, v125 offset:128
	ds_read_u16 v39, v125 offset:400
	;; [unrolled: 1-line block ×4, first 2 shown]
	v_mfma_f32_16x16x16_f16 v[30:33], v[32:33], v[194:195], v[190:193]
	v_cvt_pk_f16_f32 v27, v26, v27
	v_cvt_pk_f16_f32 v26, v28, v29
	;; [unrolled: 1-line block ×3, first 2 shown]
	v_cvt_f32_f16_e32 v190, v35
	v_cvt_f32_f16_sdwa v191, v35 dst_sel:DWORD dst_unused:UNUSED_PAD src0_sel:WORD_1
	v_cvt_f32_f16_e32 v192, v34
	v_cvt_f32_f16_sdwa v193, v34 dst_sel:DWORD dst_unused:UNUSED_PAD src0_sel:WORD_1
	s_waitcnt lgkmcnt(0)
	v_perm_b32 v45, v44, v41, s22
	v_perm_b32 v44, v39, v1, s22
	v_mfma_f32_16x16x16_f16 v[34:37], v[36:37], v[194:195], v[190:193]
	v_cvt_pk_f16_f32 v31, v30, v31
	v_cvt_pk_f16_f32 v30, v32, v33
	s_nop 0
	v_cvt_f32_f16_e32 v190, v40
	v_cvt_f32_f16_sdwa v191, v40 dst_sel:DWORD dst_unused:UNUSED_PAD src0_sel:WORD_1
	v_cvt_f32_f16_e32 v192, v38
	v_cvt_f32_f16_sdwa v193, v38 dst_sel:DWORD dst_unused:UNUSED_PAD src0_sel:WORD_1
	s_nop 0
	v_cvt_pk_f16_f32 v35, v34, v35
	v_cvt_pk_f16_f32 v34, v36, v37
	v_mfma_f32_16x16x16_f16 v[38:41], v[44:45], v[194:195], v[190:193]
	ds_read_u16 v1, v125 offset:160
	ds_read_u16 v44, v125 offset:432
	;; [unrolled: 1-line block ×4, first 2 shown]
	v_cvt_f32_f16_e32 v190, v43
	v_cvt_f32_f16_sdwa v191, v43 dst_sel:DWORD dst_unused:UNUSED_PAD src0_sel:WORD_1
	s_waitcnt lgkmcnt(2)
	v_perm_b32 v44, v44, v1, s22
	v_cvt_f32_f16_e32 v192, v42
	s_waitcnt lgkmcnt(0)
	v_perm_b32 v45, v48, v45, s22
	ds_read_u16 v1, v125 offset:192
	ds_read_u16 v48, v125 offset:464
	;; [unrolled: 1-line block ×4, first 2 shown]
	v_cvt_f32_f16_sdwa v193, v42 dst_sel:DWORD dst_unused:UNUSED_PAD src0_sel:WORD_1
	v_cvt_pk_f16_f32 v28, v24, v25
	s_waitcnt lgkmcnt(2)
	v_perm_b32 v48, v48, v1, s22
	v_mfma_f32_16x16x16_f16 v[42:45], v[44:45], v[194:195], v[190:193]
	s_waitcnt lgkmcnt(0)
	v_perm_b32 v49, v51, v49, s22
	ds_read_u16 v1, v125 offset:224
	ds_read_u16 v51, v125 offset:496
	;; [unrolled: 1-line block ×4, first 2 shown]
	v_cvt_f32_f16_e32 v190, v47
	v_cvt_f32_f16_sdwa v191, v47 dst_sel:DWORD dst_unused:UNUSED_PAD src0_sel:WORD_1
	v_cvt_f32_f16_e32 v192, v46
	v_cvt_f32_f16_sdwa v193, v46 dst_sel:DWORD dst_unused:UNUSED_PAD src0_sel:WORD_1
	s_waitcnt lgkmcnt(0)
	v_perm_b32 v197, v56, v53, s22
	v_perm_b32 v196, v51, v1, s22
	v_mfma_f32_16x16x16_f16 v[46:49], v[48:49], v[194:195], v[190:193]
	v_cvt_pk_f16_f32 v43, v42, v43
	v_cvt_pk_f16_f32 v42, v44, v45
	s_nop 0
	v_cvt_f32_f16_e32 v190, v52
	v_cvt_f32_f16_sdwa v191, v52 dst_sel:DWORD dst_unused:UNUSED_PAD src0_sel:WORD_1
	v_cvt_f32_f16_e32 v192, v50
	v_cvt_f32_f16_sdwa v193, v50 dst_sel:DWORD dst_unused:UNUSED_PAD src0_sel:WORD_1
	s_nop 0
	v_cvt_pk_f16_f32 v47, v46, v47
	v_cvt_pk_f16_f32 v46, v48, v49
	v_mfma_f32_16x16x16_f16 v[50:53], v[196:197], v[194:195], v[190:193]
	v_cvt_pk_f16_f32 v44, v38, v39
	v_cvt_pk_f16_f32 v39, v40, v41
	s_barrier
	s_nop 4
	v_cvt_pk_f16_f32 v50, v50, v51
	v_cvt_pk_f16_f32 v51, v52, v53
	s_cbranch_scc0 .LBB24_49
; %bb.46:                               ;   in Loop: Header=BB24_39 Depth=2
	v_mov_b32_e32 v32, v99
	v_mov_b32_e32 v33, v182
	s_branch .LBB24_39
.LBB24_47:                              ;   in Loop: Header=BB24_14 Depth=1
	s_cbranch_execz .LBB24_13
	s_branch .LBB24_146
.LBB24_48:                              ;   in Loop: Header=BB24_14 Depth=1
	v_mov_b32_e32 v182, 0xfeffffff
	v_mov_b32_e32 v99, 0
	v_mov_b32_e32 v28, 0
	v_mov_b32_e32 v29, 0
	v_mov_b32_e32 v26, 0
	v_mov_b32_e32 v27, 0
	v_mov_b32_e32 v30, 0
	v_mov_b32_e32 v31, 0
	v_mov_b32_e32 v34, 0
	v_mov_b32_e32 v35, 0
	v_mov_b32_e32 v39, 0
	v_mov_b32_e32 v44, 0
	v_mov_b32_e32 v42, 0
	v_mov_b32_e32 v43, 0
	v_mov_b32_e32 v46, 0
	v_mov_b32_e32 v47, 0
	v_mov_b32_e32 v51, 0
	v_mov_b32_e32 v50, 0
.LBB24_49:                              ;   in Loop: Header=BB24_14 Depth=1
	s_lshl_b32 s74, s30, 6
	v_readlane_b32 s4, v220, 4
	s_sub_i32 s92, s4, s74
	v_readlane_b32 s5, v220, 5
	s_cmp_lg_u64 s[96:97], 0
	s_cselect_b64 s[4:5], -1, 0
	s_ashr_i32 s75, s74, 31
	s_cmp_eq_u64 s[96:97], 0
	s_cbranch_scc1 .LBB24_55
; %bb.50:                               ;   in Loop: Header=BB24_14 Depth=1
	v_cmp_le_i32_e32 vcc, s92, v54
	s_and_saveexec_b64 s[24:25], vcc
	s_xor_b64 s[24:25], exec, s[24:25]
	s_cbranch_execz .LBB24_52
; %bb.51:                               ;   in Loop: Header=BB24_14 Depth=1
	ds_write_b16 v144, v57 offset:17408
	ds_write_b16 v163, v57 offset:17408
                                        ; implicit-def: $vgpr183
                                        ; implicit-def: $vgpr184
                                        ; implicit-def: $vgpr185
                                        ; implicit-def: $vgpr186
.LBB24_52:                              ;   in Loop: Header=BB24_14 Depth=1
	s_or_saveexec_b64 s[24:25], s[24:25]
	v_mov_b32_e32 v1, 0
	v_mov_b32_e32 v22, 0
	s_xor_b64 exec, exec, s[24:25]
	s_cbranch_execz .LBB24_54
; %bb.53:                               ;   in Loop: Header=BB24_14 Depth=1
	s_lshl_b64 s[26:27], s[74:75], 1
	v_mul_hi_u32 v1, s68, v183
	s_add_u32 s26, s96, s26
	v_add_u32_e32 v1, v183, v1
	s_addc_u32 s27, s97, s27
	v_lshlrev_b32_e32 v56, 1, v54
	v_lshrrev_b32_e32 v1, s69, v1
	v_lshl_add_u64 v[22:23], s[26:27], 0, v[56:57]
	v_mul_lo_u32 v1, v1, s52
	v_readlane_b32 s26, v220, 50
	v_sub_u32_e32 v1, v183, v1
	v_readlane_b32 s27, v220, 51
	s_mov_b32 s28, s26
	v_mad_i64_i32 v[24:25], s[26:27], v1, s28, 0
	v_lshl_add_u64 v[24:25], v[24:25], 1, v[22:23]
	global_load_ushort v1, v[24:25], off
	v_mul_hi_u32 v24, s68, v184
	v_add_u32_e32 v24, v184, v24
	v_lshrrev_b32_e32 v24, s69, v24
	v_mul_lo_u32 v24, v24, s52
	v_sub_u32_e32 v24, v184, v24
	v_mad_i64_i32 v[24:25], s[26:27], v24, s28, 0
	v_lshl_add_u64 v[24:25], v[24:25], 1, v[22:23]
	global_load_ushort v24, v[24:25], off
	s_waitcnt vmcnt(1)
	ds_write_b16 v144, v1 offset:17408
	s_waitcnt vmcnt(0)
	ds_write_b16 v163, v24 offset:17408
	v_mul_hi_u32 v1, s68, v185
	v_add_u32_e32 v1, v185, v1
	v_lshrrev_b32_e32 v1, s69, v1
	v_mul_lo_u32 v1, v1, s52
	v_sub_u32_e32 v1, v185, v1
	v_mad_i64_i32 v[24:25], s[26:27], v1, s28, 0
	v_lshl_add_u64 v[24:25], v[24:25], 1, v[22:23]
	global_load_ushort v1, v[24:25], off
	v_mul_hi_u32 v24, s68, v186
	v_add_u32_e32 v24, v186, v24
	v_lshrrev_b32_e32 v24, s69, v24
	v_mul_lo_u32 v24, v24, s52
	v_sub_u32_e32 v24, v186, v24
	v_mad_i64_i32 v[24:25], s[26:27], v24, s28, 0
	v_lshl_add_u64 v[22:23], v[24:25], 1, v[22:23]
	global_load_ushort v22, v[22:23], off
.LBB24_54:                              ;   in Loop: Header=BB24_14 Depth=1
	s_or_b64 exec, exec, s[24:25]
	s_waitcnt vmcnt(1)
	ds_write_b16 v164, v1 offset:17408
	s_waitcnt vmcnt(0)
	ds_write_b16 v165, v22 offset:17408
.LBB24_55:                              ;   in Loop: Header=BB24_14 Depth=1
	s_mul_hi_i32 s25, s74, s66
	s_mul_i32 s24, s74, s66
	s_lshl_b64 s[24:25], s[24:25], 2
	s_add_u32 s24, s72, s24
	s_addc_u32 s25, s73, s25
	v_lshl_add_u64 v[22:23], v[62:63], 2, s[24:25]
	v_lshlrev_b32_e32 v56, 2, v58
	v_lshl_add_u64 v[22:23], v[22:23], 0, v[56:57]
	v_mov_b32_e32 v1, s89
	v_cmp_gt_i32_e64 s[28:29], s92, v120
	scratch_store_dwordx4 off, v[2:5], off
	v_lshl_add_u64 v[32:33], v[64:65], 2, s[24:25]
	v_cndmask_b32_e64 v23, v1, v23, s[28:29]
	v_cndmask_b32_e64 v22, v181, v22, s[28:29]
	flat_load_dwordx4 v[22:25], v[22:23]
	v_lshl_add_u64 v[32:33], v[32:33], 0, v[56:57]
	v_cmp_gt_i32_e64 s[30:31], s92, v166
	v_cmp_gt_i32_e64 s[26:27], s92, v168
	s_andn2_b64 vcc, exec, s[4:5]
	v_cndmask_b32_e64 v33, v1, v33, s[30:31]
	v_cndmask_b32_e64 v32, v181, v32, s[30:31]
	s_waitcnt vmcnt(0) lgkmcnt(0)
	ds_write_b128 v121, v[22:25]
	flat_load_dwordx4 v[22:25], v[32:33]
	v_lshl_add_u64 v[32:33], v[66:67], 2, s[24:25]
	v_lshl_add_u64 v[32:33], v[32:33], 0, v[56:57]
	v_cndmask_b32_e64 v33, v1, v33, s[26:27]
	v_cndmask_b32_e64 v32, v181, v32, s[26:27]
	s_waitcnt vmcnt(0) lgkmcnt(0)
	ds_write_b128 v167, v[22:25]
	flat_load_dwordx4 v[22:25], v[32:33]
	v_lshl_add_u64 v[32:33], v[68:69], 2, s[24:25]
	v_lshl_add_u64 v[32:33], v[32:33], 0, v[56:57]
	v_cmp_gt_i32_e64 s[24:25], s92, v170
	s_waitcnt vmcnt(0) lgkmcnt(0)
	ds_write_b128 v169, v[22:25]
	v_cndmask_b32_e64 v33, v1, v33, s[24:25]
	v_cndmask_b32_e64 v32, v181, v32, s[24:25]
	flat_load_dwordx4 v[22:25], v[32:33]
	s_waitcnt vmcnt(0) lgkmcnt(0)
	ds_write_b128 v171, v[22:25]
	s_waitcnt lgkmcnt(0)
	s_barrier
	ds_read2_b64 v[22:25], v122 offset1:4
	s_waitcnt lgkmcnt(0)
	v_mfma_f32_16x16x16_f16 v[100:103], v[22:23], v[18:19], 0
	v_mfma_f32_16x16x16_f16 v[18:21], v[24:25], v[20:21], v[100:103]
	ds_read2_b64 v[22:25], v122 offset0:8 offset1:12
	s_waitcnt lgkmcnt(0)
	v_mfma_f32_16x16x16_f16 v[18:21], v[22:23], v[14:15], v[18:21]
	v_mfma_f32_16x16x16_f16 v[14:17], v[24:25], v[16:17], v[18:21]
	s_nop 6
	ds_read2_b64 v[18:21], v122 offset0:16 offset1:20
	s_waitcnt lgkmcnt(0)
	v_mfma_f32_16x16x16_f16 v[14:17], v[18:19], v[10:11], v[14:17]
	v_mfma_f32_16x16x16_f16 v[10:13], v[20:21], v[12:13], v[14:17]
	s_nop 6
	ds_read2_b64 v[14:17], v122 offset0:24 offset1:28
	s_waitcnt lgkmcnt(0)
	v_mfma_f32_16x16x16_f16 v[10:13], v[14:15], v[6:7], v[10:13]
	s_barrier
	v_mfma_f32_16x16x16_f16 v[6:9], v[16:17], v[8:9], v[10:13]
	s_cbranch_vccnz .LBB24_57
; %bb.56:                               ;   in Loop: Header=BB24_14 Depth=1
	v_add_u32_e32 v1, 0x4400, v124
	s_nop 3
	ds_read2_b32 v[10:11], v1 offset1:1
	s_waitcnt lgkmcnt(0)
	v_cvt_f32_f16_e32 v12, v10
	v_cvt_f32_f16_e32 v14, v11
	v_cvt_f32_f16_sdwa v15, v11 dst_sel:DWORD dst_unused:UNUSED_PAD src0_sel:WORD_1
	v_cvt_f32_f16_sdwa v13, v10 dst_sel:DWORD dst_unused:UNUSED_PAD src0_sel:WORD_1
	v_pk_fma_f32 v[8:9], v[98:99], v[14:15], v[8:9] op_sel_hi:[0,1,1]
	v_pk_fma_f32 v[6:7], v[98:99], v[12:13], v[6:7] op_sel_hi:[0,1,1]
.LBB24_57:                              ;   in Loop: Header=BB24_14 Depth=1
	s_mul_hi_i32 s5, s74, s54
	s_mul_i32 s4, s74, s54
	s_lshl_b64 s[4:5], s[4:5], 2
	s_add_u32 s4, s71, s4
	s_addc_u32 s5, s23, s5
	v_lshl_add_u64 v[10:11], v[70:71], 2, s[4:5]
	v_lshl_add_u64 v[10:11], v[10:11], 0, v[56:57]
	v_mov_b32_e32 v18, s89
	v_cndmask_b32_e64 v11, v18, v11, s[28:29]
	v_cndmask_b32_e64 v10, v181, v10, s[28:29]
	scratch_store_dwordx4 off, v[2:5], off
	flat_load_dwordx4 v[10:13], v[10:11]
	v_lshl_add_u64 v[14:15], v[72:73], 2, s[4:5]
	v_lshl_add_u64 v[14:15], v[14:15], 0, v[56:57]
	v_cndmask_b32_e64 v15, v18, v15, s[30:31]
	v_cndmask_b32_e64 v14, v181, v14, s[30:31]
	v_add_f32_e32 v16, 0x40051340, v6
	v_max_f32_e32 v17, v182, v182
	v_and_b32_e32 v22, 64, v180
	v_xor_b32_e32 v23, 32, v180
	v_max_f32_e32 v16, v17, v16
	v_add_u32_e32 v17, 64, v22
	v_xor_b32_e32 v24, 16, v180
	v_cmp_gt_u32_e64 s[30:31], s92, v123
	v_cmp_lt_i32_e32 vcc, v23, v17
	v_add_f32_e32 v19, 0x40051340, v7
	v_cndmask_b32_e64 v22, v182, v16, s[30:31]
	v_cndmask_b32_e32 v23, v180, v23, vcc
	v_cmp_lt_i32_e32 vcc, v24, v17
	v_lshl_add_u64 v[16:17], v[74:75], 2, s[4:5]
	v_lshl_add_u64 v[16:17], v[16:17], 0, v[56:57]
	v_cndmask_b32_e64 v17, v18, v17, s[26:27]
	v_cndmask_b32_e64 v16, v181, v16, s[26:27]
	v_max_f32_e32 v25, v22, v22
	v_cndmask_b32_e32 v24, v180, v24, vcc
	v_cmp_gt_u32_e32 vcc, s92, v172
	v_add_f32_e32 v20, 0x40051340, v8
	v_cmp_gt_u32_e64 s[26:27], s92, v173
	v_add_f32_e32 v21, 0x40051340, v9
	v_cmp_gt_u32_e64 s[28:29], s92, v174
	v_lshlrev_b32_e32 v41, 2, v23
	v_lshlrev_b32_e32 v40, 2, v24
	s_cmp_lg_u64 s[94:95], 0
	v_mov_b32_e32 v1, s87
	s_waitcnt vmcnt(0) lgkmcnt(0)
	ds_write_b128 v121, v[10:13]
	flat_load_dwordx4 v[12:15], v[14:15]
	v_mov_b32_e32 v10, s87
	v_mov_b32_e32 v11, s87
	s_waitcnt vmcnt(0) lgkmcnt(0)
	ds_write_b128 v167, v[12:15]
	flat_load_dwordx4 v[12:15], v[16:17]
	v_max_f32_e32 v16, v25, v19
	v_cndmask_b32_e32 v16, v22, v16, vcc
	v_max_f32_e32 v17, v16, v16
	v_max_f32_e32 v17, v17, v20
	v_cndmask_b32_e64 v16, v16, v17, s[26:27]
	v_max_f32_e32 v17, v16, v16
	v_max_f32_e32 v17, v17, v21
	v_cndmask_b32_e64 v19, v16, v17, s[28:29]
	ds_bpermute_b32 v20, v41, v19
	v_max_f32_e32 v19, v19, v19
	v_lshl_add_u64 v[16:17], v[76:77], 2, s[4:5]
	v_lshl_add_u64 v[16:17], v[16:17], 0, v[56:57]
	v_cndmask_b32_e64 v17, v18, v17, s[24:25]
	s_waitcnt lgkmcnt(0)
	v_max_f32_e32 v20, v20, v20
	v_max_f32_e32 v19, v19, v20
	ds_bpermute_b32 v20, v40, v19
	v_cndmask_b32_e64 v16, v181, v16, s[24:25]
	v_readlane_b32 s24, v220, 32
	s_cselect_b64 s[4:5], -1, 0
	v_readlane_b32 s25, v220, 33
	s_waitcnt lgkmcnt(0)
	v_max_f32_e32 v18, v20, v20
	v_max_f32_e32 v38, v19, v18
	v_sub_f32_e32 v18, v6, v38
	v_sub_f32_e32 v19, v7, v38
	;; [unrolled: 1-line block ×4, first 2 shown]
	v_mul_f32_e32 v6, 0x3fb8aa3b, v18
	v_mul_f32_e32 v7, 0x3fb8aa3b, v19
	;; [unrolled: 1-line block ×4, first 2 shown]
	v_fma_f32 v24, v18, s33, -v6
	v_rndne_f32_e32 v25, v6
	v_fma_f32 v32, v19, s33, -v7
	v_rndne_f32_e32 v33, v7
	;; [unrolled: 2-line block ×4, first 2 shown]
	v_fmac_f32_e32 v24, 0x32a5705f, v18
	v_sub_f32_e32 v6, v6, v25
	v_fmac_f32_e32 v32, 0x32a5705f, v19
	v_sub_f32_e32 v7, v7, v33
	;; [unrolled: 2-line block ×4, first 2 shown]
	v_add_f32_e32 v6, v6, v24
	v_cvt_i32_f32_e32 v25, v25
	v_add_f32_e32 v7, v7, v32
	v_add_f32_e32 v8, v8, v36
	;; [unrolled: 1-line block ×3, first 2 shown]
	v_exp_f32_e32 v6, v6
	v_cvt_i32_f32_e32 v33, v33
	v_cvt_i32_f32_e32 v37, v37
	;; [unrolled: 1-line block ×3, first 2 shown]
	v_exp_f32_e32 v7, v7
	v_exp_f32_e32 v8, v8
	v_exp_f32_e32 v9, v9
	s_and_b64 s[74:75], s[24:25], s[4:5]
	v_ldexp_f32 v6, v6, v25
	v_cmp_ngt_f32_e64 s[24:25], s65, v18
	v_ldexp_f32 v24, v7, v33
	v_ldexp_f32 v25, v8, v37
	;; [unrolled: 1-line block ×3, first 2 shown]
	v_cndmask_b32_e64 v33, 0, v6, s[24:25]
	v_sub_f32_e32 v22, v182, v38
	v_mul_f32_e32 v23, 0x3fb8aa3b, v22
	v_fma_f32 v49, v22, s33, -v23
	v_rndne_f32_e32 v52, v23
	v_fmac_f32_e32 v49, 0x32a5705f, v22
	v_sub_f32_e32 v23, v23, v52
	v_add_f32_e32 v23, v23, v49
	v_cvt_i32_f32_e32 v52, v52
	v_exp_f32_e32 v23, v23
	v_cmp_ngt_f32_e64 s[24:25], s65, v19
	v_ldexp_f32 v23, v23, v52
	s_waitcnt vmcnt(0)
	ds_write_b128 v169, v[12:15]
	flat_load_dwordx4 v[6:9], v[16:17]
	v_cndmask_b32_e64 v12, 0, v24, s[24:25]
	v_cmp_ngt_f32_e64 s[24:25], s65, v20
	s_waitcnt vmcnt(0) lgkmcnt(0)
	ds_write_b128 v171, v[6:9]
	v_cndmask_b32_e64 v13, 0, v25, s[24:25]
	v_cmp_ngt_f32_e64 s[24:25], s65, v21
	s_waitcnt lgkmcnt(0)
	s_barrier
	v_cndmask_b32_e64 v14, 0, v32, s[24:25]
	v_cmp_ngt_f32_e64 s[24:25], s65, v22
	s_nop 1
	v_cndmask_b32_e64 v15, 0, v23, s[24:25]
	v_cmp_nlt_f32_e64 s[24:25], s53, v18
	s_nop 1
	v_cndmask_b32_e64 v16, v178, v33, s[24:25]
	v_cmp_nlt_f32_e64 s[24:25], s53, v19
	;; [unrolled: 3-line block ×3, first 2 shown]
	v_cndmask_b32_e64 v12, 0, v16, s[30:31]
	v_cndmask_b32_e32 v1, v1, v17, vcc
	v_cndmask_b32_e64 v13, v178, v13, s[24:25]
	v_cmp_nlt_f32_e64 s[24:25], s53, v21
	v_add_f32_e32 v16, v17, v12
	v_cndmask_b32_e64 v10, v10, v13, s[26:27]
	v_cndmask_b32_e64 v14, v178, v14, s[24:25]
	v_cmp_nlt_f32_e64 s[24:25], s53, v22
	v_cndmask_b32_e64 v11, v11, v14, s[28:29]
	v_cvt_pk_f16_f32 v48, v12, v1
	v_cndmask_b32_e64 v15, v178, v15, s[24:25]
	v_cmp_le_f32_e64 s[24:25], s64, v22
	v_cndmask_b32_e32 v1, v12, v16, vcc
	v_cvt_pk_f16_f32 v49, v10, v11
	v_cndmask_b32_e64 v15, 0, v15, s[24:25]
	v_cvt_f16_f32_e32 v17, v15
	v_add_f32_e32 v10, v1, v13
	v_cndmask_b32_e64 v1, v1, v10, s[26:27]
	v_add_f32_e32 v10, v1, v14
	v_mul_u32_u24_e32 v11, 0x10001, v17
	v_cndmask_b32_e64 v1, v1, v10, s[28:29]
	v_pk_mul_f16 v12, v29, v11
	v_pk_mul_f16 v16, v27, v11
	;; [unrolled: 1-line block ×10, first 2 shown]
	v_fmac_f32_e32 v1, v99, v15
	ds_read_u16 v6, v125
	ds_read_u16 v8, v125 offset:32
	ds_read_u16 v46, v125 offset:64
	;; [unrolled: 1-line block ×23, first 2 shown]
	ds_read_u16 v42, v126
	ds_read_u16 v111, v126 offset:32
	ds_read_u16 v182, v126 offset:64
	;; [unrolled: 1-line block ×7, first 2 shown]
	v_pk_mul_f16 v13, v28, v11
	v_pk_mul_f16 v17, v26, v11
	;; [unrolled: 1-line block ×5, first 2 shown]
	s_waitcnt lgkmcnt(7)
	v_perm_b32 v7, v42, v7, s22
	v_perm_b32 v6, v9, v6, s22
	s_waitcnt lgkmcnt(6)
	v_perm_b32 v45, v111, v45, s22
	v_perm_b32 v44, v44, v8, s22
	;; [unrolled: 3-line block ×4, first 2 shown]
	v_pk_mul_f16 v31, v43, v11
	v_cvt_f32_f16_e32 v10, v12
	v_cvt_f32_f16_sdwa v11, v12 dst_sel:DWORD dst_unused:UNUSED_PAD src0_sel:WORD_1
	v_cvt_f32_f16_e32 v12, v13
	v_cvt_f32_f16_sdwa v13, v13 dst_sel:DWORD dst_unused:UNUSED_PAD src0_sel:WORD_1
	;; [unrolled: 2-line block ×8, first 2 shown]
	v_mfma_f32_16x16x16_f16 v[6:9], v[6:7], v[48:49], v[10:13]
	v_cvt_f32_f16_e32 v26, v27
	v_cvt_f32_f16_sdwa v27, v27 dst_sel:DWORD dst_unused:UNUSED_PAD src0_sel:WORD_1
	v_cvt_f32_f16_e32 v28, v29
	v_mfma_f32_16x16x16_f16 v[10:13], v[44:45], v[48:49], v[14:17]
	v_cvt_f32_f16_sdwa v29, v29 dst_sel:DWORD dst_unused:UNUSED_PAD src0_sel:WORD_1
	v_cvt_f32_f16_e32 v30, v31
	v_cvt_f32_f16_sdwa v31, v31 dst_sel:DWORD dst_unused:UNUSED_PAD src0_sel:WORD_1
	v_mfma_f32_16x16x16_f16 v[14:17], v[46:47], v[48:49], v[18:21]
	s_waitcnt lgkmcnt(3)
	v_perm_b32 v47, v184, v107, s22
	v_perm_b32 v46, v102, v53, s22
	v_cvt_f32_f16_e32 v32, v33
	v_mfma_f32_16x16x16_f16 v[18:21], v[50:51], v[48:49], v[22:25]
	s_waitcnt lgkmcnt(2)
	v_perm_b32 v51, v185, v108, s22
	v_perm_b32 v50, v103, v56, s22
	v_cvt_f32_f16_sdwa v33, v33 dst_sel:DWORD dst_unused:UNUSED_PAD src0_sel:WORD_1
	v_cvt_f32_f16_e32 v42, v39
	v_cvt_f32_f16_sdwa v43, v39 dst_sel:DWORD dst_unused:UNUSED_PAD src0_sel:WORD_1
	ds_bpermute_b32 v39, v41, v1
	v_mfma_f32_16x16x16_f16 v[22:25], v[46:47], v[48:49], v[26:29]
	s_waitcnt lgkmcnt(2)
	v_perm_b32 v47, v186, v109, s22
	v_perm_b32 v46, v104, v99, s22
	v_cvt_f32_f16_e32 v34, v35
	v_mfma_f32_16x16x16_f16 v[26:29], v[50:51], v[48:49], v[30:33]
	s_waitcnt lgkmcnt(1)
	v_perm_b32 v51, v187, v110, s22
	v_perm_b32 v50, v105, v100, s22
	v_cvt_f32_f16_sdwa v35, v35 dst_sel:DWORD dst_unused:UNUSED_PAD src0_sel:WORD_1
	v_cvt_f32_f16_e32 v36, v37
	v_cvt_f32_f16_sdwa v37, v37 dst_sel:DWORD dst_unused:UNUSED_PAD src0_sel:WORD_1
	v_cvt_f32_f16_e32 v44, v52
	v_cvt_f32_f16_sdwa v45, v52 dst_sel:DWORD dst_unused:UNUSED_PAD src0_sel:WORD_1
	s_waitcnt lgkmcnt(0)
	v_add_f32_e32 v1, v1, v39
	ds_bpermute_b32 v39, v40, v1
	v_mfma_f32_16x16x16_f16 v[30:33], v[46:47], v[48:49], v[34:37]
	v_cvt_f16_f32_e32 v12, v12
	v_cvt_f16_f32_e32 v13, v13
	v_cvt_f16_f32_e32 v46, v15
	v_mfma_f32_16x16x16_f16 v[34:37], v[50:51], v[48:49], v[42:45]
	s_waitcnt lgkmcnt(0)
	v_add_f32_e32 v39, v1, v39
	v_cvt_f16_f32_e32 v1, v8
	v_cvt_f16_f32_e32 v8, v9
	;; [unrolled: 1-line block ×29, first 2 shown]
	v_perm_b32 v24, v8, v1, s22
	v_perm_b32 v21, v13, v12, s22
	;; [unrolled: 1-line block ×16, first 2 shown]
	s_barrier
	s_and_saveexec_b64 s[24:25], s[74:75]
	s_cbranch_execz .LBB24_59
; %bb.58:                               ;   in Loop: Header=BB24_14 Depth=1
	v_cvt_pk_f16_f32 v8, v10, v11
	v_cvt_pk_f16_f32 v10, v18, v19
	global_load_dword v19, v57, s[94:95]
	v_cvt_pk_f16_f32 v7, v6, v7
	v_cvt_pk_f16_f32 v11, v22, v23
	v_max_f32_e32 v22, v38, v38
	v_cvt_pk_f16_f32 v9, v14, v15
	v_cvt_pk_f16_f32 v14, v26, v27
	;; [unrolled: 1-line block ×4, first 2 shown]
	s_waitcnt vmcnt(0)
	v_max_f32_e32 v6, v19, v19
	v_max_f32_e32 v6, v22, v6
	v_sub_f32_e32 v22, v38, v6
	v_mul_f32_e32 v23, 0x3fb8aa3b, v22
	v_fma_f32 v25, v22, s33, -v23
	v_rndne_f32_e32 v26, v23
	v_fmac_f32_e32 v25, 0x32a5705f, v22
	v_sub_f32_e32 v23, v23, v26
	v_add_f32_e32 v23, v23, v25
	v_exp_f32_e32 v23, v23
	v_cvt_i32_f32_e32 v25, v26
	v_cmp_ngt_f32_e32 vcc, s65, v22
	v_sub_f32_e32 v19, v19, v6
	v_ldexp_f32 v23, v23, v25
	v_cndmask_b32_e32 v23, 0, v23, vcc
	v_cmp_nlt_f32_e32 vcc, s53, v22
	s_nop 1
	v_cndmask_b32_e32 v23, v178, v23, vcc
	v_cmp_le_f32_e32 vcc, s64, v22
	s_nop 1
	v_cndmask_b32_e32 v22, 0, v23, vcc
	v_cvt_f16_f32_e32 v23, v22
	v_cmp_ngt_f32_e32 vcc, s65, v19
	v_mul_u32_u24_e32 v23, 0x10001, v23
	v_pk_mul_f16 v42, v7, v23
	v_mul_f32_e32 v7, 0x3fb8aa3b, v19
	v_pk_mul_f16 v37, v8, v23
	v_pk_mul_f16 v36, v9, v23
	v_fma_f32 v8, v19, s33, -v7
	v_rndne_f32_e32 v9, v7
	v_fmac_f32_e32 v8, 0x32a5705f, v19
	v_sub_f32_e32 v7, v7, v9
	v_add_f32_e32 v7, v7, v8
	v_exp_f32_e32 v7, v7
	v_cvt_i32_f32_e32 v8, v9
	v_pk_mul_f16 v24, v24, v23
	v_pk_mul_f16 v21, v21, v23
	;; [unrolled: 1-line block ×3, first 2 shown]
	v_ldexp_f32 v7, v7, v8
	v_cndmask_b32_e32 v7, 0, v7, vcc
	v_cmp_nlt_f32_e32 vcc, s53, v19
	v_pk_mul_f16 v33, v10, v23
	v_pk_mul_f16 v17, v17, v23
	v_cndmask_b32_e32 v7, v178, v7, vcc
	v_fmac_f32_e32 v7, v39, v22
	v_pk_mul_f16 v32, v11, v23
	v_pk_mul_f16 v16, v16, v23
	;; [unrolled: 1-line block ×8, first 2 shown]
	v_mov_b64_e32 v[38:39], v[6:7]
.LBB24_59:                              ;   in Loop: Header=BB24_14 Depth=1
	s_or_b64 exec, exec, s[24:25]
	s_mov_b64 s[4:5], exec
	v_readlane_b32 s24, v220, 48
	v_readlane_b32 s25, v220, 49
	s_and_b64 s[24:25], s[4:5], s[24:25]
	s_mov_b64 exec, s[24:25]
; %bb.60:                               ;   in Loop: Header=BB24_14 Depth=1
	v_add_u32_e32 v6, 0, v145
	ds_write2_b32 v6, v38, v39 offset0:64 offset1:65
; %bb.61:                               ;   in Loop: Header=BB24_14 Depth=1
	s_or_b64 exec, exec, s[4:5]
	s_waitcnt lgkmcnt(0)
	s_barrier
	s_mov_b64 s[4:5], exec
	v_readlane_b32 s24, v220, 34
	v_readlane_b32 s25, v220, 35
	s_and_b64 s[24:25], s[4:5], s[24:25]
	s_xor_b64 s[4:5], s[24:25], s[4:5]
	s_mov_b64 exec, s[24:25]
	s_cbranch_execz .LBB24_63
; %bb.62:                               ;   in Loop: Header=BB24_14 Depth=1
	s_barrier
                                        ; implicit-def: $vgpr41
                                        ; implicit-def: $vgpr40
.LBB24_63:                              ;   in Loop: Header=BB24_14 Depth=1
	s_andn2_saveexec_b64 s[4:5], s[4:5]
	s_cbranch_execz .LBB24_67
; %bb.64:                               ;   in Loop: Header=BB24_14 Depth=1
	v_add_u32_e32 v7, 0, v145
	ds_read_b64 v[8:9], v7 offset:256
	s_waitcnt lgkmcnt(0)
	s_barrier
	ds_bpermute_b32 v6, v41, v8
	v_max_f32_e32 v10, v8, v8
	s_waitcnt lgkmcnt(0)
	v_max_f32_e32 v6, v6, v6
	v_max_f32_e32 v6, v10, v6
	ds_bpermute_b32 v10, v40, v6
	s_waitcnt lgkmcnt(0)
	v_max_f32_e32 v10, v10, v10
	v_max_f32_e32 v6, v6, v10
	v_sub_f32_e32 v8, v8, v6
	v_mul_f32_e32 v10, 0x3fb8aa3b, v8
	v_fma_f32 v11, v8, s33, -v10
	v_rndne_f32_e32 v14, v10
	v_fmac_f32_e32 v11, 0x32a5705f, v8
	v_sub_f32_e32 v10, v10, v14
	v_add_f32_e32 v10, v10, v11
	v_cvt_i32_f32_e32 v14, v14
	v_exp_f32_e32 v10, v10
	v_cmp_ngt_f32_e32 vcc, s65, v8
	v_ldexp_f32 v10, v10, v14
	s_nop 0
	v_cndmask_b32_e32 v10, 0, v10, vcc
	v_cmp_nlt_f32_e32 vcc, s53, v8
	s_nop 1
	v_cndmask_b32_e32 v8, v178, v10, vcc
	v_mul_f32_e32 v10, v9, v8
	ds_bpermute_b32 v10, v41, v10
	s_waitcnt lgkmcnt(0)
	v_fmac_f32_e32 v10, v9, v8
	ds_bpermute_b32 v9, v40, v10
	s_waitcnt lgkmcnt(0)
	v_add_f32_e32 v9, v10, v9
	ds_write_b64 v7, v[8:9] offset:256
	s_mov_b64 s[24:25], exec
	v_readlane_b32 s26, v220, 48
	v_readlane_b32 s27, v220, 49
	s_and_b64 s[26:27], s[24:25], s[26:27]
	s_mov_b64 exec, s[26:27]
	s_cbranch_execz .LBB24_66
; %bb.65:                               ;   in Loop: Header=BB24_14 Depth=1
	v_mov_b32_e32 v7, v9
	global_store_dwordx2 v[80:81], v[6:7], off
.LBB24_66:                              ;   in Loop: Header=BB24_14 Depth=1
	s_or_b64 exec, exec, s[24:25]
.LBB24_67:                              ;   in Loop: Header=BB24_14 Depth=1
	s_or_b64 exec, exec, s[4:5]
	ds_write2_b32 v127, v42, v24 offset1:1
	ds_write2_b32 v127, v37, v21 offset0:8 offset1:9
	ds_write2_b32 v127, v36, v20 offset0:16 offset1:17
	;; [unrolled: 1-line block ×7, first 2 shown]
	s_waitcnt lgkmcnt(0)
	s_barrier
	s_mov_b64 s[24:25], exec
	v_readlane_b32 s4, v220, 32
	v_readlane_b32 s5, v220, 33
	s_and_b64 s[4:5], s[24:25], s[4:5]
	s_mov_b64 exec, s[4:5]
	s_cbranch_execz .LBB24_145
; %bb.68:                               ;   in Loop: Header=BB24_14 Depth=1
	v_add_u32_e32 v1, s60, v128
	v_cmp_gt_i32_e32 vcc, s52, v1
	v_mov_b32_e32 v6, 0x47
	s_and_saveexec_b64 s[4:5], vcc
	s_cbranch_execz .LBB24_70
; %bb.69:                               ;   in Loop: Header=BB24_14 Depth=1
	v_add_u32_e32 v10, 0, v146
	v_add_u32_e32 v12, v118, v146
	ds_read2st64_b32 v[6:7], v10 offset0:1 offset1:18
	ds_read2st64_b32 v[8:9], v12 offset1:17
	ds_read2st64_b32 v[10:11], v10 offset0:35 offset1:52
	ds_read2st64_b32 v[12:13], v12 offset0:34 offset1:51
	v_readlane_b32 s26, v220, 39
	s_waitcnt lgkmcnt(2)
	v_cvt_f32_f16_e32 v16, v8
	v_cvt_f32_f16_sdwa v17, v8 dst_sel:DWORD dst_unused:UNUSED_PAD src0_sel:WORD_1
	v_cvt_f32_f16_e32 v8, v9
	v_cvt_f32_f16_sdwa v9, v9 dst_sel:DWORD dst_unused:UNUSED_PAD src0_sel:WORD_1
	v_mad_u64_u32 v[14:15], s[26:27], s26, v1, v[54:55]
	v_pk_fma_f32 v[16:17], v[6:7], v[16:17], 0 op_sel_hi:[0,1,0]
	v_mov_b32_e32 v6, v7
	v_pk_fma_f32 v[6:7], v[6:7], v[8:9], v[16:17] op_sel_hi:[0,1,1]
	s_waitcnt lgkmcnt(0)
	v_cvt_f32_f16_e32 v8, v12
	v_cvt_f32_f16_sdwa v9, v12 dst_sel:DWORD dst_unused:UNUSED_PAD src0_sel:WORD_1
	v_readlane_b32 s26, v220, 55
	v_ashrrev_i32_e32 v15, 31, v14
	v_readlane_b32 s27, v220, 56
	v_pk_fma_f32 v[6:7], v[10:11], v[8:9], v[6:7] op_sel_hi:[0,1,1]
	v_cvt_f32_f16_e32 v8, v13
	v_cvt_f32_f16_sdwa v9, v13 dst_sel:DWORD dst_unused:UNUSED_PAD src0_sel:WORD_1
	v_mov_b32_e32 v10, v11
	v_lshl_add_u64 v[14:15], v[14:15], 3, s[26:27]
	v_pk_fma_f32 v[6:7], v[10:11], v[8:9], v[6:7] op_sel_hi:[0,1,1]
	global_store_dwordx2 v[14:15], v[6:7], off
	v_mov_b32_e32 v6, 0
.LBB24_70:                              ;   in Loop: Header=BB24_14 Depth=1
	s_or_b64 exec, exec, s[4:5]
	s_movk_i32 s4, 0x47
	v_cmp_gt_i32_e32 vcc, s4, v6
	s_mov_b64 s[4:5], -1
	s_and_saveexec_b64 s[26:27], vcc
; %bb.71:                               ;   in Loop: Header=BB24_14 Depth=1
	v_cmp_eq_u32_e32 vcc, 0, v6
	s_orn2_b64 s[4:5], vcc, exec
; %bb.72:                               ;   in Loop: Header=BB24_14 Depth=1
	s_or_b64 exec, exec, s[26:27]
	s_and_b64 exec, exec, s[4:5]
	s_cbranch_execz .LBB24_145
; %bb.73:                               ;   in Loop: Header=BB24_14 Depth=1
	v_add_u32_e32 v1, s60, v129
	v_cmp_gt_i32_e32 vcc, s52, v1
	v_mov_b32_e32 v6, 0x47
	s_and_saveexec_b64 s[4:5], vcc
	s_cbranch_execz .LBB24_75
; %bb.74:                               ;   in Loop: Header=BB24_14 Depth=1
	v_add_u32_e32 v10, 0, v147
	v_add_u32_e32 v12, v118, v147
	ds_read2st64_b32 v[6:7], v10 offset0:1 offset1:18
	ds_read2st64_b32 v[8:9], v12 offset1:17
	ds_read2st64_b32 v[10:11], v10 offset0:35 offset1:52
	ds_read2st64_b32 v[12:13], v12 offset0:34 offset1:51
	v_readlane_b32 s26, v220, 39
	s_waitcnt lgkmcnt(2)
	v_cvt_f32_f16_e32 v16, v8
	v_cvt_f32_f16_sdwa v17, v8 dst_sel:DWORD dst_unused:UNUSED_PAD src0_sel:WORD_1
	v_cvt_f32_f16_e32 v8, v9
	v_cvt_f32_f16_sdwa v9, v9 dst_sel:DWORD dst_unused:UNUSED_PAD src0_sel:WORD_1
	v_mad_u64_u32 v[14:15], s[26:27], s26, v1, v[54:55]
	v_pk_fma_f32 v[16:17], v[6:7], v[16:17], 0 op_sel_hi:[0,1,0]
	v_mov_b32_e32 v6, v7
	v_pk_fma_f32 v[6:7], v[6:7], v[8:9], v[16:17] op_sel_hi:[0,1,1]
	s_waitcnt lgkmcnt(0)
	v_cvt_f32_f16_e32 v8, v12
	v_cvt_f32_f16_sdwa v9, v12 dst_sel:DWORD dst_unused:UNUSED_PAD src0_sel:WORD_1
	v_readlane_b32 s26, v220, 55
	v_ashrrev_i32_e32 v15, 31, v14
	v_readlane_b32 s27, v220, 56
	v_pk_fma_f32 v[6:7], v[10:11], v[8:9], v[6:7] op_sel_hi:[0,1,1]
	v_cvt_f32_f16_e32 v8, v13
	v_cvt_f32_f16_sdwa v9, v13 dst_sel:DWORD dst_unused:UNUSED_PAD src0_sel:WORD_1
	v_mov_b32_e32 v10, v11
	v_lshl_add_u64 v[14:15], v[14:15], 3, s[26:27]
	v_pk_fma_f32 v[6:7], v[10:11], v[8:9], v[6:7] op_sel_hi:[0,1,1]
	global_store_dwordx2 v[14:15], v[6:7], off
	v_mov_b32_e32 v6, 0
.LBB24_75:                              ;   in Loop: Header=BB24_14 Depth=1
	s_or_b64 exec, exec, s[4:5]
	s_movk_i32 s4, 0x47
	v_cmp_gt_i32_e32 vcc, s4, v6
	s_mov_b64 s[4:5], -1
	s_and_saveexec_b64 s[26:27], vcc
; %bb.76:                               ;   in Loop: Header=BB24_14 Depth=1
	v_cmp_eq_u32_e32 vcc, 0, v6
	s_orn2_b64 s[4:5], vcc, exec
; %bb.77:                               ;   in Loop: Header=BB24_14 Depth=1
	s_or_b64 exec, exec, s[26:27]
	s_and_b64 exec, exec, s[4:5]
	;; [unrolled: 50-line block ×6, first 2 shown]
	s_cbranch_execz .LBB24_145
; %bb.98:                               ;   in Loop: Header=BB24_14 Depth=1
	v_add_u32_e32 v1, s60, v134
	v_cmp_gt_i32_e32 vcc, s52, v1
	v_mov_b32_e32 v6, 0x47
	s_and_saveexec_b64 s[4:5], vcc
	s_cbranch_execz .LBB24_100
; %bb.99:                               ;   in Loop: Header=BB24_14 Depth=1
	v_add_u32_e32 v10, 0, v152
	v_add_u32_e32 v12, v118, v152
	ds_read2st64_b32 v[6:7], v10 offset0:1 offset1:18
	ds_read2st64_b32 v[8:9], v12 offset1:17
	ds_read2st64_b32 v[10:11], v10 offset0:35 offset1:52
	ds_read2st64_b32 v[12:13], v12 offset0:34 offset1:51
	v_readlane_b32 s26, v220, 39
	s_waitcnt lgkmcnt(2)
	v_cvt_f32_f16_e32 v16, v8
	v_cvt_f32_f16_sdwa v17, v8 dst_sel:DWORD dst_unused:UNUSED_PAD src0_sel:WORD_1
	v_cvt_f32_f16_e32 v8, v9
	v_cvt_f32_f16_sdwa v9, v9 dst_sel:DWORD dst_unused:UNUSED_PAD src0_sel:WORD_1
	v_mad_u64_u32 v[14:15], s[26:27], s26, v1, v[54:55]
	v_pk_fma_f32 v[16:17], v[6:7], v[16:17], 0 op_sel_hi:[0,1,0]
	v_mov_b32_e32 v6, v7
	v_pk_fma_f32 v[6:7], v[6:7], v[8:9], v[16:17] op_sel_hi:[0,1,1]
	s_waitcnt lgkmcnt(0)
	v_cvt_f32_f16_e32 v8, v12
	v_cvt_f32_f16_sdwa v9, v12 dst_sel:DWORD dst_unused:UNUSED_PAD src0_sel:WORD_1
	v_readlane_b32 s26, v220, 55
	v_ashrrev_i32_e32 v15, 31, v14
	v_readlane_b32 s27, v220, 56
	v_pk_fma_f32 v[6:7], v[10:11], v[8:9], v[6:7] op_sel_hi:[0,1,1]
	v_cvt_f32_f16_e32 v8, v13
	v_cvt_f32_f16_sdwa v9, v13 dst_sel:DWORD dst_unused:UNUSED_PAD src0_sel:WORD_1
	v_mov_b32_e32 v10, v11
	v_lshl_add_u64 v[14:15], v[14:15], 3, s[26:27]
	v_pk_fma_f32 v[6:7], v[10:11], v[8:9], v[6:7] op_sel_hi:[0,1,1]
	global_store_dwordx2 v[14:15], v[6:7], off
	v_mov_b32_e32 v6, 0
.LBB24_100:                             ;   in Loop: Header=BB24_14 Depth=1
	s_or_b64 exec, exec, s[4:5]
	s_movk_i32 s4, 0x47
	v_cmp_gt_i32_e32 vcc, s4, v6
	s_mov_b64 s[4:5], -1
	s_and_saveexec_b64 s[26:27], vcc
; %bb.101:                              ;   in Loop: Header=BB24_14 Depth=1
	v_cmp_eq_u32_e32 vcc, 0, v6
	s_orn2_b64 s[4:5], vcc, exec
; %bb.102:                              ;   in Loop: Header=BB24_14 Depth=1
	s_or_b64 exec, exec, s[26:27]
	s_and_b64 exec, exec, s[4:5]
	s_cbranch_execz .LBB24_145
; %bb.103:                              ;   in Loop: Header=BB24_14 Depth=1
	v_add_u32_e32 v1, s60, v135
	v_cmp_gt_i32_e32 vcc, s52, v1
	v_mov_b32_e32 v6, 0x47
	s_and_saveexec_b64 s[4:5], vcc
	s_cbranch_execz .LBB24_105
; %bb.104:                              ;   in Loop: Header=BB24_14 Depth=1
	v_add_u32_e32 v10, 0, v153
	v_add_u32_e32 v12, v118, v153
	ds_read2st64_b32 v[6:7], v10 offset0:1 offset1:18
	ds_read2st64_b32 v[8:9], v12 offset1:17
	ds_read2st64_b32 v[10:11], v10 offset0:35 offset1:52
	ds_read2st64_b32 v[12:13], v12 offset0:34 offset1:51
	v_readlane_b32 s26, v220, 39
	s_waitcnt lgkmcnt(2)
	v_cvt_f32_f16_e32 v16, v8
	v_cvt_f32_f16_sdwa v17, v8 dst_sel:DWORD dst_unused:UNUSED_PAD src0_sel:WORD_1
	v_cvt_f32_f16_e32 v8, v9
	v_cvt_f32_f16_sdwa v9, v9 dst_sel:DWORD dst_unused:UNUSED_PAD src0_sel:WORD_1
	v_mad_u64_u32 v[14:15], s[26:27], s26, v1, v[54:55]
	v_pk_fma_f32 v[16:17], v[6:7], v[16:17], 0 op_sel_hi:[0,1,0]
	v_mov_b32_e32 v6, v7
	v_pk_fma_f32 v[6:7], v[6:7], v[8:9], v[16:17] op_sel_hi:[0,1,1]
	s_waitcnt lgkmcnt(0)
	v_cvt_f32_f16_e32 v8, v12
	v_cvt_f32_f16_sdwa v9, v12 dst_sel:DWORD dst_unused:UNUSED_PAD src0_sel:WORD_1
	v_readlane_b32 s26, v220, 55
	v_ashrrev_i32_e32 v15, 31, v14
	v_readlane_b32 s27, v220, 56
	v_pk_fma_f32 v[6:7], v[10:11], v[8:9], v[6:7] op_sel_hi:[0,1,1]
	v_cvt_f32_f16_e32 v8, v13
	v_cvt_f32_f16_sdwa v9, v13 dst_sel:DWORD dst_unused:UNUSED_PAD src0_sel:WORD_1
	v_mov_b32_e32 v10, v11
	v_lshl_add_u64 v[14:15], v[14:15], 3, s[26:27]
	v_pk_fma_f32 v[6:7], v[10:11], v[8:9], v[6:7] op_sel_hi:[0,1,1]
	global_store_dwordx2 v[14:15], v[6:7], off
	v_mov_b32_e32 v6, 0
.LBB24_105:                             ;   in Loop: Header=BB24_14 Depth=1
	s_or_b64 exec, exec, s[4:5]
	s_movk_i32 s4, 0x47
	v_cmp_gt_i32_e32 vcc, s4, v6
	s_mov_b64 s[4:5], -1
	s_and_saveexec_b64 s[26:27], vcc
; %bb.106:                              ;   in Loop: Header=BB24_14 Depth=1
	v_cmp_eq_u32_e32 vcc, 0, v6
	s_orn2_b64 s[4:5], vcc, exec
; %bb.107:                              ;   in Loop: Header=BB24_14 Depth=1
	s_or_b64 exec, exec, s[26:27]
	s_and_b64 exec, exec, s[4:5]
	s_cbranch_execz .LBB24_145
; %bb.108:                              ;   in Loop: Header=BB24_14 Depth=1
	v_add_u32_e32 v1, s60, v136
	v_cmp_gt_i32_e32 vcc, s52, v1
	v_mov_b32_e32 v6, 0x47
	s_and_saveexec_b64 s[4:5], vcc
	s_cbranch_execz .LBB24_110
; %bb.109:                              ;   in Loop: Header=BB24_14 Depth=1
	v_add_u32_e32 v10, 0, v154
	v_add_u32_e32 v12, v118, v154
	ds_read2st64_b32 v[6:7], v10 offset0:1 offset1:18
	ds_read2st64_b32 v[8:9], v12 offset1:17
	ds_read2st64_b32 v[10:11], v10 offset0:35 offset1:52
	ds_read2st64_b32 v[12:13], v12 offset0:34 offset1:51
	v_readlane_b32 s26, v220, 39
	s_waitcnt lgkmcnt(2)
	v_cvt_f32_f16_e32 v16, v8
	v_cvt_f32_f16_sdwa v17, v8 dst_sel:DWORD dst_unused:UNUSED_PAD src0_sel:WORD_1
	v_cvt_f32_f16_e32 v8, v9
	v_cvt_f32_f16_sdwa v9, v9 dst_sel:DWORD dst_unused:UNUSED_PAD src0_sel:WORD_1
	v_mad_u64_u32 v[14:15], s[26:27], s26, v1, v[54:55]
	v_pk_fma_f32 v[16:17], v[6:7], v[16:17], 0 op_sel_hi:[0,1,0]
	v_mov_b32_e32 v6, v7
	v_pk_fma_f32 v[6:7], v[6:7], v[8:9], v[16:17] op_sel_hi:[0,1,1]
	s_waitcnt lgkmcnt(0)
	v_cvt_f32_f16_e32 v8, v12
	v_cvt_f32_f16_sdwa v9, v12 dst_sel:DWORD dst_unused:UNUSED_PAD src0_sel:WORD_1
	v_readlane_b32 s26, v220, 55
	v_ashrrev_i32_e32 v15, 31, v14
	v_readlane_b32 s27, v220, 56
	v_pk_fma_f32 v[6:7], v[10:11], v[8:9], v[6:7] op_sel_hi:[0,1,1]
	v_cvt_f32_f16_e32 v8, v13
	v_cvt_f32_f16_sdwa v9, v13 dst_sel:DWORD dst_unused:UNUSED_PAD src0_sel:WORD_1
	v_mov_b32_e32 v10, v11
	v_lshl_add_u64 v[14:15], v[14:15], 3, s[26:27]
	v_pk_fma_f32 v[6:7], v[10:11], v[8:9], v[6:7] op_sel_hi:[0,1,1]
	global_store_dwordx2 v[14:15], v[6:7], off
	v_mov_b32_e32 v6, 0
.LBB24_110:                             ;   in Loop: Header=BB24_14 Depth=1
	;; [unrolled: 50-line block ×8, first 2 shown]
	s_or_b64 exec, exec, s[4:5]
	s_movk_i32 s4, 0x47
	v_cmp_gt_i32_e32 vcc, s4, v6
	s_mov_b64 s[4:5], -1
	s_and_saveexec_b64 s[26:27], vcc
; %bb.141:                              ;   in Loop: Header=BB24_14 Depth=1
	v_cmp_eq_u32_e32 vcc, 0, v6
	s_orn2_b64 s[4:5], vcc, exec
; %bb.142:                              ;   in Loop: Header=BB24_14 Depth=1
	s_or_b64 exec, exec, s[26:27]
	s_and_b64 exec, exec, s[4:5]
	s_cbranch_execz .LBB24_145
; %bb.143:                              ;   in Loop: Header=BB24_14 Depth=1
	v_add_u32_e32 v1, s60, v143
	v_cmp_gt_i32_e32 vcc, s52, v1
	s_and_b64 exec, exec, vcc
	s_cbranch_execz .LBB24_145
; %bb.144:                              ;   in Loop: Header=BB24_14 Depth=1
	v_add_u32_e32 v10, 0, v161
	v_add_u32_e32 v12, v118, v161
	ds_read2st64_b32 v[6:7], v10 offset0:1 offset1:18
	ds_read2st64_b32 v[8:9], v12 offset1:17
	ds_read2st64_b32 v[10:11], v10 offset0:35 offset1:52
	ds_read2st64_b32 v[12:13], v12 offset0:34 offset1:51
	v_readlane_b32 s4, v220, 39
	s_waitcnt lgkmcnt(2)
	v_cvt_f32_f16_e32 v16, v8
	v_cvt_f32_f16_sdwa v17, v8 dst_sel:DWORD dst_unused:UNUSED_PAD src0_sel:WORD_1
	v_cvt_f32_f16_e32 v8, v9
	v_cvt_f32_f16_sdwa v9, v9 dst_sel:DWORD dst_unused:UNUSED_PAD src0_sel:WORD_1
	v_mad_u64_u32 v[14:15], s[4:5], s4, v1, v[54:55]
	v_pk_fma_f32 v[16:17], v[6:7], v[16:17], 0 op_sel_hi:[0,1,0]
	v_mov_b32_e32 v6, v7
	v_pk_fma_f32 v[6:7], v[6:7], v[8:9], v[16:17] op_sel_hi:[0,1,1]
	s_waitcnt lgkmcnt(0)
	v_cvt_f32_f16_e32 v8, v12
	v_cvt_f32_f16_sdwa v9, v12 dst_sel:DWORD dst_unused:UNUSED_PAD src0_sel:WORD_1
	v_readlane_b32 s4, v220, 55
	v_ashrrev_i32_e32 v15, 31, v14
	v_readlane_b32 s5, v220, 56
	v_pk_fma_f32 v[6:7], v[10:11], v[8:9], v[6:7] op_sel_hi:[0,1,1]
	v_cvt_f32_f16_e32 v8, v13
	v_cvt_f32_f16_sdwa v9, v13 dst_sel:DWORD dst_unused:UNUSED_PAD src0_sel:WORD_1
	v_mov_b32_e32 v10, v11
	v_lshl_add_u64 v[14:15], v[14:15], 3, s[4:5]
	v_pk_fma_f32 v[6:7], v[10:11], v[8:9], v[6:7] op_sel_hi:[0,1,1]
	global_store_dwordx2 v[14:15], v[6:7], off
.LBB24_145:                             ;   in Loop: Header=BB24_14 Depth=1
	s_or_b64 exec, exec, s[24:25]
	s_barrier
	s_branch .LBB24_13
.LBB24_146:                             ;   in Loop: Header=BB24_14 Depth=1
	s_lshl_b32 s84, s84, 4
	v_add_u32_e32 v100, s84, v113
	v_cmp_le_i32_e32 vcc, s52, v100
	s_and_saveexec_b64 s[4:5], vcc
	s_xor_b64 s[4:5], exec, s[4:5]
; %bb.147:                              ;   in Loop: Header=BB24_14 Depth=1
	v_add_u32_e32 v1, v118, v175
	ds_write_b32 v1, v57
; %bb.148:                              ;   in Loop: Header=BB24_14 Depth=1
	s_andn2_saveexec_b64 s[4:5], s[4:5]
	s_cbranch_execz .LBB24_150
; %bb.149:                              ;   in Loop: Header=BB24_14 Depth=1
	v_mad_u64_u32 v[6:7], s[24:25], v100, s93, v[54:55]
	v_ashrrev_i32_e32 v7, 31, v6
	v_lshl_add_u64 v[6:7], v[6:7], 3, s[98:99]
	global_load_dwordx2 v[6:7], v[6:7], off
	s_waitcnt vmcnt(0)
	v_cvt_pk_f16_f32 v1, v6, v7
	v_pk_mul_f16 v1, v1, v162
	v_add_u32_e32 v6, v118, v175
	ds_write_b32 v6, v1
.LBB24_150:                             ;   in Loop: Header=BB24_14 Depth=1
	s_or_b64 exec, exec, s[4:5]
	v_add_u32_e32 v104, s84, v116
	v_cmp_le_i32_e32 vcc, s52, v104
	s_and_saveexec_b64 s[4:5], vcc
	s_xor_b64 s[4:5], exec, s[4:5]
; %bb.151:                              ;   in Loop: Header=BB24_14 Depth=1
	v_add_u32_e32 v1, v118, v175
	ds_write_b32 v1, v57 offset:1088
; %bb.152:                              ;   in Loop: Header=BB24_14 Depth=1
	s_andn2_saveexec_b64 s[4:5], s[4:5]
	s_cbranch_execz .LBB24_154
; %bb.153:                              ;   in Loop: Header=BB24_14 Depth=1
	v_mad_u64_u32 v[6:7], s[24:25], v104, s93, v[54:55]
	v_ashrrev_i32_e32 v7, 31, v6
	v_lshl_add_u64 v[6:7], v[6:7], 3, s[98:99]
	global_load_dwordx2 v[6:7], v[6:7], off
	s_waitcnt vmcnt(0)
	v_cvt_pk_f16_f32 v1, v6, v7
	v_pk_mul_f16 v1, v1, v162
	v_add_u32_e32 v6, v118, v175
	ds_write_b32 v6, v1 offset:1088
.LBB24_154:                             ;   in Loop: Header=BB24_14 Depth=1
	s_or_b64 exec, exec, s[4:5]
	v_add_u32_e32 v109, s84, v59
	v_cmp_le_i32_e32 vcc, s52, v109
	s_and_saveexec_b64 s[4:5], vcc
	s_xor_b64 s[4:5], exec, s[4:5]
; %bb.155:                              ;   in Loop: Header=BB24_14 Depth=1
	v_add_u32_e32 v1, v118, v175
	ds_write_b32 v1, v57 offset:2176
; %bb.156:                              ;   in Loop: Header=BB24_14 Depth=1
	s_andn2_saveexec_b64 s[4:5], s[4:5]
	s_cbranch_execz .LBB24_158
; %bb.157:                              ;   in Loop: Header=BB24_14 Depth=1
	v_mad_u64_u32 v[6:7], s[24:25], v109, s93, v[54:55]
	v_ashrrev_i32_e32 v7, 31, v6
	v_lshl_add_u64 v[6:7], v[6:7], 3, s[98:99]
	global_load_dwordx2 v[6:7], v[6:7], off
	s_waitcnt vmcnt(0)
	v_cvt_pk_f16_f32 v1, v6, v7
	v_pk_mul_f16 v1, v1, v162
	v_add_u32_e32 v6, v118, v175
	ds_write_b32 v6, v1 offset:2176
.LBB24_158:                             ;   in Loop: Header=BB24_14 Depth=1
	;; [unrolled: 22-line block ×3, first 2 shown]
	s_or_b64 exec, exec, s[4:5]
	s_waitcnt lgkmcnt(0)
	s_barrier
	ds_read2_b64 v[18:21], v119 offset1:4
	ds_read2_b64 v[14:17], v119 offset0:8 offset1:12
	ds_read2_b64 v[10:13], v119 offset0:16 offset1:20
	;; [unrolled: 1-line block ×3, first 2 shown]
	s_cmp_lt_i32 s62, 2
	s_waitcnt lgkmcnt(0)
	s_barrier
	s_cbranch_scc1 .LBB24_171
; %bb.163:                              ;   in Loop: Header=BB24_14 Depth=1
	v_mul_hi_u32 v22, s68, v104
	v_add_u32_e32 v22, v104, v22
	v_lshrrev_b32_e32 v22, s69, v22
	v_mul_lo_u32 v22, v22, s52
	v_sub_u32_e32 v24, v104, v22
	v_mul_hi_u32 v22, s68, v109
	v_add_u32_e32 v22, v109, v22
	v_lshrrev_b32_e32 v22, s69, v22
	v_mul_lo_u32 v22, v22, s52
	v_sub_u32_e32 v25, v109, v22
	;; [unrolled: 5-line block ×3, first 2 shown]
	v_and_b32_e32 v22, 64, v180
	v_add_u32_e32 v22, 64, v22
	v_xor_b32_e32 v23, 32, v180
	v_cmp_lt_i32_e32 vcc, v23, v22
	v_mul_hi_u32 v1, s68, v100
	v_add_u32_e32 v1, v100, v1
	v_cndmask_b32_e32 v23, v180, v23, vcc
	v_lshlrev_b32_e32 v56, 2, v23
	v_xor_b32_e32 v23, 16, v180
	v_lshrrev_b32_e32 v1, s69, v1
	v_cmp_lt_i32_e32 vcc, v23, v22
	v_mul_lo_u32 v1, v1, s52
	v_readlane_b32 s4, v220, 52
	v_cndmask_b32_e32 v22, v180, v23, vcc
	s_add_i32 s28, s62, -1
	v_sub_u32_e32 v1, v100, v1
	v_lshlrev_b32_e32 v189, 2, v22
	v_lshl_add_u64 v[22:23], s[96:97], 0, v[60:61]
	v_readlane_b32 s5, v220, 53
	s_mov_b32 s24, s4
	s_cmp_lg_u64 s[96:97], 0
	v_mad_i64_i32 v[28:29], s[4:5], s24, v1, v[22:23]
	v_mad_i64_i32 v[30:31], s[4:5], s24, v24, v[22:23]
	;; [unrolled: 1-line block ×4, first 2 shown]
	s_cselect_b64 s[26:27], -1, 0
	s_add_u32 s4, s79, s34
	s_addc_u32 s5, s86, s35
	v_lshl_add_u64 v[36:37], v[82:83], 0, s[4:5]
	v_lshl_add_u64 v[38:39], v[84:85], 0, s[4:5]
	;; [unrolled: 1-line block ×4, first 2 shown]
	s_add_u32 s4, s81, s70
	s_addc_u32 s5, s80, s58
	v_mov_b32_e32 v26, v98
	v_mov_b32_e32 v27, v98
	v_lshl_add_u64 v[44:45], v[90:91], 0, s[4:5]
	v_lshl_add_u64 v[46:47], v[92:93], 0, s[4:5]
	;; [unrolled: 1-line block ×4, first 2 shown]
	v_mov_b32_e32 v53, 0
	v_mov_b32_e32 v192, 0xfeffffff
	;; [unrolled: 1-line block ×3, first 2 shown]
	s_mov_b32 s29, s28
	v_mov_b32_e32 v101, 0
	v_mov_b32_e32 v103, 0
	;; [unrolled: 1-line block ×15, first 2 shown]
	v_cndmask_b32_e64 v1, 0, 1, s[26:27]
	v_cmp_ne_u32_e64 s[24:25], 1, v1
	s_andn2_b64 vcc, exec, s[26:27]
	s_cbranch_vccnz .LBB24_167
.LBB24_164:                             ;   in Loop: Header=BB24_14 Depth=1
	v_mov_b32_e32 v1, 0
	v_mov_b32_e32 v22, 0
	v_mov_b32_e32 v23, 0
	v_mov_b32_e32 v24, 0
	s_and_saveexec_b64 s[4:5], s[0:1]
	s_cbranch_execz .LBB24_166
; %bb.165:                              ;   in Loop: Header=BB24_14 Depth=1
	global_load_ushort v1, v[28:29], off
	global_load_ushort v22, v[30:31], off
	;; [unrolled: 1-line block ×4, first 2 shown]
.LBB24_166:                             ;   in Loop: Header=BB24_14 Depth=1
	s_or_b64 exec, exec, s[4:5]
	s_waitcnt vmcnt(3)
	ds_write_b16 v144, v1 offset:17408
	s_waitcnt vmcnt(2)
	ds_write_b16 v163, v22 offset:17408
	;; [unrolled: 2-line block ×4, first 2 shown]
.LBB24_167:                             ;   Parent Loop BB24_14 Depth=1
                                        ; =>  This Inner Loop Header: Depth=2
	v_lshl_add_u64 v[22:23], v[44:45], 0, v[78:79]
	v_mov_b32_e32 v1, s89
	v_cndmask_b32_e64 v23, v1, v23, s[6:7]
	v_cndmask_b32_e64 v22, v181, v22, s[6:7]
	scratch_store_dwordx4 off, v[2:5], off
	flat_load_dwordx4 v[22:25], v[22:23]
	v_lshl_add_u64 v[194:195], v[46:47], 0, v[78:79]
	v_cndmask_b32_e64 v195, v1, v195, s[8:9]
	v_cndmask_b32_e64 v194, v181, v194, s[8:9]
	s_and_b64 vcc, exec, s[24:25]
	s_waitcnt vmcnt(0) lgkmcnt(0)
	ds_write_b128 v121, v[22:25]
	flat_load_dwordx4 v[22:25], v[194:195]
	v_lshl_add_u64 v[194:195], v[48:49], 0, v[78:79]
	v_cndmask_b32_e64 v195, v1, v195, s[10:11]
	v_cndmask_b32_e64 v194, v181, v194, s[10:11]
	s_waitcnt vmcnt(0) lgkmcnt(0)
	ds_write_b128 v167, v[22:25]
	flat_load_dwordx4 v[22:25], v[194:195]
	v_lshl_add_u64 v[194:195], v[50:51], 0, v[78:79]
	v_cndmask_b32_e64 v195, v1, v195, s[12:13]
	v_cndmask_b32_e64 v194, v181, v194, s[12:13]
	s_waitcnt vmcnt(0) lgkmcnt(0)
	ds_write_b128 v169, v[22:25]
	flat_load_dwordx4 v[22:25], v[194:195]
	s_waitcnt vmcnt(0) lgkmcnt(0)
	ds_write_b128 v171, v[22:25]
	s_waitcnt lgkmcnt(0)
	s_barrier
	ds_read2_b64 v[22:25], v122 offset1:4
	s_waitcnt lgkmcnt(0)
	v_mfma_f32_16x16x16_f16 v[194:197], v[22:23], v[18:19], 0
	v_mfma_f32_16x16x16_f16 v[22:25], v[24:25], v[20:21], v[194:197]
	s_nop 6
	ds_read2_b64 v[194:197], v122 offset0:8 offset1:12
	s_waitcnt lgkmcnt(0)
	v_mfma_f32_16x16x16_f16 v[22:25], v[194:195], v[14:15], v[22:25]
	v_mfma_f32_16x16x16_f16 v[22:25], v[196:197], v[16:17], v[22:25]
	ds_read2_b64 v[194:197], v122 offset0:16 offset1:20
	s_waitcnt lgkmcnt(0)
	v_mfma_f32_16x16x16_f16 v[22:25], v[194:195], v[10:11], v[22:25]
	v_mfma_f32_16x16x16_f16 v[22:25], v[196:197], v[12:13], v[22:25]
	ds_read2_b64 v[194:197], v122 offset0:24 offset1:28
	s_waitcnt lgkmcnt(0)
	s_barrier
	v_mfma_f32_16x16x16_f16 v[22:25], v[194:195], v[6:7], v[22:25]
	v_mfma_f32_16x16x16_f16 v[22:25], v[196:197], v[8:9], v[22:25]
	s_cbranch_vccnz .LBB24_169
; %bb.168:                              ;   in Loop: Header=BB24_167 Depth=2
	v_add_u32_e32 v1, 0x4400, v124
	ds_read2_b32 v[194:195], v1 offset1:1
	v_mov_b32_e32 v99, v98
	s_waitcnt lgkmcnt(0)
	v_cvt_f32_f16_e32 v196, v194
	v_cvt_f32_f16_e32 v198, v195
	v_cvt_f32_f16_sdwa v199, v195 dst_sel:DWORD dst_unused:UNUSED_PAD src0_sel:WORD_1
	v_cvt_f32_f16_sdwa v197, v194 dst_sel:DWORD dst_unused:UNUSED_PAD src0_sel:WORD_1
	v_pk_fma_f32 v[24:25], v[98:99], v[198:199], v[24:25]
	v_pk_fma_f32 v[22:23], v[26:27], v[196:197], v[22:23]
.LBB24_169:                             ;   in Loop: Header=BB24_167 Depth=2
	s_nop 0
	v_add_f32_e32 v1, 0x40051340, v22
	v_max_f32_e32 v52, v192, v192
	v_max_f32_e32 v1, v52, v1
	v_cndmask_b32_e64 v1, v192, v1, s[14:15]
	v_add_f32_e32 v52, 0x40051340, v23
	v_max_f32_e32 v99, v1, v1
	v_max_f32_e32 v52, v99, v52
	v_cndmask_b32_e64 v1, v1, v52, s[16:17]
	;; [unrolled: 4-line block ×4, first 2 shown]
	ds_bpermute_b32 v52, v56, v1
	v_max_f32_e32 v1, v1, v1
	v_lshl_add_u64 v[194:195], v[38:39], 0, v[78:79]
	v_cndmask_b32_e64 v196, v181, v194, s[8:9]
	scratch_store_dwordx4 off, v[2:5], off
	s_waitcnt lgkmcnt(0)
	v_max_f32_e32 v52, v52, v52
	v_max_f32_e32 v1, v1, v52
	ds_bpermute_b32 v52, v189, v1
	s_add_i32 s29, s29, -1
	v_lshl_add_u64 v[28:29], v[28:29], 0, s[2:3]
	v_lshl_add_u64 v[30:31], v[30:31], 0, s[2:3]
	;; [unrolled: 1-line block ×3, first 2 shown]
	s_waitcnt lgkmcnt(0)
	v_max_f32_e32 v52, v52, v52
	v_max_f32_e32 v52, v1, v52
	v_sub_f32_e32 v1, v22, v52
	v_mul_f32_e32 v22, 0x3fb8aa3b, v1
	v_fma_f32 v99, v1, s33, -v22
	v_rndne_f32_e32 v190, v22
	v_fmac_f32_e32 v99, 0x32a5705f, v1
	v_sub_f32_e32 v22, v22, v190
	v_add_f32_e32 v22, v22, v99
	v_exp_f32_e32 v22, v22
	v_cvt_i32_f32_e32 v99, v190
	v_cmp_ngt_f32_e32 vcc, s65, v1
	v_sub_f32_e32 v24, v24, v52
	v_lshl_add_u64 v[34:35], v[34:35], 0, s[2:3]
	v_ldexp_f32 v22, v22, v99
	v_cndmask_b32_e32 v22, 0, v22, vcc
	v_cmp_nlt_f32_e32 vcc, s53, v1
	v_lshl_add_u64 v[38:39], v[38:39], 0, s[82:83]
	v_lshl_add_u64 v[44:45], v[44:45], 0, s[90:91]
	v_cndmask_b32_e32 v1, v178, v22, vcc
	v_cndmask_b32_e64 v22, 0, v1, s[14:15]
	v_sub_f32_e32 v1, v23, v52
	v_mul_f32_e32 v23, 0x3fb8aa3b, v1
	v_fma_f32 v99, v1, s33, -v23
	v_rndne_f32_e32 v190, v23
	v_fmac_f32_e32 v99, 0x32a5705f, v1
	v_sub_f32_e32 v23, v23, v190
	v_add_f32_e32 v23, v23, v99
	v_exp_f32_e32 v23, v23
	v_cvt_i32_f32_e32 v99, v190
	v_cmp_ngt_f32_e32 vcc, s65, v1
	v_lshl_add_u64 v[46:47], v[46:47], 0, s[90:91]
	v_lshl_add_u64 v[48:49], v[48:49], 0, s[90:91]
	v_ldexp_f32 v23, v23, v99
	v_cndmask_b32_e32 v23, 0, v23, vcc
	v_cmp_nlt_f32_e32 vcc, s53, v1
	v_mov_b32_e32 v1, s87
	v_lshl_add_u64 v[50:51], v[50:51], 0, s[90:91]
	v_cndmask_b32_e32 v23, v178, v23, vcc
	v_add_f32_e32 v99, v23, v22
	v_cndmask_b32_e64 v1, v1, v23, s[16:17]
	v_cndmask_b32_e64 v23, v22, v99, s[16:17]
	v_mul_f32_e32 v99, 0x3fb8aa3b, v24
	v_fma_f32 v190, v24, s33, -v99
	v_rndne_f32_e32 v193, v99
	v_fmac_f32_e32 v190, 0x32a5705f, v24
	v_sub_f32_e32 v99, v99, v193
	v_add_f32_e32 v99, v99, v190
	v_exp_f32_e32 v99, v99
	v_cvt_i32_f32_e32 v190, v193
	v_cmp_ngt_f32_e32 vcc, s65, v24
	v_cvt_pk_f16_f32 v218, v22, v1
	s_cmp_lg_u32 s29, 0
	v_ldexp_f32 v99, v99, v190
	v_cndmask_b32_e32 v99, 0, v99, vcc
	v_cmp_nlt_f32_e32 vcc, s53, v24
	v_mov_b32_e32 v24, s87
	s_nop 0
	v_cndmask_b32_e32 v99, v178, v99, vcc
	v_add_f32_e32 v190, v23, v99
	v_cndmask_b32_e64 v24, v24, v99, s[18:19]
	v_cndmask_b32_e64 v99, v23, v190, s[18:19]
	v_sub_f32_e32 v23, v25, v52
	v_mul_f32_e32 v25, 0x3fb8aa3b, v23
	v_fma_f32 v190, v23, s33, -v25
	v_rndne_f32_e32 v193, v25
	v_fmac_f32_e32 v190, 0x32a5705f, v23
	v_sub_f32_e32 v25, v25, v193
	v_add_f32_e32 v25, v25, v190
	v_exp_f32_e32 v25, v25
	v_cvt_i32_f32_e32 v190, v193
	v_cmp_ngt_f32_e32 vcc, s65, v23
	v_ldexp_f32 v25, v25, v190
	s_nop 0
	v_cndmask_b32_e32 v25, 0, v25, vcc
	v_cmp_nlt_f32_e32 vcc, s53, v23
	v_mov_b32_e32 v23, s87
	s_nop 0
	v_cndmask_b32_e32 v25, v178, v25, vcc
	v_add_f32_e32 v193, v99, v25
	v_cndmask_b32_e64 v190, v23, v25, s[20:21]
	v_sub_f32_e32 v25, v192, v52
	v_cndmask_b32_e64 v23, v99, v193, s[20:21]
	v_mul_f32_e32 v99, 0x3fb8aa3b, v25
	v_fma_f32 v192, v25, s33, -v99
	v_rndne_f32_e32 v193, v99
	v_fmac_f32_e32 v192, 0x32a5705f, v25
	v_sub_f32_e32 v99, v99, v193
	v_add_f32_e32 v99, v99, v192
	v_exp_f32_e32 v99, v99
	v_cvt_i32_f32_e32 v192, v193
	v_cmp_ngt_f32_e32 vcc, s65, v25
	v_cvt_pk_f16_f32 v219, v24, v190
	v_ldexp_f32 v99, v99, v192
	v_cndmask_b32_e32 v99, 0, v99, vcc
	v_cmp_nlt_f32_e32 vcc, s53, v25
	v_lshl_add_u64 v[192:193], v[36:37], 0, v[78:79]
	v_cndmask_b32_e64 v192, v181, v192, s[6:7]
	v_cndmask_b32_e32 v99, v178, v99, vcc
	v_cmp_le_f32_e32 vcc, s64, v25
	v_lshl_add_u64 v[36:37], v[36:37], 0, s[82:83]
	s_nop 0
	v_cndmask_b32_e32 v25, 0, v99, vcc
	v_fmac_f32_e32 v23, v191, v25
	v_cvt_f16_f32_e32 v25, v25
	v_mul_u32_u24_e32 v25, 0x10001, v25
	v_pk_mul_f16 v188, v188, v25
	v_pk_mul_f16 v187, v187, v25
	;; [unrolled: 1-line block ×16, first 2 shown]
	v_mov_b32_e32 v101, s89
	v_cndmask_b32_e64 v197, v101, v195, s[8:9]
	v_lshl_add_u64 v[194:195], v[40:41], 0, v[78:79]
	v_cndmask_b32_e64 v193, v101, v193, s[6:7]
	v_cndmask_b32_e64 v199, v101, v195, s[10:11]
	;; [unrolled: 1-line block ×3, first 2 shown]
	v_lshl_add_u64 v[194:195], v[42:43], 0, v[78:79]
	v_cndmask_b32_e64 v201, v101, v195, s[12:13]
	v_cndmask_b32_e64 v200, v181, v194, s[12:13]
	flat_load_dwordx4 v[192:195], v[192:193]
	v_cvt_f32_f16_e32 v190, v188
	v_cvt_f32_f16_sdwa v191, v188 dst_sel:DWORD dst_unused:UNUSED_PAD src0_sel:WORD_1
	v_cvt_f32_f16_e32 v204, v107
	v_cvt_f32_f16_sdwa v205, v107 dst_sel:DWORD dst_unused:UNUSED_PAD src0_sel:WORD_1
	v_cvt_f32_f16_e32 v206, v106
	v_cvt_f32_f16_sdwa v207, v106 dst_sel:DWORD dst_unused:UNUSED_PAD src0_sel:WORD_1
	v_cvt_f32_f16_e32 v212, v99
	v_cvt_f32_f16_sdwa v213, v99 dst_sel:DWORD dst_unused:UNUSED_PAD src0_sel:WORD_1
	v_cvt_f32_f16_e32 v210, v103
	v_cvt_f32_f16_sdwa v211, v103 dst_sel:DWORD dst_unused:UNUSED_PAD src0_sel:WORD_1
	v_cvt_f32_f16_e32 v208, v105
	v_cvt_f32_f16_sdwa v209, v105 dst_sel:DWORD dst_unused:UNUSED_PAD src0_sel:WORD_1
	v_cvt_f32_f16_e32 v214, v53
	v_cvt_f32_f16_sdwa v215, v53 dst_sel:DWORD dst_unused:UNUSED_PAD src0_sel:WORD_1
	v_cvt_f32_f16_e32 v216, v25
	v_cvt_f32_f16_sdwa v217, v25 dst_sel:DWORD dst_unused:UNUSED_PAD src0_sel:WORD_1
	v_lshl_add_u64 v[40:41], v[40:41], 0, s[82:83]
	v_lshl_add_u64 v[42:43], v[42:43], 0, s[82:83]
	s_waitcnt vmcnt(0) lgkmcnt(0)
	ds_write_b128 v121, v[192:195]
	flat_load_dwordx4 v[192:195], v[196:197]
	v_cvt_f32_f16_e32 v196, v184
	v_cvt_f32_f16_sdwa v197, v184 dst_sel:DWORD dst_unused:UNUSED_PAD src0_sel:WORD_1
	s_waitcnt vmcnt(0) lgkmcnt(0)
	ds_write_b128 v167, v[192:195]
	flat_load_dwordx4 v[192:195], v[198:199]
	s_waitcnt vmcnt(0) lgkmcnt(0)
	ds_write_b128 v169, v[192:195]
	flat_load_dwordx4 v[192:195], v[200:201]
	v_cvt_f32_f16_e32 v200, v182
	v_cvt_f32_f16_sdwa v201, v182 dst_sel:DWORD dst_unused:UNUSED_PAD src0_sel:WORD_1
	s_waitcnt vmcnt(0) lgkmcnt(0)
	ds_write_b128 v171, v[192:195]
	s_waitcnt lgkmcnt(0)
	s_barrier
	ds_read_u16 v1, v125 offset:272
	ds_read_u16 v22, v125 offset:544
	ds_read_u16 v24, v126
	ds_read_u16 v101, v126 offset:32
	v_cvt_f32_f16_e32 v192, v187
	v_cvt_f32_f16_sdwa v193, v187 dst_sel:DWORD dst_unused:UNUSED_PAD src0_sel:WORD_1
	s_waitcnt lgkmcnt(1)
	v_perm_b32 v195, v24, v22, s22
	ds_read_u16 v22, v125
	ds_read_u16 v24, v125 offset:32
	s_waitcnt lgkmcnt(1)
	v_perm_b32 v194, v1, v22, s22
	ds_read_u16 v1, v125 offset:304
	ds_read_u16 v22, v125 offset:576
	v_mfma_f32_16x16x16_f16 v[190:193], v[194:195], v[218:219], v[190:193]
	s_waitcnt lgkmcnt(0)
	v_perm_b32 v199, v101, v22, s22
	v_perm_b32 v198, v1, v24, s22
	ds_read_u16 v1, v125 offset:64
	ds_read_u16 v22, v125 offset:336
	;; [unrolled: 1-line block ×4, first 2 shown]
	v_cvt_f32_f16_e32 v194, v185
	v_cvt_f32_f16_sdwa v195, v185 dst_sel:DWORD dst_unused:UNUSED_PAD src0_sel:WORD_1
	s_waitcnt lgkmcnt(2)
	v_perm_b32 v184, v22, v1, s22
	v_cvt_pk_f16_f32 v188, v190, v191
	s_waitcnt lgkmcnt(0)
	v_perm_b32 v185, v101, v24, s22
	ds_read_u16 v1, v125 offset:96
	ds_read_u16 v22, v125 offset:368
	;; [unrolled: 1-line block ×4, first 2 shown]
	v_mfma_f32_16x16x16_f16 v[194:197], v[198:199], v[218:219], v[194:197]
	v_cvt_f32_f16_e32 v198, v183
	v_cvt_f32_f16_sdwa v199, v183 dst_sel:DWORD dst_unused:UNUSED_PAD src0_sel:WORD_1
	s_waitcnt lgkmcnt(2)
	v_perm_b32 v202, v22, v1, s22
	s_waitcnt lgkmcnt(0)
	v_perm_b32 v203, v101, v24, s22
	ds_read_u16 v1, v125 offset:128
	ds_read_u16 v22, v125 offset:400
	ds_read_u16 v24, v125 offset:672
	ds_read_u16 v101, v126 offset:128
	v_mfma_f32_16x16x16_f16 v[182:185], v[184:185], v[218:219], v[198:201]
	v_cvt_pk_f16_f32 v187, v192, v193
	s_nop 1
	v_cvt_f32_f16_e32 v198, v111
	v_cvt_f32_f16_sdwa v199, v111 dst_sel:DWORD dst_unused:UNUSED_PAD src0_sel:WORD_1
	v_cvt_f32_f16_e32 v200, v110
	v_cvt_f32_f16_sdwa v201, v110 dst_sel:DWORD dst_unused:UNUSED_PAD src0_sel:WORD_1
	s_waitcnt lgkmcnt(0)
	v_perm_b32 v111, v101, v24, s22
	v_perm_b32 v110, v22, v1, s22
	ds_read_u16 v1, v125 offset:160
	ds_read_u16 v22, v125 offset:432
	;; [unrolled: 1-line block ×4, first 2 shown]
	v_mfma_f32_16x16x16_f16 v[198:201], v[202:203], v[218:219], v[198:201]
	v_cvt_f32_f16_e32 v202, v108
	v_cvt_f32_f16_sdwa v203, v108 dst_sel:DWORD dst_unused:UNUSED_PAD src0_sel:WORD_1
	v_cvt_pk_f16_f32 v183, v182, v183
	v_cvt_pk_f16_f32 v182, v184, v185
	v_mfma_f32_16x16x16_f16 v[202:205], v[110:111], v[218:219], v[202:205]
	s_waitcnt lgkmcnt(0)
	v_perm_b32 v111, v101, v24, s22
	v_perm_b32 v110, v22, v1, s22
	ds_read_u16 v1, v125 offset:192
	ds_read_u16 v22, v125 offset:464
	ds_read_u16 v24, v125 offset:736
	ds_read_u16 v101, v126 offset:192
	v_mfma_f32_16x16x16_f16 v[206:209], v[110:111], v[218:219], v[206:209]
	s_waitcnt lgkmcnt(0)
	v_perm_b32 v107, v101, v24, s22
	v_perm_b32 v106, v22, v1, s22
	ds_read_u16 v1, v125 offset:224
	ds_read_u16 v22, v125 offset:496
	;; [unrolled: 1-line block ×4, first 2 shown]
	v_mfma_f32_16x16x16_f16 v[210:213], v[106:107], v[218:219], v[210:213]
	s_waitcnt lgkmcnt(0)
	v_perm_b32 v103, v99, v24, s22
	v_perm_b32 v102, v22, v1, s22
	v_cvt_pk_f16_f32 v106, v206, v207
	v_cvt_pk_f16_f32 v105, v208, v209
	v_mfma_f32_16x16x16_f16 v[214:217], v[102:103], v[218:219], v[214:217]
	s_nop 1
	v_cvt_pk_f16_f32 v103, v210, v211
	v_cvt_pk_f16_f32 v102, v212, v213
	;; [unrolled: 1-line block ×3, first 2 shown]
	s_nop 2
	v_cvt_pk_f16_f32 v53, v214, v215
	v_cvt_pk_f16_f32 v101, v216, v217
	;; [unrolled: 1-line block ×7, first 2 shown]
	s_barrier
	s_cbranch_scc0 .LBB24_172
; %bb.170:                              ;   in Loop: Header=BB24_167 Depth=2
	v_mov_b32_e32 v191, v23
	v_mov_b32_e32 v192, v52
	v_cndmask_b32_e64 v1, 0, 1, s[26:27]
	v_cmp_ne_u32_e64 s[24:25], 1, v1
	s_andn2_b64 vcc, exec, s[26:27]
	s_cbranch_vccz .LBB24_164
	s_branch .LBB24_167
.LBB24_171:                             ;   in Loop: Header=BB24_14 Depth=1
	v_mov_b32_e32 v52, 0xfeffffff
	s_mov_b32 s86, 0
	v_mov_b32_e32 v23, 0
	v_mov_b32_e32 v187, 0
	;; [unrolled: 1-line block ×17, first 2 shown]
	s_branch .LBB24_173
.LBB24_172:                             ;   in Loop: Header=BB24_14 Depth=1
	s_lshl_b32 s86, s28, 6
.LBB24_173:                             ;   in Loop: Header=BB24_14 Depth=1
	v_readlane_b32 s4, v220, 4
	s_sub_i32 s34, s4, s86
	s_cmp_lg_u64 s[96:97], 0
	s_cselect_b64 s[74:75], -1, 0
	s_cmp_eq_u64 s[96:97], 0
	v_readlane_b32 s5, v220, 5
	s_cbranch_scc1 .LBB24_179
; %bb.174:                              ;   in Loop: Header=BB24_14 Depth=1
	v_cmp_le_i32_e32 vcc, s34, v54
	s_and_saveexec_b64 s[4:5], vcc
	s_xor_b64 s[4:5], exec, s[4:5]
	s_cbranch_execz .LBB24_176
; %bb.175:                              ;   in Loop: Header=BB24_14 Depth=1
	ds_write_b16 v144, v57 offset:17408
	ds_write_b16 v163, v57 offset:17408
                                        ; implicit-def: $vgpr100
                                        ; implicit-def: $vgpr104
                                        ; implicit-def: $vgpr109
                                        ; implicit-def: $vgpr186
.LBB24_176:                             ;   in Loop: Header=BB24_14 Depth=1
	s_or_saveexec_b64 s[4:5], s[4:5]
	v_mov_b32_e32 v1, 0
	v_mov_b32_e32 v22, 0
	s_xor_b64 exec, exec, s[4:5]
	s_cbranch_execz .LBB24_178
; %bb.177:                              ;   in Loop: Header=BB24_14 Depth=1
	s_lshl_b64 s[24:25], s[86:87], 1
	v_mul_hi_u32 v1, s68, v100
	s_add_u32 s24, s96, s24
	v_add_u32_e32 v1, v100, v1
	s_addc_u32 s25, s97, s25
	v_lshlrev_b32_e32 v56, 1, v54
	v_lshrrev_b32_e32 v1, s69, v1
	v_mul_hi_u32 v22, s68, v104
	v_lshl_add_u64 v[24:25], s[24:25], 0, v[56:57]
	v_mul_lo_u32 v1, v1, s52
	v_readlane_b32 s24, v220, 50
	v_add_u32_e32 v22, v104, v22
	v_sub_u32_e32 v1, v100, v1
	v_readlane_b32 s25, v220, 51
	s_mov_b32 s26, s24
	v_lshrrev_b32_e32 v22, s69, v22
	v_mad_i64_i32 v[26:27], s[24:25], v1, s26, 0
	v_mul_lo_u32 v22, v22, s52
	v_lshl_add_u64 v[26:27], v[26:27], 1, v[24:25]
	v_sub_u32_e32 v22, v104, v22
	global_load_ushort v1, v[26:27], off
	v_mad_i64_i32 v[26:27], s[24:25], v22, s26, 0
	v_lshl_add_u64 v[26:27], v[26:27], 1, v[24:25]
	global_load_ushort v22, v[26:27], off
	s_waitcnt vmcnt(1)
	ds_write_b16 v144, v1 offset:17408
	s_waitcnt vmcnt(0)
	ds_write_b16 v163, v22 offset:17408
	v_mul_hi_u32 v1, s68, v109
	v_add_u32_e32 v1, v109, v1
	v_lshrrev_b32_e32 v1, s69, v1
	v_mul_hi_u32 v22, s68, v186
	v_mul_lo_u32 v1, v1, s52
	v_add_u32_e32 v22, v186, v22
	v_sub_u32_e32 v1, v109, v1
	v_lshrrev_b32_e32 v22, s69, v22
	v_mad_i64_i32 v[26:27], s[24:25], v1, s26, 0
	v_mul_lo_u32 v22, v22, s52
	v_lshl_add_u64 v[26:27], v[26:27], 1, v[24:25]
	v_sub_u32_e32 v22, v186, v22
	global_load_ushort v1, v[26:27], off
	v_mad_i64_i32 v[26:27], s[24:25], v22, s26, 0
	v_lshl_add_u64 v[24:25], v[26:27], 1, v[24:25]
	global_load_ushort v22, v[24:25], off
.LBB24_178:                             ;   in Loop: Header=BB24_14 Depth=1
	s_or_b64 exec, exec, s[4:5]
	s_waitcnt vmcnt(1)
	ds_write_b16 v164, v1 offset:17408
	s_waitcnt vmcnt(0)
	ds_write_b16 v165, v22 offset:17408
.LBB24_179:                             ;   in Loop: Header=BB24_14 Depth=1
	s_mul_i32 s4, s86, s67
	s_mul_hi_u32 s5, s86, s66
	s_add_i32 s5, s5, s4
	s_mul_i32 s4, s86, s66
	s_lshl_b64 s[4:5], s[4:5], 2
	s_add_u32 s4, s72, s4
	s_addc_u32 s5, s73, s5
	v_lshl_add_u64 v[24:25], v[62:63], 2, s[4:5]
	v_lshlrev_b32_e32 v56, 2, v58
	v_lshl_add_u64 v[24:25], v[24:25], 0, v[56:57]
	v_mov_b32_e32 v1, s89
	v_cmp_gt_i32_e64 s[28:29], s34, v120
	scratch_store_dwordx4 off, v[2:5], off
	v_lshl_add_u64 v[28:29], v[64:65], 2, s[4:5]
	v_cndmask_b32_e64 v25, v1, v25, s[28:29]
	v_cndmask_b32_e64 v24, v181, v24, s[28:29]
	flat_load_dwordx4 v[24:27], v[24:25]
	v_lshl_add_u64 v[28:29], v[28:29], 0, v[56:57]
	v_cmp_gt_i32_e64 s[30:31], s34, v166
	v_cmp_gt_i32_e64 s[26:27], s34, v168
	;; [unrolled: 1-line block ×3, first 2 shown]
	v_cndmask_b32_e64 v29, v1, v29, s[30:31]
	v_cndmask_b32_e64 v28, v181, v28, s[30:31]
	s_andn2_b64 vcc, exec, s[74:75]
	s_waitcnt vmcnt(0) lgkmcnt(0)
	ds_write_b128 v121, v[24:27]
	flat_load_dwordx4 v[24:27], v[28:29]
	v_lshl_add_u64 v[28:29], v[66:67], 2, s[4:5]
	v_lshl_add_u64 v[28:29], v[28:29], 0, v[56:57]
	v_cndmask_b32_e64 v29, v1, v29, s[26:27]
	v_cndmask_b32_e64 v28, v181, v28, s[26:27]
	s_waitcnt vmcnt(0) lgkmcnt(0)
	ds_write_b128 v167, v[24:27]
	flat_load_dwordx4 v[24:27], v[28:29]
	v_lshl_add_u64 v[28:29], v[68:69], 2, s[4:5]
	v_lshl_add_u64 v[28:29], v[28:29], 0, v[56:57]
	v_cndmask_b32_e64 v29, v1, v29, s[24:25]
	v_cndmask_b32_e64 v28, v181, v28, s[24:25]
	s_waitcnt vmcnt(0) lgkmcnt(0)
	ds_write_b128 v169, v[24:27]
	flat_load_dwordx4 v[24:27], v[28:29]
	s_waitcnt vmcnt(0) lgkmcnt(0)
	ds_write_b128 v171, v[24:27]
	s_waitcnt lgkmcnt(0)
	s_barrier
	ds_read2_b64 v[24:27], v122 offset1:4
	s_waitcnt lgkmcnt(0)
	v_mfma_f32_16x16x16_f16 v[28:31], v[24:25], v[18:19], 0
	v_mfma_f32_16x16x16_f16 v[18:21], v[26:27], v[20:21], v[28:31]
	ds_read2_b64 v[24:27], v122 offset0:8 offset1:12
	s_waitcnt lgkmcnt(0)
	v_mfma_f32_16x16x16_f16 v[18:21], v[24:25], v[14:15], v[18:21]
	v_mfma_f32_16x16x16_f16 v[14:17], v[26:27], v[16:17], v[18:21]
	s_nop 6
	ds_read2_b64 v[18:21], v122 offset0:16 offset1:20
	s_waitcnt lgkmcnt(0)
	v_mfma_f32_16x16x16_f16 v[14:17], v[18:19], v[10:11], v[14:17]
	v_mfma_f32_16x16x16_f16 v[10:13], v[20:21], v[12:13], v[14:17]
	s_nop 6
	ds_read2_b64 v[14:17], v122 offset0:24 offset1:28
	s_waitcnt lgkmcnt(0)
	v_mfma_f32_16x16x16_f16 v[10:13], v[14:15], v[6:7], v[10:13]
	s_barrier
	v_mfma_f32_16x16x16_f16 v[6:9], v[16:17], v[8:9], v[10:13]
	s_cbranch_vccnz .LBB24_181
; %bb.180:                              ;   in Loop: Header=BB24_14 Depth=1
	v_add_u32_e32 v1, 0x4400, v124
	s_nop 3
	ds_read2_b32 v[10:11], v1 offset1:1
	s_waitcnt lgkmcnt(0)
	v_cvt_f32_f16_e32 v12, v10
	v_cvt_f32_f16_e32 v14, v11
	v_cvt_f32_f16_sdwa v15, v11 dst_sel:DWORD dst_unused:UNUSED_PAD src0_sel:WORD_1
	v_cvt_f32_f16_sdwa v13, v10 dst_sel:DWORD dst_unused:UNUSED_PAD src0_sel:WORD_1
	v_pk_fma_f32 v[8:9], v[98:99], v[14:15], v[8:9] op_sel_hi:[0,1,1]
	v_pk_fma_f32 v[6:7], v[98:99], v[12:13], v[6:7] op_sel_hi:[0,1,1]
.LBB24_181:                             ;   in Loop: Header=BB24_14 Depth=1
	s_mul_i32 s4, s86, s55
	s_mul_hi_u32 s5, s86, s54
	s_add_i32 s5, s5, s4
	s_mul_i32 s4, s86, s54
	s_lshl_b64 s[4:5], s[4:5], 2
	s_add_u32 s4, s71, s4
	s_addc_u32 s5, s23, s5
	v_lshl_add_u64 v[10:11], v[70:71], 2, s[4:5]
	v_lshl_add_u64 v[10:11], v[10:11], 0, v[56:57]
	v_mov_b32_e32 v18, s89
	v_cndmask_b32_e64 v11, v18, v11, s[28:29]
	v_cndmask_b32_e64 v10, v181, v10, s[28:29]
	scratch_store_dwordx4 off, v[2:5], off
	flat_load_dwordx4 v[10:13], v[10:11]
	v_lshl_add_u64 v[14:15], v[72:73], 2, s[4:5]
	v_lshl_add_u64 v[14:15], v[14:15], 0, v[56:57]
	v_cndmask_b32_e64 v15, v18, v15, s[30:31]
	v_cndmask_b32_e64 v14, v181, v14, s[30:31]
	v_add_f32_e32 v16, 0x40051340, v6
	v_max_f32_e32 v17, v52, v52
	v_and_b32_e32 v22, 64, v180
	v_xor_b32_e32 v24, 32, v180
	v_max_f32_e32 v16, v17, v16
	v_add_u32_e32 v17, 64, v22
	v_xor_b32_e32 v25, 16, v180
	v_cmp_gt_u32_e64 s[30:31], s34, v123
	v_cmp_lt_i32_e32 vcc, v24, v17
	v_add_f32_e32 v19, 0x40051340, v7
	v_cndmask_b32_e64 v22, v52, v16, s[30:31]
	v_cndmask_b32_e32 v24, v180, v24, vcc
	v_cmp_lt_i32_e32 vcc, v25, v17
	v_lshl_add_u64 v[16:17], v[74:75], 2, s[4:5]
	v_lshl_add_u64 v[16:17], v[16:17], 0, v[56:57]
	v_cndmask_b32_e64 v17, v18, v17, s[26:27]
	v_cndmask_b32_e64 v16, v181, v16, s[26:27]
	v_max_f32_e32 v26, v22, v22
	v_cndmask_b32_e32 v25, v180, v25, vcc
	v_cmp_gt_u32_e32 vcc, s34, v172
	v_add_f32_e32 v20, 0x40051340, v8
	v_cmp_gt_u32_e64 s[26:27], s34, v173
	v_add_f32_e32 v21, 0x40051340, v9
	v_cmp_gt_u32_e64 s[28:29], s34, v174
	v_lshlrev_b32_e32 v41, 2, v24
	v_lshlrev_b32_e32 v40, 2, v25
	s_cmp_lg_u64 s[94:95], 0
	v_mov_b32_e32 v1, s87
	s_waitcnt vmcnt(0) lgkmcnt(0)
	ds_write_b128 v121, v[10:13]
	flat_load_dwordx4 v[12:15], v[14:15]
	v_mov_b32_e32 v10, s87
	v_mov_b32_e32 v11, s87
	s_waitcnt vmcnt(0) lgkmcnt(0)
	ds_write_b128 v167, v[12:15]
	flat_load_dwordx4 v[12:15], v[16:17]
	v_max_f32_e32 v16, v26, v19
	v_cndmask_b32_e32 v16, v22, v16, vcc
	v_max_f32_e32 v17, v16, v16
	v_max_f32_e32 v17, v17, v20
	v_cndmask_b32_e64 v16, v16, v17, s[26:27]
	v_max_f32_e32 v17, v16, v16
	v_max_f32_e32 v17, v17, v21
	v_cndmask_b32_e64 v19, v16, v17, s[28:29]
	ds_bpermute_b32 v20, v41, v19
	v_max_f32_e32 v19, v19, v19
	v_lshl_add_u64 v[16:17], v[76:77], 2, s[4:5]
	v_lshl_add_u64 v[16:17], v[16:17], 0, v[56:57]
	v_cndmask_b32_e64 v17, v18, v17, s[24:25]
	s_waitcnt lgkmcnt(0)
	v_max_f32_e32 v20, v20, v20
	v_max_f32_e32 v19, v19, v20
	ds_bpermute_b32 v20, v40, v19
	v_cndmask_b32_e64 v16, v181, v16, s[24:25]
	v_readlane_b32 s24, v220, 32
	s_cselect_b64 s[4:5], -1, 0
	v_readlane_b32 s25, v220, 33
	s_waitcnt lgkmcnt(0)
	v_max_f32_e32 v18, v20, v20
	v_max_f32_e32 v38, v19, v18
	v_sub_f32_e32 v18, v6, v38
	v_sub_f32_e32 v19, v7, v38
	;; [unrolled: 1-line block ×4, first 2 shown]
	v_mul_f32_e32 v6, 0x3fb8aa3b, v18
	v_mul_f32_e32 v7, 0x3fb8aa3b, v19
	;; [unrolled: 1-line block ×4, first 2 shown]
	v_fma_f32 v25, v18, s33, -v6
	v_rndne_f32_e32 v26, v6
	v_fma_f32 v27, v19, s33, -v7
	v_rndne_f32_e32 v28, v7
	;; [unrolled: 2-line block ×4, first 2 shown]
	v_fmac_f32_e32 v25, 0x32a5705f, v18
	v_sub_f32_e32 v6, v6, v26
	v_fmac_f32_e32 v27, 0x32a5705f, v19
	v_sub_f32_e32 v7, v7, v28
	;; [unrolled: 2-line block ×4, first 2 shown]
	v_add_f32_e32 v6, v6, v25
	v_cvt_i32_f32_e32 v26, v26
	v_add_f32_e32 v7, v7, v27
	v_add_f32_e32 v8, v8, v29
	;; [unrolled: 1-line block ×3, first 2 shown]
	v_exp_f32_e32 v6, v6
	v_cvt_i32_f32_e32 v28, v28
	v_cvt_i32_f32_e32 v30, v30
	;; [unrolled: 1-line block ×3, first 2 shown]
	v_exp_f32_e32 v7, v7
	v_exp_f32_e32 v8, v8
	v_exp_f32_e32 v9, v9
	s_and_b64 s[74:75], s[24:25], s[4:5]
	v_ldexp_f32 v6, v6, v26
	v_cmp_ngt_f32_e64 s[24:25], s65, v18
	v_ldexp_f32 v25, v7, v28
	v_ldexp_f32 v26, v8, v30
	;; [unrolled: 1-line block ×3, first 2 shown]
	v_cndmask_b32_e64 v28, 0, v6, s[24:25]
	v_sub_f32_e32 v22, v52, v38
	v_mul_f32_e32 v24, 0x3fb8aa3b, v22
	v_fma_f32 v33, v22, s33, -v24
	v_rndne_f32_e32 v34, v24
	v_fmac_f32_e32 v33, 0x32a5705f, v22
	v_sub_f32_e32 v24, v24, v34
	v_add_f32_e32 v24, v24, v33
	v_cvt_i32_f32_e32 v34, v34
	v_exp_f32_e32 v24, v24
	v_cmp_ngt_f32_e64 s[24:25], s65, v19
	v_ldexp_f32 v24, v24, v34
	s_waitcnt vmcnt(0)
	ds_write_b128 v169, v[12:15]
	flat_load_dwordx4 v[6:9], v[16:17]
	v_cndmask_b32_e64 v12, 0, v25, s[24:25]
	v_cmp_ngt_f32_e64 s[24:25], s65, v20
	s_waitcnt vmcnt(0) lgkmcnt(0)
	ds_write_b128 v171, v[6:9]
	v_cndmask_b32_e64 v13, 0, v26, s[24:25]
	v_cmp_ngt_f32_e64 s[24:25], s65, v21
	s_waitcnt lgkmcnt(0)
	s_barrier
	v_cndmask_b32_e64 v14, 0, v27, s[24:25]
	v_cmp_ngt_f32_e64 s[24:25], s65, v22
	s_nop 1
	v_cndmask_b32_e64 v15, 0, v24, s[24:25]
	v_cmp_nlt_f32_e64 s[24:25], s53, v18
	s_nop 1
	v_cndmask_b32_e64 v16, v178, v28, s[24:25]
	v_cmp_nlt_f32_e64 s[24:25], s53, v19
	s_nop 1
	v_cndmask_b32_e64 v17, v178, v12, s[24:25]
	v_cmp_nlt_f32_e64 s[24:25], s53, v20
	v_cndmask_b32_e64 v12, 0, v16, s[30:31]
	v_cndmask_b32_e32 v1, v1, v17, vcc
	v_cndmask_b32_e64 v13, v178, v13, s[24:25]
	v_cmp_nlt_f32_e64 s[24:25], s53, v21
	v_add_f32_e32 v16, v17, v12
	v_cndmask_b32_e64 v10, v10, v13, s[26:27]
	v_cndmask_b32_e64 v14, v178, v14, s[24:25]
	v_cmp_nlt_f32_e64 s[24:25], s53, v22
	v_cndmask_b32_e64 v11, v11, v14, s[28:29]
	v_cvt_pk_f16_f32 v46, v12, v1
	v_cndmask_b32_e64 v15, v178, v15, s[24:25]
	v_cmp_le_f32_e64 s[24:25], s64, v22
	v_cndmask_b32_e32 v1, v12, v16, vcc
	v_cvt_pk_f16_f32 v47, v10, v11
	v_cndmask_b32_e64 v15, 0, v15, s[24:25]
	v_cvt_f16_f32_e32 v17, v15
	v_add_f32_e32 v10, v1, v13
	v_cndmask_b32_e64 v1, v1, v10, s[26:27]
	v_add_f32_e32 v10, v1, v14
	v_mul_u32_u24_e32 v11, 0x10001, v17
	v_pk_mul_f16 v16, v185, v11
	v_pk_mul_f16 v17, v184, v11
	;; [unrolled: 1-line block ×14, first 2 shown]
	ds_read_u16 v6, v125
	ds_read_u16 v8, v125 offset:32
	ds_read_u16 v48, v125 offset:64
	;; [unrolled: 1-line block ×23, first 2 shown]
	ds_read_u16 v42, v126
	ds_read_u16 v110, v126 offset:32
	ds_read_u16 v111, v126 offset:64
	;; [unrolled: 1-line block ×7, first 2 shown]
	v_cndmask_b32_e64 v1, v1, v10, s[28:29]
	v_pk_mul_f16 v12, v188, v11
	v_pk_mul_f16 v13, v187, v11
	s_waitcnt lgkmcnt(7)
	v_perm_b32 v7, v42, v7, s22
	v_perm_b32 v6, v9, v6, s22
	s_waitcnt lgkmcnt(6)
	v_perm_b32 v45, v110, v45, s22
	v_perm_b32 v44, v44, v8, s22
	;; [unrolled: 3-line block ×4, first 2 shown]
	v_fmac_f32_e32 v1, v23, v15
	v_cvt_f32_f16_e32 v10, v12
	v_cvt_f32_f16_sdwa v11, v12 dst_sel:DWORD dst_unused:UNUSED_PAD src0_sel:WORD_1
	v_cvt_f32_f16_e32 v12, v13
	v_cvt_f32_f16_sdwa v13, v13 dst_sel:DWORD dst_unused:UNUSED_PAD src0_sel:WORD_1
	;; [unrolled: 2-line block ×8, first 2 shown]
	v_mfma_f32_16x16x16_f16 v[6:9], v[6:7], v[46:47], v[10:13]
	v_cvt_f32_f16_e32 v26, v27
	v_cvt_f32_f16_sdwa v27, v27 dst_sel:DWORD dst_unused:UNUSED_PAD src0_sel:WORD_1
	v_cvt_f32_f16_e32 v28, v29
	v_mfma_f32_16x16x16_f16 v[10:13], v[44:45], v[46:47], v[14:17]
	v_cvt_f32_f16_sdwa v29, v29 dst_sel:DWORD dst_unused:UNUSED_PAD src0_sel:WORD_1
	v_cvt_f32_f16_e32 v30, v31
	v_cvt_f32_f16_sdwa v31, v31 dst_sel:DWORD dst_unused:UNUSED_PAD src0_sel:WORD_1
	v_mfma_f32_16x16x16_f16 v[14:17], v[48:49], v[46:47], v[18:21]
	s_waitcnt lgkmcnt(3)
	v_perm_b32 v49, v183, v106, s22
	v_perm_b32 v48, v101, v53, s22
	v_cvt_f32_f16_e32 v32, v33
	v_mfma_f32_16x16x16_f16 v[18:21], v[50:51], v[46:47], v[22:25]
	s_waitcnt lgkmcnt(2)
	v_perm_b32 v51, v184, v107, s22
	v_perm_b32 v50, v102, v56, s22
	v_cvt_f32_f16_sdwa v33, v33 dst_sel:DWORD dst_unused:UNUSED_PAD src0_sel:WORD_1
	v_cvt_f32_f16_e32 v42, v39
	v_cvt_f32_f16_sdwa v43, v39 dst_sel:DWORD dst_unused:UNUSED_PAD src0_sel:WORD_1
	ds_bpermute_b32 v39, v41, v1
	v_mfma_f32_16x16x16_f16 v[22:25], v[48:49], v[46:47], v[26:29]
	s_waitcnt lgkmcnt(2)
	v_perm_b32 v49, v185, v108, s22
	v_perm_b32 v48, v103, v98, s22
	v_cvt_f32_f16_e32 v34, v35
	v_mfma_f32_16x16x16_f16 v[26:29], v[50:51], v[46:47], v[30:33]
	s_waitcnt lgkmcnt(1)
	v_perm_b32 v51, v186, v109, s22
	v_perm_b32 v50, v104, v99, s22
	v_cvt_f32_f16_sdwa v35, v35 dst_sel:DWORD dst_unused:UNUSED_PAD src0_sel:WORD_1
	v_cvt_f32_f16_e32 v36, v37
	v_cvt_f32_f16_sdwa v37, v37 dst_sel:DWORD dst_unused:UNUSED_PAD src0_sel:WORD_1
	v_cvt_f32_f16_e32 v44, v52
	v_cvt_f32_f16_sdwa v45, v52 dst_sel:DWORD dst_unused:UNUSED_PAD src0_sel:WORD_1
	s_waitcnt lgkmcnt(0)
	v_add_f32_e32 v1, v1, v39
	ds_bpermute_b32 v39, v40, v1
	v_mfma_f32_16x16x16_f16 v[30:33], v[48:49], v[46:47], v[34:37]
	v_cvt_f16_f32_e32 v48, v18
	v_cvt_f16_f32_e32 v49, v19
	;; [unrolled: 1-line block ×3, first 2 shown]
	v_mfma_f32_16x16x16_f16 v[34:37], v[50:51], v[46:47], v[42:45]
	s_waitcnt lgkmcnt(0)
	v_add_f32_e32 v39, v1, v39
	v_cvt_f16_f32_e32 v1, v8
	v_cvt_f16_f32_e32 v8, v9
	;; [unrolled: 1-line block ×29, first 2 shown]
	v_perm_b32 v20, v8, v1, s22
	v_perm_b32 v17, v12, v9, s22
	;; [unrolled: 1-line block ×16, first 2 shown]
	s_barrier
	s_and_saveexec_b64 s[24:25], s[74:75]
	s_cbranch_execz .LBB24_183
; %bb.182:                              ;   in Loop: Header=BB24_14 Depth=1
	v_cvt_pk_f16_f32 v10, v10, v11
	v_cvt_pk_f16_f32 v11, v14, v15
	;; [unrolled: 1-line block ×3, first 2 shown]
	global_load_dword v22, v57, s[94:95]
	v_cvt_pk_f16_f32 v7, v6, v7
	v_max_f32_e32 v23, v38, v38
	v_cvt_pk_f16_f32 v14, v18, v19
	v_cvt_pk_f16_f32 v18, v26, v27
	;; [unrolled: 1-line block ×4, first 2 shown]
	s_waitcnt vmcnt(0)
	v_max_f32_e32 v6, v22, v22
	v_max_f32_e32 v6, v23, v6
	v_sub_f32_e32 v23, v38, v6
	v_mul_f32_e32 v24, 0x3fb8aa3b, v23
	v_fma_f32 v25, v23, s33, -v24
	v_rndne_f32_e32 v26, v24
	v_fmac_f32_e32 v25, 0x32a5705f, v23
	v_sub_f32_e32 v24, v24, v26
	v_add_f32_e32 v24, v24, v25
	v_exp_f32_e32 v24, v24
	v_cvt_i32_f32_e32 v25, v26
	v_cmp_ngt_f32_e32 vcc, s65, v23
	v_sub_f32_e32 v22, v22, v6
	v_ldexp_f32 v24, v24, v25
	v_cndmask_b32_e32 v24, 0, v24, vcc
	v_cmp_nlt_f32_e32 vcc, s53, v23
	s_nop 1
	v_cndmask_b32_e32 v24, v178, v24, vcc
	v_cmp_le_f32_e32 vcc, s64, v23
	s_nop 1
	v_cndmask_b32_e32 v23, 0, v24, vcc
	v_cvt_f16_f32_e32 v24, v23
	v_cmp_ngt_f32_e32 vcc, s65, v22
	v_mul_u32_u24_e32 v26, 0x10001, v24
	v_pk_mul_f16 v36, v7, v26
	v_mul_f32_e32 v7, 0x3fb8aa3b, v22
	v_pk_mul_f16 v33, v10, v26
	v_pk_mul_f16 v32, v11, v26
	v_fma_f32 v10, v22, s33, -v7
	v_rndne_f32_e32 v11, v7
	v_fmac_f32_e32 v10, 0x32a5705f, v22
	v_sub_f32_e32 v7, v7, v11
	v_add_f32_e32 v7, v7, v10
	v_exp_f32_e32 v7, v7
	v_cvt_i32_f32_e32 v10, v11
	v_pk_mul_f16 v20, v20, v26
	v_pk_mul_f16 v17, v17, v26
	;; [unrolled: 1-line block ×3, first 2 shown]
	v_ldexp_f32 v7, v7, v10
	v_cndmask_b32_e32 v7, 0, v7, vcc
	v_cmp_nlt_f32_e32 vcc, s53, v22
	v_pk_mul_f16 v29, v14, v26
	v_pk_mul_f16 v13, v13, v26
	v_cndmask_b32_e32 v7, v178, v7, vcc
	v_fmac_f32_e32 v7, v39, v23
	v_pk_mul_f16 v28, v15, v26
	v_pk_mul_f16 v12, v12, v26
	;; [unrolled: 1-line block ×8, first 2 shown]
	v_mov_b64_e32 v[38:39], v[6:7]
.LBB24_183:                             ;   in Loop: Header=BB24_14 Depth=1
	s_or_b64 exec, exec, s[24:25]
	s_mov_b64 s[4:5], exec
	v_readlane_b32 s24, v220, 48
	v_readlane_b32 s25, v220, 49
	s_and_b64 s[24:25], s[4:5], s[24:25]
	s_mov_b64 exec, s[24:25]
; %bb.184:                              ;   in Loop: Header=BB24_14 Depth=1
	v_add_u32_e32 v6, 0, v145
	ds_write2_b32 v6, v38, v39 offset0:64 offset1:65
; %bb.185:                              ;   in Loop: Header=BB24_14 Depth=1
	s_or_b64 exec, exec, s[4:5]
	s_waitcnt lgkmcnt(0)
	s_barrier
	s_mov_b64 s[4:5], exec
	v_readlane_b32 s24, v220, 34
	v_readlane_b32 s25, v220, 35
	s_and_b64 s[24:25], s[4:5], s[24:25]
	s_xor_b64 s[4:5], s[24:25], s[4:5]
	s_mov_b64 exec, s[24:25]
	s_cbranch_execz .LBB24_187
; %bb.186:                              ;   in Loop: Header=BB24_14 Depth=1
	s_barrier
                                        ; implicit-def: $vgpr41
                                        ; implicit-def: $vgpr40
.LBB24_187:                             ;   in Loop: Header=BB24_14 Depth=1
	s_andn2_saveexec_b64 s[4:5], s[4:5]
	s_cbranch_execz .LBB24_189
; %bb.188:                              ;   in Loop: Header=BB24_14 Depth=1
	v_add_u32_e32 v10, 0, v145
	ds_read_b64 v[6:7], v10 offset:256
	s_waitcnt lgkmcnt(0)
	s_barrier
	ds_bpermute_b32 v11, v41, v6
	v_max_f32_e32 v14, v6, v6
	s_waitcnt lgkmcnt(0)
	v_max_f32_e32 v11, v11, v11
	v_max_f32_e32 v11, v14, v11
	ds_bpermute_b32 v14, v40, v11
	s_waitcnt lgkmcnt(0)
	v_max_f32_e32 v14, v14, v14
	v_max_f32_e32 v11, v11, v14
	v_sub_f32_e32 v6, v6, v11
	v_mul_f32_e32 v11, 0x3fb8aa3b, v6
	v_fma_f32 v14, v6, s33, -v11
	v_rndne_f32_e32 v15, v11
	v_fmac_f32_e32 v14, 0x32a5705f, v6
	v_sub_f32_e32 v11, v11, v15
	v_add_f32_e32 v11, v11, v14
	v_cvt_i32_f32_e32 v15, v15
	v_exp_f32_e32 v11, v11
	v_cmp_ngt_f32_e32 vcc, s65, v6
	v_ldexp_f32 v11, v11, v15
	s_nop 0
	v_cndmask_b32_e32 v11, 0, v11, vcc
	v_cmp_nlt_f32_e32 vcc, s53, v6
	s_nop 1
	v_cndmask_b32_e32 v6, v178, v11, vcc
	v_mul_f32_e32 v11, v7, v6
	ds_bpermute_b32 v11, v41, v11
	s_waitcnt lgkmcnt(0)
	v_fmac_f32_e32 v11, v7, v6
	ds_bpermute_b32 v7, v40, v11
	s_waitcnt lgkmcnt(0)
	v_add_f32_e32 v7, v11, v7
	ds_write_b64 v10, v[6:7] offset:256
.LBB24_189:                             ;   in Loop: Header=BB24_14 Depth=1
	s_or_b64 exec, exec, s[4:5]
	ds_write2_b32 v127, v36, v20 offset1:1
	ds_write2_b32 v127, v33, v17 offset0:8 offset1:9
	ds_write2_b32 v127, v32, v16 offset0:16 offset1:17
	;; [unrolled: 1-line block ×7, first 2 shown]
	s_waitcnt lgkmcnt(0)
	s_barrier
	s_mov_b64 s[24:25], exec
	v_readlane_b32 s4, v220, 32
	v_readlane_b32 s5, v220, 33
	s_and_b64 s[4:5], s[24:25], s[4:5]
	s_mov_b64 exec, s[4:5]
	s_cbranch_execz .LBB24_12
; %bb.190:                              ;   in Loop: Header=BB24_14 Depth=1
	v_add_u32_e32 v1, s84, v128
	v_cmp_gt_i32_e32 vcc, s52, v1
	v_mov_b32_e32 v6, 0x47
	s_and_saveexec_b64 s[4:5], vcc
	s_cbranch_execz .LBB24_192
; %bb.191:                              ;   in Loop: Header=BB24_14 Depth=1
	v_add_u32_e32 v14, 0, v146
	v_add_u32_e32 v12, v118, v146
	ds_read2_b32 v[6:7], v14 offset0:64 offset1:65
	ds_read2st64_b32 v[8:9], v12 offset1:17
	ds_read2st64_b32 v[10:11], v14 offset0:18 offset1:35
	ds_read2st64_b32 v[12:13], v12 offset0:34 offset1:51
	ds_read_b32 v14, v14 offset:13312
	v_readlane_b32 s23, v220, 39
	s_waitcnt lgkmcnt(3)
	v_cvt_f32_f16_e32 v18, v8
	v_cvt_f32_f16_sdwa v19, v8 dst_sel:DWORD dst_unused:UNUSED_PAD src0_sel:WORD_1
	v_cvt_f32_f16_e32 v8, v9
	v_cvt_f32_f16_sdwa v9, v9 dst_sel:DWORD dst_unused:UNUSED_PAD src0_sel:WORD_1
	v_mad_u64_u32 v[16:17], s[26:27], s23, v1, v[54:55]
	v_pk_fma_f32 v[18:19], v[6:7], v[18:19], 0 op_sel_hi:[0,1,0]
	s_waitcnt lgkmcnt(2)
	v_pk_fma_f32 v[8:9], v[10:11], v[8:9], v[18:19] op_sel_hi:[0,1,1]
	s_waitcnt lgkmcnt(1)
	v_cvt_f32_f16_e32 v18, v12
	v_cvt_f32_f16_sdwa v19, v12 dst_sel:DWORD dst_unused:UNUSED_PAD src0_sel:WORD_1
	v_mov_b32_e32 v6, v11
	v_cvt_f32_f16_e32 v10, v13
	v_cvt_f32_f16_sdwa v11, v13 dst_sel:DWORD dst_unused:UNUSED_PAD src0_sel:WORD_1
	v_readlane_b32 s26, v220, 55
	v_pk_fma_f32 v[8:9], v[6:7], v[18:19], v[8:9] op_sel_hi:[0,1,1]
	v_ashrrev_i32_e32 v17, 31, v16
	v_readlane_b32 s27, v220, 56
	s_waitcnt lgkmcnt(0)
	v_pk_fma_f32 v[8:9], v[14:15], v[10:11], v[8:9] op_sel_hi:[0,1,1]
	v_lshl_add_u64 v[16:17], v[16:17], 3, s[26:27]
	v_div_scale_f32 v1, s[26:27], v7, v7, v9
	v_rcp_f32_e32 v6, v1
	s_nop 0
	v_fma_f32 v10, -v1, v6, 1.0
	v_fmac_f32_e32 v6, v10, v6
	v_div_scale_f32 v10, vcc, v9, v7, v9
	v_mul_f32_e32 v11, v10, v6
	v_fma_f32 v12, -v1, v11, v10
	v_fmac_f32_e32 v11, v12, v6
	v_fma_f32 v1, -v1, v11, v10
	v_div_fmas_f32 v1, v1, v6, v11
	v_div_fixup_f32 v9, v1, v7, v9
	v_div_scale_f32 v1, s[26:27], v7, v7, v8
	v_rcp_f32_e32 v6, v1
	s_nop 0
	v_fma_f32 v10, -v1, v6, 1.0
	v_fmac_f32_e32 v6, v10, v6
	v_div_scale_f32 v10, vcc, v8, v7, v8
	v_mul_f32_e32 v11, v10, v6
	v_fma_f32 v12, -v1, v11, v10
	v_fmac_f32_e32 v11, v12, v6
	v_fma_f32 v1, -v1, v11, v10
	v_div_fmas_f32 v1, v1, v6, v11
	v_div_fixup_f32 v8, v1, v7, v8
	v_mov_b32_e32 v6, 0
	global_store_dwordx2 v[16:17], v[8:9], off
.LBB24_192:                             ;   in Loop: Header=BB24_14 Depth=1
	s_or_b64 exec, exec, s[4:5]
	s_movk_i32 s4, 0x47
	v_cmp_gt_i32_e32 vcc, s4, v6
	s_mov_b64 s[4:5], -1
	s_and_saveexec_b64 s[26:27], vcc
; %bb.193:                              ;   in Loop: Header=BB24_14 Depth=1
	v_cmp_eq_u32_e32 vcc, 0, v6
	s_orn2_b64 s[4:5], vcc, exec
; %bb.194:                              ;   in Loop: Header=BB24_14 Depth=1
	s_or_b64 exec, exec, s[26:27]
	s_and_b64 exec, exec, s[4:5]
	s_cbranch_execz .LBB24_12
; %bb.195:                              ;   in Loop: Header=BB24_14 Depth=1
	v_add_u32_e32 v1, s84, v129
	v_cmp_gt_i32_e32 vcc, s52, v1
	v_mov_b32_e32 v6, 0x47
	s_and_saveexec_b64 s[4:5], vcc
	s_cbranch_execz .LBB24_197
; %bb.196:                              ;   in Loop: Header=BB24_14 Depth=1
	v_add_u32_e32 v14, 0, v147
	v_add_u32_e32 v12, v118, v147
	ds_read2_b32 v[6:7], v14 offset0:64 offset1:65
	ds_read2st64_b32 v[8:9], v12 offset1:17
	ds_read2st64_b32 v[10:11], v14 offset0:18 offset1:35
	ds_read2st64_b32 v[12:13], v12 offset0:34 offset1:51
	ds_read_b32 v14, v14 offset:13312
	v_readlane_b32 s23, v220, 39
	s_waitcnt lgkmcnt(3)
	v_cvt_f32_f16_e32 v18, v8
	v_cvt_f32_f16_sdwa v19, v8 dst_sel:DWORD dst_unused:UNUSED_PAD src0_sel:WORD_1
	v_cvt_f32_f16_e32 v8, v9
	v_cvt_f32_f16_sdwa v9, v9 dst_sel:DWORD dst_unused:UNUSED_PAD src0_sel:WORD_1
	v_mad_u64_u32 v[16:17], s[26:27], s23, v1, v[54:55]
	v_pk_fma_f32 v[18:19], v[6:7], v[18:19], 0 op_sel_hi:[0,1,0]
	s_waitcnt lgkmcnt(2)
	v_pk_fma_f32 v[8:9], v[10:11], v[8:9], v[18:19] op_sel_hi:[0,1,1]
	s_waitcnt lgkmcnt(1)
	v_cvt_f32_f16_e32 v18, v12
	v_cvt_f32_f16_sdwa v19, v12 dst_sel:DWORD dst_unused:UNUSED_PAD src0_sel:WORD_1
	v_mov_b32_e32 v6, v11
	v_cvt_f32_f16_e32 v10, v13
	v_cvt_f32_f16_sdwa v11, v13 dst_sel:DWORD dst_unused:UNUSED_PAD src0_sel:WORD_1
	v_readlane_b32 s26, v220, 55
	v_pk_fma_f32 v[8:9], v[6:7], v[18:19], v[8:9] op_sel_hi:[0,1,1]
	v_ashrrev_i32_e32 v17, 31, v16
	v_readlane_b32 s27, v220, 56
	s_waitcnt lgkmcnt(0)
	v_pk_fma_f32 v[8:9], v[14:15], v[10:11], v[8:9] op_sel_hi:[0,1,1]
	v_lshl_add_u64 v[16:17], v[16:17], 3, s[26:27]
	v_div_scale_f32 v1, s[26:27], v7, v7, v9
	v_rcp_f32_e32 v6, v1
	s_nop 0
	v_fma_f32 v10, -v1, v6, 1.0
	v_fmac_f32_e32 v6, v10, v6
	v_div_scale_f32 v10, vcc, v9, v7, v9
	v_mul_f32_e32 v11, v10, v6
	v_fma_f32 v12, -v1, v11, v10
	v_fmac_f32_e32 v11, v12, v6
	v_fma_f32 v1, -v1, v11, v10
	v_div_fmas_f32 v1, v1, v6, v11
	v_div_fixup_f32 v9, v1, v7, v9
	v_div_scale_f32 v1, s[26:27], v7, v7, v8
	v_rcp_f32_e32 v6, v1
	s_nop 0
	v_fma_f32 v10, -v1, v6, 1.0
	v_fmac_f32_e32 v6, v10, v6
	v_div_scale_f32 v10, vcc, v8, v7, v8
	v_mul_f32_e32 v11, v10, v6
	v_fma_f32 v12, -v1, v11, v10
	v_fmac_f32_e32 v11, v12, v6
	v_fma_f32 v1, -v1, v11, v10
	v_div_fmas_f32 v1, v1, v6, v11
	v_div_fixup_f32 v8, v1, v7, v8
	v_mov_b32_e32 v6, 0
	global_store_dwordx2 v[16:17], v[8:9], off
.LBB24_197:                             ;   in Loop: Header=BB24_14 Depth=1
	s_or_b64 exec, exec, s[4:5]
	s_movk_i32 s4, 0x47
	v_cmp_gt_i32_e32 vcc, s4, v6
	s_mov_b64 s[4:5], -1
	s_and_saveexec_b64 s[26:27], vcc
; %bb.198:                              ;   in Loop: Header=BB24_14 Depth=1
	v_cmp_eq_u32_e32 vcc, 0, v6
	s_orn2_b64 s[4:5], vcc, exec
; %bb.199:                              ;   in Loop: Header=BB24_14 Depth=1
	s_or_b64 exec, exec, s[26:27]
	s_and_b64 exec, exec, s[4:5]
	s_cbranch_execz .LBB24_12
; %bb.200:                              ;   in Loop: Header=BB24_14 Depth=1
	v_add_u32_e32 v1, s84, v130
	v_cmp_gt_i32_e32 vcc, s52, v1
	v_mov_b32_e32 v6, 0x47
	s_and_saveexec_b64 s[4:5], vcc
	s_cbranch_execz .LBB24_202
; %bb.201:                              ;   in Loop: Header=BB24_14 Depth=1
	v_add_u32_e32 v14, 0, v148
	v_add_u32_e32 v12, v118, v148
	ds_read2_b32 v[6:7], v14 offset0:64 offset1:65
	ds_read2st64_b32 v[8:9], v12 offset1:17
	ds_read2st64_b32 v[10:11], v14 offset0:18 offset1:35
	ds_read2st64_b32 v[12:13], v12 offset0:34 offset1:51
	ds_read_b32 v14, v14 offset:13312
	v_readlane_b32 s23, v220, 39
	s_waitcnt lgkmcnt(3)
	v_cvt_f32_f16_e32 v18, v8
	v_cvt_f32_f16_sdwa v19, v8 dst_sel:DWORD dst_unused:UNUSED_PAD src0_sel:WORD_1
	v_cvt_f32_f16_e32 v8, v9
	v_cvt_f32_f16_sdwa v9, v9 dst_sel:DWORD dst_unused:UNUSED_PAD src0_sel:WORD_1
	v_mad_u64_u32 v[16:17], s[26:27], s23, v1, v[54:55]
	v_pk_fma_f32 v[18:19], v[6:7], v[18:19], 0 op_sel_hi:[0,1,0]
	s_waitcnt lgkmcnt(2)
	v_pk_fma_f32 v[8:9], v[10:11], v[8:9], v[18:19] op_sel_hi:[0,1,1]
	s_waitcnt lgkmcnt(1)
	v_cvt_f32_f16_e32 v18, v12
	v_cvt_f32_f16_sdwa v19, v12 dst_sel:DWORD dst_unused:UNUSED_PAD src0_sel:WORD_1
	v_mov_b32_e32 v6, v11
	v_cvt_f32_f16_e32 v10, v13
	v_cvt_f32_f16_sdwa v11, v13 dst_sel:DWORD dst_unused:UNUSED_PAD src0_sel:WORD_1
	v_readlane_b32 s26, v220, 55
	v_pk_fma_f32 v[8:9], v[6:7], v[18:19], v[8:9] op_sel_hi:[0,1,1]
	v_ashrrev_i32_e32 v17, 31, v16
	v_readlane_b32 s27, v220, 56
	s_waitcnt lgkmcnt(0)
	v_pk_fma_f32 v[8:9], v[14:15], v[10:11], v[8:9] op_sel_hi:[0,1,1]
	v_lshl_add_u64 v[16:17], v[16:17], 3, s[26:27]
	v_div_scale_f32 v1, s[26:27], v7, v7, v9
	v_rcp_f32_e32 v6, v1
	s_nop 0
	v_fma_f32 v10, -v1, v6, 1.0
	v_fmac_f32_e32 v6, v10, v6
	v_div_scale_f32 v10, vcc, v9, v7, v9
	v_mul_f32_e32 v11, v10, v6
	v_fma_f32 v12, -v1, v11, v10
	v_fmac_f32_e32 v11, v12, v6
	v_fma_f32 v1, -v1, v11, v10
	v_div_fmas_f32 v1, v1, v6, v11
	v_div_fixup_f32 v9, v1, v7, v9
	v_div_scale_f32 v1, s[26:27], v7, v7, v8
	v_rcp_f32_e32 v6, v1
	s_nop 0
	v_fma_f32 v10, -v1, v6, 1.0
	v_fmac_f32_e32 v6, v10, v6
	v_div_scale_f32 v10, vcc, v8, v7, v8
	v_mul_f32_e32 v11, v10, v6
	v_fma_f32 v12, -v1, v11, v10
	v_fmac_f32_e32 v11, v12, v6
	v_fma_f32 v1, -v1, v11, v10
	v_div_fmas_f32 v1, v1, v6, v11
	v_div_fixup_f32 v8, v1, v7, v8
	v_mov_b32_e32 v6, 0
	global_store_dwordx2 v[16:17], v[8:9], off
.LBB24_202:                             ;   in Loop: Header=BB24_14 Depth=1
	s_or_b64 exec, exec, s[4:5]
	s_movk_i32 s4, 0x47
	v_cmp_gt_i32_e32 vcc, s4, v6
	s_mov_b64 s[4:5], -1
	s_and_saveexec_b64 s[26:27], vcc
; %bb.203:                              ;   in Loop: Header=BB24_14 Depth=1
	v_cmp_eq_u32_e32 vcc, 0, v6
	s_orn2_b64 s[4:5], vcc, exec
; %bb.204:                              ;   in Loop: Header=BB24_14 Depth=1
	s_or_b64 exec, exec, s[26:27]
	s_and_b64 exec, exec, s[4:5]
	s_cbranch_execz .LBB24_12
; %bb.205:                              ;   in Loop: Header=BB24_14 Depth=1
	v_add_u32_e32 v1, s84, v131
	v_cmp_gt_i32_e32 vcc, s52, v1
	v_mov_b32_e32 v6, 0x47
	s_and_saveexec_b64 s[4:5], vcc
	s_cbranch_execz .LBB24_207
; %bb.206:                              ;   in Loop: Header=BB24_14 Depth=1
	v_add_u32_e32 v14, 0, v149
	v_add_u32_e32 v12, v118, v149
	ds_read2_b32 v[6:7], v14 offset0:64 offset1:65
	ds_read2st64_b32 v[8:9], v12 offset1:17
	ds_read2st64_b32 v[10:11], v14 offset0:18 offset1:35
	ds_read2st64_b32 v[12:13], v12 offset0:34 offset1:51
	ds_read_b32 v14, v14 offset:13312
	v_readlane_b32 s23, v220, 39
	s_waitcnt lgkmcnt(3)
	v_cvt_f32_f16_e32 v18, v8
	v_cvt_f32_f16_sdwa v19, v8 dst_sel:DWORD dst_unused:UNUSED_PAD src0_sel:WORD_1
	v_cvt_f32_f16_e32 v8, v9
	v_cvt_f32_f16_sdwa v9, v9 dst_sel:DWORD dst_unused:UNUSED_PAD src0_sel:WORD_1
	v_mad_u64_u32 v[16:17], s[26:27], s23, v1, v[54:55]
	v_pk_fma_f32 v[18:19], v[6:7], v[18:19], 0 op_sel_hi:[0,1,0]
	s_waitcnt lgkmcnt(2)
	v_pk_fma_f32 v[8:9], v[10:11], v[8:9], v[18:19] op_sel_hi:[0,1,1]
	s_waitcnt lgkmcnt(1)
	v_cvt_f32_f16_e32 v18, v12
	v_cvt_f32_f16_sdwa v19, v12 dst_sel:DWORD dst_unused:UNUSED_PAD src0_sel:WORD_1
	v_mov_b32_e32 v6, v11
	v_cvt_f32_f16_e32 v10, v13
	v_cvt_f32_f16_sdwa v11, v13 dst_sel:DWORD dst_unused:UNUSED_PAD src0_sel:WORD_1
	v_readlane_b32 s26, v220, 55
	v_pk_fma_f32 v[8:9], v[6:7], v[18:19], v[8:9] op_sel_hi:[0,1,1]
	v_ashrrev_i32_e32 v17, 31, v16
	v_readlane_b32 s27, v220, 56
	s_waitcnt lgkmcnt(0)
	v_pk_fma_f32 v[8:9], v[14:15], v[10:11], v[8:9] op_sel_hi:[0,1,1]
	v_lshl_add_u64 v[16:17], v[16:17], 3, s[26:27]
	v_div_scale_f32 v1, s[26:27], v7, v7, v9
	v_rcp_f32_e32 v6, v1
	s_nop 0
	v_fma_f32 v10, -v1, v6, 1.0
	v_fmac_f32_e32 v6, v10, v6
	v_div_scale_f32 v10, vcc, v9, v7, v9
	v_mul_f32_e32 v11, v10, v6
	v_fma_f32 v12, -v1, v11, v10
	v_fmac_f32_e32 v11, v12, v6
	v_fma_f32 v1, -v1, v11, v10
	v_div_fmas_f32 v1, v1, v6, v11
	v_div_fixup_f32 v9, v1, v7, v9
	v_div_scale_f32 v1, s[26:27], v7, v7, v8
	v_rcp_f32_e32 v6, v1
	s_nop 0
	v_fma_f32 v10, -v1, v6, 1.0
	v_fmac_f32_e32 v6, v10, v6
	v_div_scale_f32 v10, vcc, v8, v7, v8
	v_mul_f32_e32 v11, v10, v6
	v_fma_f32 v12, -v1, v11, v10
	v_fmac_f32_e32 v11, v12, v6
	v_fma_f32 v1, -v1, v11, v10
	v_div_fmas_f32 v1, v1, v6, v11
	v_div_fixup_f32 v8, v1, v7, v8
	v_mov_b32_e32 v6, 0
	global_store_dwordx2 v[16:17], v[8:9], off
.LBB24_207:                             ;   in Loop: Header=BB24_14 Depth=1
	s_or_b64 exec, exec, s[4:5]
	s_movk_i32 s4, 0x47
	v_cmp_gt_i32_e32 vcc, s4, v6
	s_mov_b64 s[4:5], -1
	s_and_saveexec_b64 s[26:27], vcc
; %bb.208:                              ;   in Loop: Header=BB24_14 Depth=1
	v_cmp_eq_u32_e32 vcc, 0, v6
	s_orn2_b64 s[4:5], vcc, exec
; %bb.209:                              ;   in Loop: Header=BB24_14 Depth=1
	s_or_b64 exec, exec, s[26:27]
	s_and_b64 exec, exec, s[4:5]
	s_cbranch_execz .LBB24_12
; %bb.210:                              ;   in Loop: Header=BB24_14 Depth=1
	v_add_u32_e32 v1, s84, v132
	v_cmp_gt_i32_e32 vcc, s52, v1
	v_mov_b32_e32 v6, 0x47
	s_and_saveexec_b64 s[4:5], vcc
	s_cbranch_execz .LBB24_212
; %bb.211:                              ;   in Loop: Header=BB24_14 Depth=1
	v_add_u32_e32 v14, 0, v150
	v_add_u32_e32 v12, v118, v150
	ds_read2_b32 v[6:7], v14 offset0:64 offset1:65
	ds_read2st64_b32 v[8:9], v12 offset1:17
	ds_read2st64_b32 v[10:11], v14 offset0:18 offset1:35
	ds_read2st64_b32 v[12:13], v12 offset0:34 offset1:51
	ds_read_b32 v14, v14 offset:13312
	v_readlane_b32 s23, v220, 39
	s_waitcnt lgkmcnt(3)
	v_cvt_f32_f16_e32 v18, v8
	v_cvt_f32_f16_sdwa v19, v8 dst_sel:DWORD dst_unused:UNUSED_PAD src0_sel:WORD_1
	v_cvt_f32_f16_e32 v8, v9
	v_cvt_f32_f16_sdwa v9, v9 dst_sel:DWORD dst_unused:UNUSED_PAD src0_sel:WORD_1
	v_mad_u64_u32 v[16:17], s[26:27], s23, v1, v[54:55]
	v_pk_fma_f32 v[18:19], v[6:7], v[18:19], 0 op_sel_hi:[0,1,0]
	s_waitcnt lgkmcnt(2)
	v_pk_fma_f32 v[8:9], v[10:11], v[8:9], v[18:19] op_sel_hi:[0,1,1]
	s_waitcnt lgkmcnt(1)
	v_cvt_f32_f16_e32 v18, v12
	v_cvt_f32_f16_sdwa v19, v12 dst_sel:DWORD dst_unused:UNUSED_PAD src0_sel:WORD_1
	v_mov_b32_e32 v6, v11
	v_cvt_f32_f16_e32 v10, v13
	v_cvt_f32_f16_sdwa v11, v13 dst_sel:DWORD dst_unused:UNUSED_PAD src0_sel:WORD_1
	v_readlane_b32 s26, v220, 55
	v_pk_fma_f32 v[8:9], v[6:7], v[18:19], v[8:9] op_sel_hi:[0,1,1]
	v_ashrrev_i32_e32 v17, 31, v16
	v_readlane_b32 s27, v220, 56
	s_waitcnt lgkmcnt(0)
	v_pk_fma_f32 v[8:9], v[14:15], v[10:11], v[8:9] op_sel_hi:[0,1,1]
	v_lshl_add_u64 v[16:17], v[16:17], 3, s[26:27]
	v_div_scale_f32 v1, s[26:27], v7, v7, v9
	v_rcp_f32_e32 v6, v1
	s_nop 0
	v_fma_f32 v10, -v1, v6, 1.0
	v_fmac_f32_e32 v6, v10, v6
	v_div_scale_f32 v10, vcc, v9, v7, v9
	v_mul_f32_e32 v11, v10, v6
	v_fma_f32 v12, -v1, v11, v10
	v_fmac_f32_e32 v11, v12, v6
	v_fma_f32 v1, -v1, v11, v10
	v_div_fmas_f32 v1, v1, v6, v11
	v_div_fixup_f32 v9, v1, v7, v9
	v_div_scale_f32 v1, s[26:27], v7, v7, v8
	v_rcp_f32_e32 v6, v1
	s_nop 0
	v_fma_f32 v10, -v1, v6, 1.0
	v_fmac_f32_e32 v6, v10, v6
	v_div_scale_f32 v10, vcc, v8, v7, v8
	v_mul_f32_e32 v11, v10, v6
	v_fma_f32 v12, -v1, v11, v10
	v_fmac_f32_e32 v11, v12, v6
	v_fma_f32 v1, -v1, v11, v10
	v_div_fmas_f32 v1, v1, v6, v11
	v_div_fixup_f32 v8, v1, v7, v8
	v_mov_b32_e32 v6, 0
	global_store_dwordx2 v[16:17], v[8:9], off
.LBB24_212:                             ;   in Loop: Header=BB24_14 Depth=1
	s_or_b64 exec, exec, s[4:5]
	s_movk_i32 s4, 0x47
	v_cmp_gt_i32_e32 vcc, s4, v6
	s_mov_b64 s[4:5], -1
	s_and_saveexec_b64 s[26:27], vcc
; %bb.213:                              ;   in Loop: Header=BB24_14 Depth=1
	v_cmp_eq_u32_e32 vcc, 0, v6
	s_orn2_b64 s[4:5], vcc, exec
; %bb.214:                              ;   in Loop: Header=BB24_14 Depth=1
	s_or_b64 exec, exec, s[26:27]
	s_and_b64 exec, exec, s[4:5]
	s_cbranch_execz .LBB24_12
; %bb.215:                              ;   in Loop: Header=BB24_14 Depth=1
	v_add_u32_e32 v1, s84, v133
	v_cmp_gt_i32_e32 vcc, s52, v1
	v_mov_b32_e32 v6, 0x47
	s_and_saveexec_b64 s[4:5], vcc
	s_cbranch_execz .LBB24_217
; %bb.216:                              ;   in Loop: Header=BB24_14 Depth=1
	v_add_u32_e32 v14, 0, v151
	v_add_u32_e32 v12, v118, v151
	ds_read2_b32 v[6:7], v14 offset0:64 offset1:65
	ds_read2st64_b32 v[8:9], v12 offset1:17
	ds_read2st64_b32 v[10:11], v14 offset0:18 offset1:35
	ds_read2st64_b32 v[12:13], v12 offset0:34 offset1:51
	ds_read_b32 v14, v14 offset:13312
	v_readlane_b32 s23, v220, 39
	s_waitcnt lgkmcnt(3)
	v_cvt_f32_f16_e32 v18, v8
	v_cvt_f32_f16_sdwa v19, v8 dst_sel:DWORD dst_unused:UNUSED_PAD src0_sel:WORD_1
	v_cvt_f32_f16_e32 v8, v9
	v_cvt_f32_f16_sdwa v9, v9 dst_sel:DWORD dst_unused:UNUSED_PAD src0_sel:WORD_1
	v_mad_u64_u32 v[16:17], s[26:27], s23, v1, v[54:55]
	v_pk_fma_f32 v[18:19], v[6:7], v[18:19], 0 op_sel_hi:[0,1,0]
	s_waitcnt lgkmcnt(2)
	v_pk_fma_f32 v[8:9], v[10:11], v[8:9], v[18:19] op_sel_hi:[0,1,1]
	s_waitcnt lgkmcnt(1)
	v_cvt_f32_f16_e32 v18, v12
	v_cvt_f32_f16_sdwa v19, v12 dst_sel:DWORD dst_unused:UNUSED_PAD src0_sel:WORD_1
	v_mov_b32_e32 v6, v11
	v_cvt_f32_f16_e32 v10, v13
	v_cvt_f32_f16_sdwa v11, v13 dst_sel:DWORD dst_unused:UNUSED_PAD src0_sel:WORD_1
	v_readlane_b32 s26, v220, 55
	v_pk_fma_f32 v[8:9], v[6:7], v[18:19], v[8:9] op_sel_hi:[0,1,1]
	v_ashrrev_i32_e32 v17, 31, v16
	v_readlane_b32 s27, v220, 56
	s_waitcnt lgkmcnt(0)
	v_pk_fma_f32 v[8:9], v[14:15], v[10:11], v[8:9] op_sel_hi:[0,1,1]
	v_lshl_add_u64 v[16:17], v[16:17], 3, s[26:27]
	v_div_scale_f32 v1, s[26:27], v7, v7, v9
	v_rcp_f32_e32 v6, v1
	s_nop 0
	v_fma_f32 v10, -v1, v6, 1.0
	v_fmac_f32_e32 v6, v10, v6
	v_div_scale_f32 v10, vcc, v9, v7, v9
	v_mul_f32_e32 v11, v10, v6
	v_fma_f32 v12, -v1, v11, v10
	v_fmac_f32_e32 v11, v12, v6
	v_fma_f32 v1, -v1, v11, v10
	v_div_fmas_f32 v1, v1, v6, v11
	v_div_fixup_f32 v9, v1, v7, v9
	v_div_scale_f32 v1, s[26:27], v7, v7, v8
	v_rcp_f32_e32 v6, v1
	s_nop 0
	v_fma_f32 v10, -v1, v6, 1.0
	v_fmac_f32_e32 v6, v10, v6
	v_div_scale_f32 v10, vcc, v8, v7, v8
	v_mul_f32_e32 v11, v10, v6
	v_fma_f32 v12, -v1, v11, v10
	v_fmac_f32_e32 v11, v12, v6
	v_fma_f32 v1, -v1, v11, v10
	v_div_fmas_f32 v1, v1, v6, v11
	v_div_fixup_f32 v8, v1, v7, v8
	v_mov_b32_e32 v6, 0
	global_store_dwordx2 v[16:17], v[8:9], off
.LBB24_217:                             ;   in Loop: Header=BB24_14 Depth=1
	s_or_b64 exec, exec, s[4:5]
	s_movk_i32 s4, 0x47
	v_cmp_gt_i32_e32 vcc, s4, v6
	s_mov_b64 s[4:5], -1
	s_and_saveexec_b64 s[26:27], vcc
; %bb.218:                              ;   in Loop: Header=BB24_14 Depth=1
	v_cmp_eq_u32_e32 vcc, 0, v6
	s_orn2_b64 s[4:5], vcc, exec
; %bb.219:                              ;   in Loop: Header=BB24_14 Depth=1
	s_or_b64 exec, exec, s[26:27]
	s_and_b64 exec, exec, s[4:5]
	s_cbranch_execz .LBB24_12
; %bb.220:                              ;   in Loop: Header=BB24_14 Depth=1
	v_add_u32_e32 v1, s84, v134
	v_cmp_gt_i32_e32 vcc, s52, v1
	v_mov_b32_e32 v6, 0x47
	s_and_saveexec_b64 s[4:5], vcc
	s_cbranch_execz .LBB24_222
; %bb.221:                              ;   in Loop: Header=BB24_14 Depth=1
	v_add_u32_e32 v14, 0, v152
	v_add_u32_e32 v12, v118, v152
	ds_read2_b32 v[6:7], v14 offset0:64 offset1:65
	ds_read2st64_b32 v[8:9], v12 offset1:17
	ds_read2st64_b32 v[10:11], v14 offset0:18 offset1:35
	ds_read2st64_b32 v[12:13], v12 offset0:34 offset1:51
	ds_read_b32 v14, v14 offset:13312
	v_readlane_b32 s23, v220, 39
	s_waitcnt lgkmcnt(3)
	v_cvt_f32_f16_e32 v18, v8
	v_cvt_f32_f16_sdwa v19, v8 dst_sel:DWORD dst_unused:UNUSED_PAD src0_sel:WORD_1
	v_cvt_f32_f16_e32 v8, v9
	v_cvt_f32_f16_sdwa v9, v9 dst_sel:DWORD dst_unused:UNUSED_PAD src0_sel:WORD_1
	v_mad_u64_u32 v[16:17], s[26:27], s23, v1, v[54:55]
	v_pk_fma_f32 v[18:19], v[6:7], v[18:19], 0 op_sel_hi:[0,1,0]
	s_waitcnt lgkmcnt(2)
	v_pk_fma_f32 v[8:9], v[10:11], v[8:9], v[18:19] op_sel_hi:[0,1,1]
	s_waitcnt lgkmcnt(1)
	v_cvt_f32_f16_e32 v18, v12
	v_cvt_f32_f16_sdwa v19, v12 dst_sel:DWORD dst_unused:UNUSED_PAD src0_sel:WORD_1
	v_mov_b32_e32 v6, v11
	v_cvt_f32_f16_e32 v10, v13
	v_cvt_f32_f16_sdwa v11, v13 dst_sel:DWORD dst_unused:UNUSED_PAD src0_sel:WORD_1
	v_readlane_b32 s26, v220, 55
	v_pk_fma_f32 v[8:9], v[6:7], v[18:19], v[8:9] op_sel_hi:[0,1,1]
	v_ashrrev_i32_e32 v17, 31, v16
	v_readlane_b32 s27, v220, 56
	s_waitcnt lgkmcnt(0)
	v_pk_fma_f32 v[8:9], v[14:15], v[10:11], v[8:9] op_sel_hi:[0,1,1]
	v_lshl_add_u64 v[16:17], v[16:17], 3, s[26:27]
	v_div_scale_f32 v1, s[26:27], v7, v7, v9
	v_rcp_f32_e32 v6, v1
	s_nop 0
	v_fma_f32 v10, -v1, v6, 1.0
	v_fmac_f32_e32 v6, v10, v6
	v_div_scale_f32 v10, vcc, v9, v7, v9
	v_mul_f32_e32 v11, v10, v6
	v_fma_f32 v12, -v1, v11, v10
	v_fmac_f32_e32 v11, v12, v6
	v_fma_f32 v1, -v1, v11, v10
	v_div_fmas_f32 v1, v1, v6, v11
	v_div_fixup_f32 v9, v1, v7, v9
	v_div_scale_f32 v1, s[26:27], v7, v7, v8
	v_rcp_f32_e32 v6, v1
	s_nop 0
	v_fma_f32 v10, -v1, v6, 1.0
	v_fmac_f32_e32 v6, v10, v6
	v_div_scale_f32 v10, vcc, v8, v7, v8
	v_mul_f32_e32 v11, v10, v6
	v_fma_f32 v12, -v1, v11, v10
	v_fmac_f32_e32 v11, v12, v6
	v_fma_f32 v1, -v1, v11, v10
	v_div_fmas_f32 v1, v1, v6, v11
	v_div_fixup_f32 v8, v1, v7, v8
	v_mov_b32_e32 v6, 0
	global_store_dwordx2 v[16:17], v[8:9], off
.LBB24_222:                             ;   in Loop: Header=BB24_14 Depth=1
	s_or_b64 exec, exec, s[4:5]
	s_movk_i32 s4, 0x47
	v_cmp_gt_i32_e32 vcc, s4, v6
	s_mov_b64 s[4:5], -1
	s_and_saveexec_b64 s[26:27], vcc
; %bb.223:                              ;   in Loop: Header=BB24_14 Depth=1
	v_cmp_eq_u32_e32 vcc, 0, v6
	s_orn2_b64 s[4:5], vcc, exec
; %bb.224:                              ;   in Loop: Header=BB24_14 Depth=1
	s_or_b64 exec, exec, s[26:27]
	s_and_b64 exec, exec, s[4:5]
	s_cbranch_execz .LBB24_12
; %bb.225:                              ;   in Loop: Header=BB24_14 Depth=1
	v_add_u32_e32 v1, s84, v135
	v_cmp_gt_i32_e32 vcc, s52, v1
	v_mov_b32_e32 v6, 0x47
	s_and_saveexec_b64 s[4:5], vcc
	s_cbranch_execz .LBB24_227
; %bb.226:                              ;   in Loop: Header=BB24_14 Depth=1
	v_add_u32_e32 v14, 0, v153
	v_add_u32_e32 v12, v118, v153
	ds_read2_b32 v[6:7], v14 offset0:64 offset1:65
	ds_read2st64_b32 v[8:9], v12 offset1:17
	ds_read2st64_b32 v[10:11], v14 offset0:18 offset1:35
	ds_read2st64_b32 v[12:13], v12 offset0:34 offset1:51
	ds_read_b32 v14, v14 offset:13312
	v_readlane_b32 s23, v220, 39
	s_waitcnt lgkmcnt(3)
	v_cvt_f32_f16_e32 v18, v8
	v_cvt_f32_f16_sdwa v19, v8 dst_sel:DWORD dst_unused:UNUSED_PAD src0_sel:WORD_1
	v_cvt_f32_f16_e32 v8, v9
	v_cvt_f32_f16_sdwa v9, v9 dst_sel:DWORD dst_unused:UNUSED_PAD src0_sel:WORD_1
	v_mad_u64_u32 v[16:17], s[26:27], s23, v1, v[54:55]
	v_pk_fma_f32 v[18:19], v[6:7], v[18:19], 0 op_sel_hi:[0,1,0]
	s_waitcnt lgkmcnt(2)
	v_pk_fma_f32 v[8:9], v[10:11], v[8:9], v[18:19] op_sel_hi:[0,1,1]
	s_waitcnt lgkmcnt(1)
	v_cvt_f32_f16_e32 v18, v12
	v_cvt_f32_f16_sdwa v19, v12 dst_sel:DWORD dst_unused:UNUSED_PAD src0_sel:WORD_1
	v_mov_b32_e32 v6, v11
	v_cvt_f32_f16_e32 v10, v13
	v_cvt_f32_f16_sdwa v11, v13 dst_sel:DWORD dst_unused:UNUSED_PAD src0_sel:WORD_1
	v_readlane_b32 s26, v220, 55
	v_pk_fma_f32 v[8:9], v[6:7], v[18:19], v[8:9] op_sel_hi:[0,1,1]
	v_ashrrev_i32_e32 v17, 31, v16
	v_readlane_b32 s27, v220, 56
	s_waitcnt lgkmcnt(0)
	v_pk_fma_f32 v[8:9], v[14:15], v[10:11], v[8:9] op_sel_hi:[0,1,1]
	v_lshl_add_u64 v[16:17], v[16:17], 3, s[26:27]
	v_div_scale_f32 v1, s[26:27], v7, v7, v9
	v_rcp_f32_e32 v6, v1
	s_nop 0
	v_fma_f32 v10, -v1, v6, 1.0
	v_fmac_f32_e32 v6, v10, v6
	v_div_scale_f32 v10, vcc, v9, v7, v9
	v_mul_f32_e32 v11, v10, v6
	v_fma_f32 v12, -v1, v11, v10
	v_fmac_f32_e32 v11, v12, v6
	v_fma_f32 v1, -v1, v11, v10
	v_div_fmas_f32 v1, v1, v6, v11
	v_div_fixup_f32 v9, v1, v7, v9
	v_div_scale_f32 v1, s[26:27], v7, v7, v8
	v_rcp_f32_e32 v6, v1
	s_nop 0
	v_fma_f32 v10, -v1, v6, 1.0
	v_fmac_f32_e32 v6, v10, v6
	v_div_scale_f32 v10, vcc, v8, v7, v8
	v_mul_f32_e32 v11, v10, v6
	v_fma_f32 v12, -v1, v11, v10
	v_fmac_f32_e32 v11, v12, v6
	v_fma_f32 v1, -v1, v11, v10
	v_div_fmas_f32 v1, v1, v6, v11
	v_div_fixup_f32 v8, v1, v7, v8
	v_mov_b32_e32 v6, 0
	global_store_dwordx2 v[16:17], v[8:9], off
.LBB24_227:                             ;   in Loop: Header=BB24_14 Depth=1
	s_or_b64 exec, exec, s[4:5]
	s_movk_i32 s4, 0x47
	v_cmp_gt_i32_e32 vcc, s4, v6
	s_mov_b64 s[4:5], -1
	s_and_saveexec_b64 s[26:27], vcc
; %bb.228:                              ;   in Loop: Header=BB24_14 Depth=1
	v_cmp_eq_u32_e32 vcc, 0, v6
	s_orn2_b64 s[4:5], vcc, exec
; %bb.229:                              ;   in Loop: Header=BB24_14 Depth=1
	s_or_b64 exec, exec, s[26:27]
	s_and_b64 exec, exec, s[4:5]
	s_cbranch_execz .LBB24_12
; %bb.230:                              ;   in Loop: Header=BB24_14 Depth=1
	v_add_u32_e32 v1, s84, v136
	v_cmp_gt_i32_e32 vcc, s52, v1
	v_mov_b32_e32 v6, 0x47
	s_and_saveexec_b64 s[4:5], vcc
	s_cbranch_execz .LBB24_232
; %bb.231:                              ;   in Loop: Header=BB24_14 Depth=1
	v_add_u32_e32 v14, 0, v154
	v_add_u32_e32 v12, v118, v154
	ds_read2_b32 v[6:7], v14 offset0:64 offset1:65
	ds_read2st64_b32 v[8:9], v12 offset1:17
	ds_read2st64_b32 v[10:11], v14 offset0:18 offset1:35
	ds_read2st64_b32 v[12:13], v12 offset0:34 offset1:51
	ds_read_b32 v14, v14 offset:13312
	v_readlane_b32 s23, v220, 39
	s_waitcnt lgkmcnt(3)
	v_cvt_f32_f16_e32 v18, v8
	v_cvt_f32_f16_sdwa v19, v8 dst_sel:DWORD dst_unused:UNUSED_PAD src0_sel:WORD_1
	v_cvt_f32_f16_e32 v8, v9
	v_cvt_f32_f16_sdwa v9, v9 dst_sel:DWORD dst_unused:UNUSED_PAD src0_sel:WORD_1
	v_mad_u64_u32 v[16:17], s[26:27], s23, v1, v[54:55]
	v_pk_fma_f32 v[18:19], v[6:7], v[18:19], 0 op_sel_hi:[0,1,0]
	s_waitcnt lgkmcnt(2)
	v_pk_fma_f32 v[8:9], v[10:11], v[8:9], v[18:19] op_sel_hi:[0,1,1]
	s_waitcnt lgkmcnt(1)
	v_cvt_f32_f16_e32 v18, v12
	v_cvt_f32_f16_sdwa v19, v12 dst_sel:DWORD dst_unused:UNUSED_PAD src0_sel:WORD_1
	v_mov_b32_e32 v6, v11
	v_cvt_f32_f16_e32 v10, v13
	v_cvt_f32_f16_sdwa v11, v13 dst_sel:DWORD dst_unused:UNUSED_PAD src0_sel:WORD_1
	v_readlane_b32 s26, v220, 55
	v_pk_fma_f32 v[8:9], v[6:7], v[18:19], v[8:9] op_sel_hi:[0,1,1]
	v_ashrrev_i32_e32 v17, 31, v16
	v_readlane_b32 s27, v220, 56
	s_waitcnt lgkmcnt(0)
	v_pk_fma_f32 v[8:9], v[14:15], v[10:11], v[8:9] op_sel_hi:[0,1,1]
	v_lshl_add_u64 v[16:17], v[16:17], 3, s[26:27]
	v_div_scale_f32 v1, s[26:27], v7, v7, v9
	v_rcp_f32_e32 v6, v1
	s_nop 0
	v_fma_f32 v10, -v1, v6, 1.0
	v_fmac_f32_e32 v6, v10, v6
	v_div_scale_f32 v10, vcc, v9, v7, v9
	v_mul_f32_e32 v11, v10, v6
	v_fma_f32 v12, -v1, v11, v10
	v_fmac_f32_e32 v11, v12, v6
	v_fma_f32 v1, -v1, v11, v10
	v_div_fmas_f32 v1, v1, v6, v11
	v_div_fixup_f32 v9, v1, v7, v9
	v_div_scale_f32 v1, s[26:27], v7, v7, v8
	v_rcp_f32_e32 v6, v1
	s_nop 0
	v_fma_f32 v10, -v1, v6, 1.0
	v_fmac_f32_e32 v6, v10, v6
	v_div_scale_f32 v10, vcc, v8, v7, v8
	v_mul_f32_e32 v11, v10, v6
	v_fma_f32 v12, -v1, v11, v10
	v_fmac_f32_e32 v11, v12, v6
	v_fma_f32 v1, -v1, v11, v10
	v_div_fmas_f32 v1, v1, v6, v11
	v_div_fixup_f32 v8, v1, v7, v8
	v_mov_b32_e32 v6, 0
	global_store_dwordx2 v[16:17], v[8:9], off
.LBB24_232:                             ;   in Loop: Header=BB24_14 Depth=1
	s_or_b64 exec, exec, s[4:5]
	s_movk_i32 s4, 0x47
	v_cmp_gt_i32_e32 vcc, s4, v6
	s_mov_b64 s[4:5], -1
	s_and_saveexec_b64 s[26:27], vcc
; %bb.233:                              ;   in Loop: Header=BB24_14 Depth=1
	v_cmp_eq_u32_e32 vcc, 0, v6
	s_orn2_b64 s[4:5], vcc, exec
; %bb.234:                              ;   in Loop: Header=BB24_14 Depth=1
	s_or_b64 exec, exec, s[26:27]
	s_and_b64 exec, exec, s[4:5]
	s_cbranch_execz .LBB24_12
; %bb.235:                              ;   in Loop: Header=BB24_14 Depth=1
	v_add_u32_e32 v1, s84, v137
	v_cmp_gt_i32_e32 vcc, s52, v1
	v_mov_b32_e32 v6, 0x47
	s_and_saveexec_b64 s[4:5], vcc
	s_cbranch_execz .LBB24_237
; %bb.236:                              ;   in Loop: Header=BB24_14 Depth=1
	v_add_u32_e32 v14, 0, v155
	v_add_u32_e32 v12, v118, v155
	ds_read2_b32 v[6:7], v14 offset0:64 offset1:65
	ds_read2st64_b32 v[8:9], v12 offset1:17
	ds_read2st64_b32 v[10:11], v14 offset0:18 offset1:35
	ds_read2st64_b32 v[12:13], v12 offset0:34 offset1:51
	ds_read_b32 v14, v14 offset:13312
	v_readlane_b32 s23, v220, 39
	s_waitcnt lgkmcnt(3)
	v_cvt_f32_f16_e32 v18, v8
	v_cvt_f32_f16_sdwa v19, v8 dst_sel:DWORD dst_unused:UNUSED_PAD src0_sel:WORD_1
	v_cvt_f32_f16_e32 v8, v9
	v_cvt_f32_f16_sdwa v9, v9 dst_sel:DWORD dst_unused:UNUSED_PAD src0_sel:WORD_1
	v_mad_u64_u32 v[16:17], s[26:27], s23, v1, v[54:55]
	v_pk_fma_f32 v[18:19], v[6:7], v[18:19], 0 op_sel_hi:[0,1,0]
	s_waitcnt lgkmcnt(2)
	v_pk_fma_f32 v[8:9], v[10:11], v[8:9], v[18:19] op_sel_hi:[0,1,1]
	s_waitcnt lgkmcnt(1)
	v_cvt_f32_f16_e32 v18, v12
	v_cvt_f32_f16_sdwa v19, v12 dst_sel:DWORD dst_unused:UNUSED_PAD src0_sel:WORD_1
	v_mov_b32_e32 v6, v11
	v_cvt_f32_f16_e32 v10, v13
	v_cvt_f32_f16_sdwa v11, v13 dst_sel:DWORD dst_unused:UNUSED_PAD src0_sel:WORD_1
	v_readlane_b32 s26, v220, 55
	v_pk_fma_f32 v[8:9], v[6:7], v[18:19], v[8:9] op_sel_hi:[0,1,1]
	v_ashrrev_i32_e32 v17, 31, v16
	v_readlane_b32 s27, v220, 56
	s_waitcnt lgkmcnt(0)
	v_pk_fma_f32 v[8:9], v[14:15], v[10:11], v[8:9] op_sel_hi:[0,1,1]
	v_lshl_add_u64 v[16:17], v[16:17], 3, s[26:27]
	v_div_scale_f32 v1, s[26:27], v7, v7, v9
	v_rcp_f32_e32 v6, v1
	s_nop 0
	v_fma_f32 v10, -v1, v6, 1.0
	v_fmac_f32_e32 v6, v10, v6
	v_div_scale_f32 v10, vcc, v9, v7, v9
	v_mul_f32_e32 v11, v10, v6
	v_fma_f32 v12, -v1, v11, v10
	v_fmac_f32_e32 v11, v12, v6
	v_fma_f32 v1, -v1, v11, v10
	v_div_fmas_f32 v1, v1, v6, v11
	v_div_fixup_f32 v9, v1, v7, v9
	v_div_scale_f32 v1, s[26:27], v7, v7, v8
	v_rcp_f32_e32 v6, v1
	s_nop 0
	v_fma_f32 v10, -v1, v6, 1.0
	v_fmac_f32_e32 v6, v10, v6
	v_div_scale_f32 v10, vcc, v8, v7, v8
	v_mul_f32_e32 v11, v10, v6
	v_fma_f32 v12, -v1, v11, v10
	v_fmac_f32_e32 v11, v12, v6
	v_fma_f32 v1, -v1, v11, v10
	v_div_fmas_f32 v1, v1, v6, v11
	v_div_fixup_f32 v8, v1, v7, v8
	v_mov_b32_e32 v6, 0
	global_store_dwordx2 v[16:17], v[8:9], off
.LBB24_237:                             ;   in Loop: Header=BB24_14 Depth=1
	s_or_b64 exec, exec, s[4:5]
	s_movk_i32 s4, 0x47
	v_cmp_gt_i32_e32 vcc, s4, v6
	s_mov_b64 s[4:5], -1
	s_and_saveexec_b64 s[26:27], vcc
; %bb.238:                              ;   in Loop: Header=BB24_14 Depth=1
	v_cmp_eq_u32_e32 vcc, 0, v6
	s_orn2_b64 s[4:5], vcc, exec
; %bb.239:                              ;   in Loop: Header=BB24_14 Depth=1
	s_or_b64 exec, exec, s[26:27]
	s_and_b64 exec, exec, s[4:5]
	s_cbranch_execz .LBB24_12
; %bb.240:                              ;   in Loop: Header=BB24_14 Depth=1
	v_add_u32_e32 v1, s84, v138
	v_cmp_gt_i32_e32 vcc, s52, v1
	v_mov_b32_e32 v6, 0x47
	s_and_saveexec_b64 s[4:5], vcc
	s_cbranch_execz .LBB24_242
; %bb.241:                              ;   in Loop: Header=BB24_14 Depth=1
	v_add_u32_e32 v14, 0, v156
	v_add_u32_e32 v12, v118, v156
	ds_read2_b32 v[6:7], v14 offset0:64 offset1:65
	ds_read2st64_b32 v[8:9], v12 offset1:17
	ds_read2st64_b32 v[10:11], v14 offset0:18 offset1:35
	ds_read2st64_b32 v[12:13], v12 offset0:34 offset1:51
	ds_read_b32 v14, v14 offset:13312
	v_readlane_b32 s23, v220, 39
	s_waitcnt lgkmcnt(3)
	v_cvt_f32_f16_e32 v18, v8
	v_cvt_f32_f16_sdwa v19, v8 dst_sel:DWORD dst_unused:UNUSED_PAD src0_sel:WORD_1
	v_cvt_f32_f16_e32 v8, v9
	v_cvt_f32_f16_sdwa v9, v9 dst_sel:DWORD dst_unused:UNUSED_PAD src0_sel:WORD_1
	v_mad_u64_u32 v[16:17], s[26:27], s23, v1, v[54:55]
	v_pk_fma_f32 v[18:19], v[6:7], v[18:19], 0 op_sel_hi:[0,1,0]
	s_waitcnt lgkmcnt(2)
	v_pk_fma_f32 v[8:9], v[10:11], v[8:9], v[18:19] op_sel_hi:[0,1,1]
	s_waitcnt lgkmcnt(1)
	v_cvt_f32_f16_e32 v18, v12
	v_cvt_f32_f16_sdwa v19, v12 dst_sel:DWORD dst_unused:UNUSED_PAD src0_sel:WORD_1
	v_mov_b32_e32 v6, v11
	v_cvt_f32_f16_e32 v10, v13
	v_cvt_f32_f16_sdwa v11, v13 dst_sel:DWORD dst_unused:UNUSED_PAD src0_sel:WORD_1
	v_readlane_b32 s26, v220, 55
	v_pk_fma_f32 v[8:9], v[6:7], v[18:19], v[8:9] op_sel_hi:[0,1,1]
	v_ashrrev_i32_e32 v17, 31, v16
	v_readlane_b32 s27, v220, 56
	s_waitcnt lgkmcnt(0)
	v_pk_fma_f32 v[8:9], v[14:15], v[10:11], v[8:9] op_sel_hi:[0,1,1]
	v_lshl_add_u64 v[16:17], v[16:17], 3, s[26:27]
	v_div_scale_f32 v1, s[26:27], v7, v7, v9
	v_rcp_f32_e32 v6, v1
	s_nop 0
	v_fma_f32 v10, -v1, v6, 1.0
	v_fmac_f32_e32 v6, v10, v6
	v_div_scale_f32 v10, vcc, v9, v7, v9
	v_mul_f32_e32 v11, v10, v6
	v_fma_f32 v12, -v1, v11, v10
	v_fmac_f32_e32 v11, v12, v6
	v_fma_f32 v1, -v1, v11, v10
	v_div_fmas_f32 v1, v1, v6, v11
	v_div_fixup_f32 v9, v1, v7, v9
	v_div_scale_f32 v1, s[26:27], v7, v7, v8
	v_rcp_f32_e32 v6, v1
	s_nop 0
	v_fma_f32 v10, -v1, v6, 1.0
	v_fmac_f32_e32 v6, v10, v6
	v_div_scale_f32 v10, vcc, v8, v7, v8
	v_mul_f32_e32 v11, v10, v6
	v_fma_f32 v12, -v1, v11, v10
	v_fmac_f32_e32 v11, v12, v6
	v_fma_f32 v1, -v1, v11, v10
	v_div_fmas_f32 v1, v1, v6, v11
	v_div_fixup_f32 v8, v1, v7, v8
	v_mov_b32_e32 v6, 0
	global_store_dwordx2 v[16:17], v[8:9], off
.LBB24_242:                             ;   in Loop: Header=BB24_14 Depth=1
	s_or_b64 exec, exec, s[4:5]
	s_movk_i32 s4, 0x47
	v_cmp_gt_i32_e32 vcc, s4, v6
	s_mov_b64 s[4:5], -1
	s_and_saveexec_b64 s[26:27], vcc
; %bb.243:                              ;   in Loop: Header=BB24_14 Depth=1
	v_cmp_eq_u32_e32 vcc, 0, v6
	s_orn2_b64 s[4:5], vcc, exec
; %bb.244:                              ;   in Loop: Header=BB24_14 Depth=1
	s_or_b64 exec, exec, s[26:27]
	s_and_b64 exec, exec, s[4:5]
	s_cbranch_execz .LBB24_12
; %bb.245:                              ;   in Loop: Header=BB24_14 Depth=1
	v_add_u32_e32 v1, s84, v139
	v_cmp_gt_i32_e32 vcc, s52, v1
	v_mov_b32_e32 v6, 0x47
	s_and_saveexec_b64 s[4:5], vcc
	s_cbranch_execz .LBB24_247
; %bb.246:                              ;   in Loop: Header=BB24_14 Depth=1
	v_add_u32_e32 v14, 0, v157
	v_add_u32_e32 v12, v118, v157
	ds_read2_b32 v[6:7], v14 offset0:64 offset1:65
	ds_read2st64_b32 v[8:9], v12 offset1:17
	ds_read2st64_b32 v[10:11], v14 offset0:18 offset1:35
	ds_read2st64_b32 v[12:13], v12 offset0:34 offset1:51
	ds_read_b32 v14, v14 offset:13312
	v_readlane_b32 s23, v220, 39
	s_waitcnt lgkmcnt(3)
	v_cvt_f32_f16_e32 v18, v8
	v_cvt_f32_f16_sdwa v19, v8 dst_sel:DWORD dst_unused:UNUSED_PAD src0_sel:WORD_1
	v_cvt_f32_f16_e32 v8, v9
	v_cvt_f32_f16_sdwa v9, v9 dst_sel:DWORD dst_unused:UNUSED_PAD src0_sel:WORD_1
	v_mad_u64_u32 v[16:17], s[26:27], s23, v1, v[54:55]
	v_pk_fma_f32 v[18:19], v[6:7], v[18:19], 0 op_sel_hi:[0,1,0]
	s_waitcnt lgkmcnt(2)
	v_pk_fma_f32 v[8:9], v[10:11], v[8:9], v[18:19] op_sel_hi:[0,1,1]
	s_waitcnt lgkmcnt(1)
	v_cvt_f32_f16_e32 v18, v12
	v_cvt_f32_f16_sdwa v19, v12 dst_sel:DWORD dst_unused:UNUSED_PAD src0_sel:WORD_1
	v_mov_b32_e32 v6, v11
	v_cvt_f32_f16_e32 v10, v13
	v_cvt_f32_f16_sdwa v11, v13 dst_sel:DWORD dst_unused:UNUSED_PAD src0_sel:WORD_1
	v_readlane_b32 s26, v220, 55
	v_pk_fma_f32 v[8:9], v[6:7], v[18:19], v[8:9] op_sel_hi:[0,1,1]
	v_ashrrev_i32_e32 v17, 31, v16
	v_readlane_b32 s27, v220, 56
	s_waitcnt lgkmcnt(0)
	v_pk_fma_f32 v[8:9], v[14:15], v[10:11], v[8:9] op_sel_hi:[0,1,1]
	v_lshl_add_u64 v[16:17], v[16:17], 3, s[26:27]
	v_div_scale_f32 v1, s[26:27], v7, v7, v9
	v_rcp_f32_e32 v6, v1
	s_nop 0
	v_fma_f32 v10, -v1, v6, 1.0
	v_fmac_f32_e32 v6, v10, v6
	v_div_scale_f32 v10, vcc, v9, v7, v9
	v_mul_f32_e32 v11, v10, v6
	v_fma_f32 v12, -v1, v11, v10
	v_fmac_f32_e32 v11, v12, v6
	v_fma_f32 v1, -v1, v11, v10
	v_div_fmas_f32 v1, v1, v6, v11
	v_div_fixup_f32 v9, v1, v7, v9
	v_div_scale_f32 v1, s[26:27], v7, v7, v8
	v_rcp_f32_e32 v6, v1
	s_nop 0
	v_fma_f32 v10, -v1, v6, 1.0
	v_fmac_f32_e32 v6, v10, v6
	v_div_scale_f32 v10, vcc, v8, v7, v8
	v_mul_f32_e32 v11, v10, v6
	v_fma_f32 v12, -v1, v11, v10
	v_fmac_f32_e32 v11, v12, v6
	v_fma_f32 v1, -v1, v11, v10
	v_div_fmas_f32 v1, v1, v6, v11
	v_div_fixup_f32 v8, v1, v7, v8
	v_mov_b32_e32 v6, 0
	global_store_dwordx2 v[16:17], v[8:9], off
.LBB24_247:                             ;   in Loop: Header=BB24_14 Depth=1
	s_or_b64 exec, exec, s[4:5]
	s_movk_i32 s4, 0x47
	v_cmp_gt_i32_e32 vcc, s4, v6
	s_mov_b64 s[4:5], -1
	s_and_saveexec_b64 s[26:27], vcc
; %bb.248:                              ;   in Loop: Header=BB24_14 Depth=1
	v_cmp_eq_u32_e32 vcc, 0, v6
	s_orn2_b64 s[4:5], vcc, exec
; %bb.249:                              ;   in Loop: Header=BB24_14 Depth=1
	s_or_b64 exec, exec, s[26:27]
	s_and_b64 exec, exec, s[4:5]
	s_cbranch_execz .LBB24_12
; %bb.250:                              ;   in Loop: Header=BB24_14 Depth=1
	v_add_u32_e32 v1, s84, v140
	v_cmp_gt_i32_e32 vcc, s52, v1
	v_mov_b32_e32 v6, 0x47
	s_and_saveexec_b64 s[4:5], vcc
	s_cbranch_execz .LBB24_252
; %bb.251:                              ;   in Loop: Header=BB24_14 Depth=1
	v_add_u32_e32 v14, 0, v158
	v_add_u32_e32 v12, v118, v158
	ds_read2_b32 v[6:7], v14 offset0:64 offset1:65
	ds_read2st64_b32 v[8:9], v12 offset1:17
	ds_read2st64_b32 v[10:11], v14 offset0:18 offset1:35
	ds_read2st64_b32 v[12:13], v12 offset0:34 offset1:51
	ds_read_b32 v14, v14 offset:13312
	v_readlane_b32 s23, v220, 39
	s_waitcnt lgkmcnt(3)
	v_cvt_f32_f16_e32 v18, v8
	v_cvt_f32_f16_sdwa v19, v8 dst_sel:DWORD dst_unused:UNUSED_PAD src0_sel:WORD_1
	v_cvt_f32_f16_e32 v8, v9
	v_cvt_f32_f16_sdwa v9, v9 dst_sel:DWORD dst_unused:UNUSED_PAD src0_sel:WORD_1
	v_mad_u64_u32 v[16:17], s[26:27], s23, v1, v[54:55]
	v_pk_fma_f32 v[18:19], v[6:7], v[18:19], 0 op_sel_hi:[0,1,0]
	s_waitcnt lgkmcnt(2)
	v_pk_fma_f32 v[8:9], v[10:11], v[8:9], v[18:19] op_sel_hi:[0,1,1]
	s_waitcnt lgkmcnt(1)
	v_cvt_f32_f16_e32 v18, v12
	v_cvt_f32_f16_sdwa v19, v12 dst_sel:DWORD dst_unused:UNUSED_PAD src0_sel:WORD_1
	v_mov_b32_e32 v6, v11
	v_cvt_f32_f16_e32 v10, v13
	v_cvt_f32_f16_sdwa v11, v13 dst_sel:DWORD dst_unused:UNUSED_PAD src0_sel:WORD_1
	v_readlane_b32 s26, v220, 55
	v_pk_fma_f32 v[8:9], v[6:7], v[18:19], v[8:9] op_sel_hi:[0,1,1]
	v_ashrrev_i32_e32 v17, 31, v16
	v_readlane_b32 s27, v220, 56
	s_waitcnt lgkmcnt(0)
	v_pk_fma_f32 v[8:9], v[14:15], v[10:11], v[8:9] op_sel_hi:[0,1,1]
	v_lshl_add_u64 v[16:17], v[16:17], 3, s[26:27]
	v_div_scale_f32 v1, s[26:27], v7, v7, v9
	v_rcp_f32_e32 v6, v1
	s_nop 0
	v_fma_f32 v10, -v1, v6, 1.0
	v_fmac_f32_e32 v6, v10, v6
	v_div_scale_f32 v10, vcc, v9, v7, v9
	v_mul_f32_e32 v11, v10, v6
	v_fma_f32 v12, -v1, v11, v10
	v_fmac_f32_e32 v11, v12, v6
	v_fma_f32 v1, -v1, v11, v10
	v_div_fmas_f32 v1, v1, v6, v11
	v_div_fixup_f32 v9, v1, v7, v9
	v_div_scale_f32 v1, s[26:27], v7, v7, v8
	v_rcp_f32_e32 v6, v1
	s_nop 0
	v_fma_f32 v10, -v1, v6, 1.0
	v_fmac_f32_e32 v6, v10, v6
	v_div_scale_f32 v10, vcc, v8, v7, v8
	v_mul_f32_e32 v11, v10, v6
	v_fma_f32 v12, -v1, v11, v10
	v_fmac_f32_e32 v11, v12, v6
	v_fma_f32 v1, -v1, v11, v10
	v_div_fmas_f32 v1, v1, v6, v11
	v_div_fixup_f32 v8, v1, v7, v8
	v_mov_b32_e32 v6, 0
	global_store_dwordx2 v[16:17], v[8:9], off
.LBB24_252:                             ;   in Loop: Header=BB24_14 Depth=1
	s_or_b64 exec, exec, s[4:5]
	s_movk_i32 s4, 0x47
	v_cmp_gt_i32_e32 vcc, s4, v6
	s_mov_b64 s[4:5], -1
	s_and_saveexec_b64 s[26:27], vcc
; %bb.253:                              ;   in Loop: Header=BB24_14 Depth=1
	v_cmp_eq_u32_e32 vcc, 0, v6
	s_orn2_b64 s[4:5], vcc, exec
; %bb.254:                              ;   in Loop: Header=BB24_14 Depth=1
	s_or_b64 exec, exec, s[26:27]
	s_and_b64 exec, exec, s[4:5]
	s_cbranch_execz .LBB24_12
; %bb.255:                              ;   in Loop: Header=BB24_14 Depth=1
	v_add_u32_e32 v1, s84, v141
	v_cmp_gt_i32_e32 vcc, s52, v1
	v_mov_b32_e32 v6, 0x47
	s_and_saveexec_b64 s[4:5], vcc
	s_cbranch_execz .LBB24_257
; %bb.256:                              ;   in Loop: Header=BB24_14 Depth=1
	v_add_u32_e32 v14, 0, v159
	v_add_u32_e32 v12, v118, v159
	ds_read2_b32 v[6:7], v14 offset0:64 offset1:65
	ds_read2st64_b32 v[8:9], v12 offset1:17
	ds_read2st64_b32 v[10:11], v14 offset0:18 offset1:35
	ds_read2st64_b32 v[12:13], v12 offset0:34 offset1:51
	ds_read_b32 v14, v14 offset:13312
	v_readlane_b32 s23, v220, 39
	s_waitcnt lgkmcnt(3)
	v_cvt_f32_f16_e32 v18, v8
	v_cvt_f32_f16_sdwa v19, v8 dst_sel:DWORD dst_unused:UNUSED_PAD src0_sel:WORD_1
	v_cvt_f32_f16_e32 v8, v9
	v_cvt_f32_f16_sdwa v9, v9 dst_sel:DWORD dst_unused:UNUSED_PAD src0_sel:WORD_1
	v_mad_u64_u32 v[16:17], s[26:27], s23, v1, v[54:55]
	v_pk_fma_f32 v[18:19], v[6:7], v[18:19], 0 op_sel_hi:[0,1,0]
	s_waitcnt lgkmcnt(2)
	v_pk_fma_f32 v[8:9], v[10:11], v[8:9], v[18:19] op_sel_hi:[0,1,1]
	s_waitcnt lgkmcnt(1)
	v_cvt_f32_f16_e32 v18, v12
	v_cvt_f32_f16_sdwa v19, v12 dst_sel:DWORD dst_unused:UNUSED_PAD src0_sel:WORD_1
	v_mov_b32_e32 v6, v11
	v_cvt_f32_f16_e32 v10, v13
	v_cvt_f32_f16_sdwa v11, v13 dst_sel:DWORD dst_unused:UNUSED_PAD src0_sel:WORD_1
	v_readlane_b32 s26, v220, 55
	v_pk_fma_f32 v[8:9], v[6:7], v[18:19], v[8:9] op_sel_hi:[0,1,1]
	v_ashrrev_i32_e32 v17, 31, v16
	v_readlane_b32 s27, v220, 56
	s_waitcnt lgkmcnt(0)
	v_pk_fma_f32 v[8:9], v[14:15], v[10:11], v[8:9] op_sel_hi:[0,1,1]
	v_lshl_add_u64 v[16:17], v[16:17], 3, s[26:27]
	v_div_scale_f32 v1, s[26:27], v7, v7, v9
	v_rcp_f32_e32 v6, v1
	s_nop 0
	v_fma_f32 v10, -v1, v6, 1.0
	v_fmac_f32_e32 v6, v10, v6
	v_div_scale_f32 v10, vcc, v9, v7, v9
	v_mul_f32_e32 v11, v10, v6
	v_fma_f32 v12, -v1, v11, v10
	v_fmac_f32_e32 v11, v12, v6
	v_fma_f32 v1, -v1, v11, v10
	v_div_fmas_f32 v1, v1, v6, v11
	v_div_fixup_f32 v9, v1, v7, v9
	v_div_scale_f32 v1, s[26:27], v7, v7, v8
	v_rcp_f32_e32 v6, v1
	s_nop 0
	v_fma_f32 v10, -v1, v6, 1.0
	v_fmac_f32_e32 v6, v10, v6
	v_div_scale_f32 v10, vcc, v8, v7, v8
	v_mul_f32_e32 v11, v10, v6
	v_fma_f32 v12, -v1, v11, v10
	v_fmac_f32_e32 v11, v12, v6
	v_fma_f32 v1, -v1, v11, v10
	v_div_fmas_f32 v1, v1, v6, v11
	v_div_fixup_f32 v8, v1, v7, v8
	v_mov_b32_e32 v6, 0
	global_store_dwordx2 v[16:17], v[8:9], off
.LBB24_257:                             ;   in Loop: Header=BB24_14 Depth=1
	s_or_b64 exec, exec, s[4:5]
	s_movk_i32 s4, 0x47
	v_cmp_gt_i32_e32 vcc, s4, v6
	s_mov_b64 s[4:5], -1
	s_and_saveexec_b64 s[26:27], vcc
; %bb.258:                              ;   in Loop: Header=BB24_14 Depth=1
	v_cmp_eq_u32_e32 vcc, 0, v6
	s_orn2_b64 s[4:5], vcc, exec
; %bb.259:                              ;   in Loop: Header=BB24_14 Depth=1
	s_or_b64 exec, exec, s[26:27]
	s_and_b64 exec, exec, s[4:5]
	s_cbranch_execz .LBB24_12
; %bb.260:                              ;   in Loop: Header=BB24_14 Depth=1
	v_add_u32_e32 v1, s84, v142
	v_cmp_gt_i32_e32 vcc, s52, v1
	v_mov_b32_e32 v6, 0x47
	s_and_saveexec_b64 s[4:5], vcc
	s_cbranch_execz .LBB24_262
; %bb.261:                              ;   in Loop: Header=BB24_14 Depth=1
	v_add_u32_e32 v14, 0, v160
	v_add_u32_e32 v12, v118, v160
	ds_read2_b32 v[6:7], v14 offset0:64 offset1:65
	ds_read2st64_b32 v[8:9], v12 offset1:17
	ds_read2st64_b32 v[10:11], v14 offset0:18 offset1:35
	ds_read2st64_b32 v[12:13], v12 offset0:34 offset1:51
	ds_read_b32 v14, v14 offset:13312
	v_readlane_b32 s23, v220, 39
	s_waitcnt lgkmcnt(3)
	v_cvt_f32_f16_e32 v18, v8
	v_cvt_f32_f16_sdwa v19, v8 dst_sel:DWORD dst_unused:UNUSED_PAD src0_sel:WORD_1
	v_cvt_f32_f16_e32 v8, v9
	v_cvt_f32_f16_sdwa v9, v9 dst_sel:DWORD dst_unused:UNUSED_PAD src0_sel:WORD_1
	v_mad_u64_u32 v[16:17], s[26:27], s23, v1, v[54:55]
	v_pk_fma_f32 v[18:19], v[6:7], v[18:19], 0 op_sel_hi:[0,1,0]
	s_waitcnt lgkmcnt(2)
	v_pk_fma_f32 v[8:9], v[10:11], v[8:9], v[18:19] op_sel_hi:[0,1,1]
	s_waitcnt lgkmcnt(1)
	v_cvt_f32_f16_e32 v18, v12
	v_cvt_f32_f16_sdwa v19, v12 dst_sel:DWORD dst_unused:UNUSED_PAD src0_sel:WORD_1
	v_mov_b32_e32 v6, v11
	v_cvt_f32_f16_e32 v10, v13
	v_cvt_f32_f16_sdwa v11, v13 dst_sel:DWORD dst_unused:UNUSED_PAD src0_sel:WORD_1
	v_readlane_b32 s26, v220, 55
	v_pk_fma_f32 v[8:9], v[6:7], v[18:19], v[8:9] op_sel_hi:[0,1,1]
	v_ashrrev_i32_e32 v17, 31, v16
	v_readlane_b32 s27, v220, 56
	s_waitcnt lgkmcnt(0)
	v_pk_fma_f32 v[8:9], v[14:15], v[10:11], v[8:9] op_sel_hi:[0,1,1]
	v_lshl_add_u64 v[16:17], v[16:17], 3, s[26:27]
	v_div_scale_f32 v1, s[26:27], v7, v7, v9
	v_rcp_f32_e32 v6, v1
	s_nop 0
	v_fma_f32 v10, -v1, v6, 1.0
	v_fmac_f32_e32 v6, v10, v6
	v_div_scale_f32 v10, vcc, v9, v7, v9
	v_mul_f32_e32 v11, v10, v6
	v_fma_f32 v12, -v1, v11, v10
	v_fmac_f32_e32 v11, v12, v6
	v_fma_f32 v1, -v1, v11, v10
	v_div_fmas_f32 v1, v1, v6, v11
	v_div_fixup_f32 v9, v1, v7, v9
	v_div_scale_f32 v1, s[26:27], v7, v7, v8
	v_rcp_f32_e32 v6, v1
	s_nop 0
	v_fma_f32 v10, -v1, v6, 1.0
	v_fmac_f32_e32 v6, v10, v6
	v_div_scale_f32 v10, vcc, v8, v7, v8
	v_mul_f32_e32 v11, v10, v6
	v_fma_f32 v12, -v1, v11, v10
	v_fmac_f32_e32 v11, v12, v6
	v_fma_f32 v1, -v1, v11, v10
	v_div_fmas_f32 v1, v1, v6, v11
	v_div_fixup_f32 v8, v1, v7, v8
	v_mov_b32_e32 v6, 0
	global_store_dwordx2 v[16:17], v[8:9], off
.LBB24_262:                             ;   in Loop: Header=BB24_14 Depth=1
	s_or_b64 exec, exec, s[4:5]
	s_movk_i32 s4, 0x47
	v_cmp_gt_i32_e32 vcc, s4, v6
	s_mov_b64 s[4:5], -1
	s_and_saveexec_b64 s[26:27], vcc
; %bb.263:                              ;   in Loop: Header=BB24_14 Depth=1
	v_cmp_eq_u32_e32 vcc, 0, v6
	s_orn2_b64 s[4:5], vcc, exec
; %bb.264:                              ;   in Loop: Header=BB24_14 Depth=1
	s_or_b64 exec, exec, s[26:27]
	s_and_b64 exec, exec, s[4:5]
	s_cbranch_execz .LBB24_12
; %bb.265:                              ;   in Loop: Header=BB24_14 Depth=1
	v_add_u32_e32 v1, s84, v143
	v_cmp_gt_i32_e32 vcc, s52, v1
	s_and_b64 exec, exec, vcc
	s_cbranch_execz .LBB24_12
; %bb.266:                              ;   in Loop: Header=BB24_14 Depth=1
	v_add_u32_e32 v14, 0, v161
	v_add_u32_e32 v12, v118, v161
	ds_read2_b32 v[6:7], v14 offset0:64 offset1:65
	ds_read2st64_b32 v[8:9], v12 offset1:17
	ds_read2st64_b32 v[10:11], v14 offset0:18 offset1:35
	ds_read2st64_b32 v[12:13], v12 offset0:34 offset1:51
	ds_read_b32 v14, v14 offset:13312
	v_readlane_b32 s4, v220, 39
	s_waitcnt lgkmcnt(3)
	v_cvt_f32_f16_e32 v18, v8
	v_cvt_f32_f16_sdwa v19, v8 dst_sel:DWORD dst_unused:UNUSED_PAD src0_sel:WORD_1
	v_cvt_f32_f16_e32 v8, v9
	v_cvt_f32_f16_sdwa v9, v9 dst_sel:DWORD dst_unused:UNUSED_PAD src0_sel:WORD_1
	v_mad_u64_u32 v[16:17], s[4:5], s4, v1, v[54:55]
	v_pk_fma_f32 v[18:19], v[6:7], v[18:19], 0 op_sel_hi:[0,1,0]
	s_waitcnt lgkmcnt(2)
	v_pk_fma_f32 v[8:9], v[10:11], v[8:9], v[18:19] op_sel_hi:[0,1,1]
	s_waitcnt lgkmcnt(1)
	v_cvt_f32_f16_e32 v18, v12
	v_cvt_f32_f16_sdwa v19, v12 dst_sel:DWORD dst_unused:UNUSED_PAD src0_sel:WORD_1
	v_mov_b32_e32 v6, v11
	v_cvt_f32_f16_e32 v10, v13
	v_cvt_f32_f16_sdwa v11, v13 dst_sel:DWORD dst_unused:UNUSED_PAD src0_sel:WORD_1
	v_readlane_b32 s4, v220, 55
	v_pk_fma_f32 v[8:9], v[6:7], v[18:19], v[8:9] op_sel_hi:[0,1,1]
	v_ashrrev_i32_e32 v17, 31, v16
	v_readlane_b32 s5, v220, 56
	s_waitcnt lgkmcnt(0)
	v_pk_fma_f32 v[8:9], v[14:15], v[10:11], v[8:9] op_sel_hi:[0,1,1]
	v_lshl_add_u64 v[16:17], v[16:17], 3, s[4:5]
	v_div_scale_f32 v1, s[4:5], v7, v7, v9
	v_rcp_f32_e32 v6, v1
	s_nop 0
	v_fma_f32 v10, -v1, v6, 1.0
	v_fmac_f32_e32 v6, v10, v6
	v_div_scale_f32 v10, vcc, v9, v7, v9
	v_mul_f32_e32 v11, v10, v6
	v_fma_f32 v12, -v1, v11, v10
	v_fmac_f32_e32 v11, v12, v6
	v_fma_f32 v1, -v1, v11, v10
	v_div_fmas_f32 v1, v1, v6, v11
	v_div_fixup_f32 v9, v1, v7, v9
	v_div_scale_f32 v1, s[4:5], v7, v7, v8
	v_rcp_f32_e32 v6, v1
	s_nop 0
	v_fma_f32 v10, -v1, v6, 1.0
	v_fmac_f32_e32 v6, v10, v6
	v_div_scale_f32 v10, vcc, v8, v7, v8
	v_mul_f32_e32 v11, v10, v6
	v_fma_f32 v12, -v1, v11, v10
	v_fmac_f32_e32 v11, v12, v6
	v_fma_f32 v1, -v1, v11, v10
	v_div_fmas_f32 v1, v1, v6, v11
	v_div_fixup_f32 v8, v1, v7, v8
	global_store_dwordx2 v[16:17], v[8:9], off
	s_branch .LBB24_12
.LBB24_267:
	v_readlane_b32 s12, v220, 24
	v_readlane_b32 s60, v220, 18
	;; [unrolled: 1-line block ×10, first 2 shown]
	s_andn2_b64 vcc, exec, s[4:5]
	s_cbranch_vccnz .LBB24_10
.LBB24_268:
	v_readlane_b32 s7, v220, 7
	s_abs_i32 s0, s7
	v_cvt_f32_u32_e32 v1, s0
	s_sub_i32 s3, 0, s0
	s_abs_i32 s2, s78
	s_xor_b32 s1, s78, s7
	v_rcp_iflag_f32_e32 v1, v1
	s_ashr_i32 s1, s1, 31
	v_readlane_b32 s8, v220, 6
	v_readlane_b32 s9, v220, 3
	v_mul_f32_e32 v1, 0x4f7ffffe, v1
	v_cvt_u32_f32_e32 v1, v1
	s_nop 0
	v_readfirstlane_b32 s4, v1
	s_mul_i32 s3, s3, s4
	s_mul_hi_u32 s3, s4, s3
	s_add_i32 s4, s4, s3
	s_mul_hi_u32 s3, s2, s4
	s_mul_i32 s4, s3, s0
	s_sub_i32 s2, s2, s4
	s_add_i32 s5, s3, 1
	s_sub_i32 s4, s2, s0
	s_cmp_ge_u32 s2, s0
	s_cselect_b32 s3, s5, s3
	s_cselect_b32 s2, s4, s2
	s_add_i32 s4, s3, 1
	s_cmp_ge_u32 s2, s0
	s_cselect_b32 s0, s4, s3
	s_abs_i32 s2, s8
	v_cvt_f32_u32_e32 v1, s2
	s_xor_b32 s0, s0, s1
	s_sub_i32 s3, 0, s2
	s_sub_i32 s6, s0, s1
	v_rcp_iflag_f32_e32 v1, v1
	s_mul_i32 s0, s6, s7
	s_sub_i32 s0, s78, s0
	s_abs_i32 s4, s0
	v_mul_f32_e32 v1, 0x4f7ffffe, v1
	v_cvt_u32_f32_e32 v1, v1
	s_xor_b32 s1, s0, s8
	s_ashr_i32 s1, s1, 31
	v_readfirstlane_b32 s5, v1
	s_mul_i32 s3, s3, s5
	s_mul_hi_u32 s3, s5, s3
	s_add_i32 s5, s5, s3
	s_mul_hi_u32 s3, s4, s5
	s_mul_i32 s5, s3, s2
	s_sub_i32 s4, s4, s5
	s_add_i32 s7, s3, 1
	s_sub_i32 s5, s4, s2
	s_cmp_ge_u32 s4, s2
	s_cselect_b32 s3, s7, s3
	s_cselect_b32 s4, s5, s4
	s_add_i32 s5, s3, 1
	s_cmp_ge_u32 s4, s2
	s_cselect_b32 s2, s5, s3
	s_abs_i32 s3, s9
	v_cvt_f32_u32_e32 v1, s3
	s_xor_b32 s2, s2, s1
	s_sub_i32 s4, 0, s3
	s_sub_i32 s7, s2, s1
	v_rcp_iflag_f32_e32 v1, v1
	s_mul_i32 s1, s7, s8
	s_sub_i32 s1, s0, s1
	s_abs_i32 s2, s1
	v_mul_f32_e32 v1, 0x4f7ffffe, v1
	v_cvt_u32_f32_e32 v1, v1
	s_xor_b32 s0, s1, s9
	s_ashr_i32 s0, s0, 31
	v_readfirstlane_b32 s5, v1
	s_mul_i32 s4, s4, s5
	s_mul_hi_u32 s4, s5, s4
	s_add_i32 s5, s5, s4
	s_mul_hi_u32 s4, s2, s5
	s_mul_i32 s5, s4, s3
	s_sub_i32 s2, s2, s5
	s_add_i32 s8, s4, 1
	s_sub_i32 s5, s2, s3
	s_cmp_ge_u32 s2, s3
	s_cselect_b32 s4, s8, s4
	s_cselect_b32 s2, s5, s2
	s_add_i32 s5, s4, 1
	s_cmp_ge_u32 s2, s3
	s_cselect_b32 s2, s5, s4
	s_xor_b32 s2, s2, s0
	s_sub_i32 s0, s2, s0
	s_mul_i32 s2, s0, s9
	s_sub_i32 s1, s1, s2
	s_abs_i32 s10, s1
	s_ashr_i32 s8, s6, 31
	s_mul_hi_u32 s9, s10, s58
	s_cmp_eq_u64 s[42:43], 0
	s_mov_b64 s[2:3], 0
	s_cbranch_scc1 .LBB24_270
; %bb.269:
	s_abs_i32 s2, s18
	v_cvt_f32_u32_e32 v1, s2
	s_sub_i32 s4, 0, s2
	s_abs_i32 s3, s6
	v_readlane_b32 s16, v220, 13
	v_rcp_iflag_f32_e32 v1, v1
	v_readlane_b32 s17, v220, 14
	v_mul_f32_e32 v1, 0x4f7ffffe, v1
	v_cvt_u32_f32_e32 v1, v1
	s_nop 0
	v_readfirstlane_b32 s5, v1
	s_mul_i32 s4, s4, s5
	s_mul_hi_u32 s4, s5, s4
	s_add_i32 s5, s5, s4
	s_mul_hi_u32 s4, s3, s5
	s_mul_i32 s4, s4, s2
	s_sub_i32 s3, s3, s4
	s_sub_i32 s4, s3, s2
	s_cmp_ge_u32 s3, s2
	s_cselect_b32 s3, s4, s3
	s_sub_i32 s4, s3, s2
	s_cmp_ge_u32 s3, s2
	s_cselect_b32 s2, s4, s3
	s_xor_b32 s2, s2, s8
	s_sub_i32 s2, s2, s8
	s_ashr_i32 s3, s2, 31
	s_mul_hi_u32 s4, s16, s2
	s_mul_i32 s3, s16, s3
	s_mul_i32 s5, s17, s2
	s_add_i32 s3, s4, s3
	s_add_i32 s3, s3, s5
	s_mul_i32 s2, s16, s2
	s_add_u32 s2, s42, s2
	s_addc_u32 s3, s43, s3
.LBB24_270:
	s_ashr_i32 s12, s1, 31
	v_readlane_b32 s1, v220, 2
	s_mul_i32 s11, s7, s1
	s_add_i32 s11, s11, s0
	v_cmp_le_f32_e64 s[0:1], s13, 0
	s_and_b64 vcc, exec, s[0:1]
	v_mov_b32_e32 v26, 1.0
	s_cbranch_vccnz .LBB24_272
; %bb.271:
	v_readlane_b32 s0, v220, 12
	v_mov_b32_e32 v2, s15
	v_mov_b32_e32 v3, s14
	;; [unrolled: 1-line block ×3, first 2 shown]
	v_sub_co_u32_e32 v1, vcc, s11, v1
	s_add_i32 s0, s11, 1
	v_lshlrev_b32_e32 v1, 1, v1
	v_cndmask_b32_e32 v2, v2, v3, vcc
	v_or_b32_e32 v1, 1, v1
	v_mov_b32_e32 v3, s0
	v_cndmask_b32_e32 v1, v1, v3, vcc
	v_cvt_f32_i32_e32 v1, v1
	v_cmp_neq_f32_e32 vcc, 1.0, v2
	s_mov_b32 s0, 0x3f2aaaab
	s_movk_i32 s4, 0x204
	v_cndmask_b32_e32 v1, 1.0, v1, vcc
	v_cmp_neq_f32_e32 vcc, 0, v1
	s_mov_b32 s1, 0x42b17218
	s_mov_b32 s5, 0x3fb8aa3b
	v_cndmask_b32_e32 v18, 1.0, v2, vcc
	v_frexp_mant_f32_e64 v2, |v18|
	v_cmp_gt_f32_e32 vcc, s0, v2
	s_mov_b32 s0, 0x3f317218
	s_brev_b32 s13, -2
	v_cndmask_b32_e64 v3, 1.0, 2.0, vcc
	v_mul_f32_e32 v2, v2, v3
	v_add_f32_e32 v5, 1.0, v2
	v_rcp_f32_e32 v10, v5
	v_add_f32_e32 v3, -1.0, v5
	v_sub_f32_e32 v7, v2, v3
	v_add_f32_e32 v3, -1.0, v2
	v_mul_f32_e32 v11, v3, v10
	v_mul_f32_e32 v4, v5, v11
	v_fma_f32 v6, v11, v5, -v4
	v_fmac_f32_e32 v6, v11, v7
	v_add_f32_e32 v2, v4, v6
	v_sub_f32_e32 v5, v3, v2
	v_pk_add_f32 v[8:9], v[2:3], v[4:5] neg_lo:[0,1] neg_hi:[0,1]
	v_mov_b32_e32 v7, v2
	v_pk_add_f32 v[2:3], v[8:9], v[6:7] neg_lo:[0,1] neg_hi:[0,1]
	v_mov_b32_e32 v6, 0x3e91f4c4
	v_add_f32_e32 v2, v2, v3
	v_add_f32_e32 v2, v5, v2
	v_mul_f32_e32 v3, v10, v2
	v_add_f32_e32 v2, v11, v3
	v_sub_f32_e32 v4, v2, v11
	v_sub_f32_e32 v12, v3, v4
	v_mul_f32_e32 v3, v2, v2
	v_fma_f32 v5, v2, v2, -v3
	v_add_f32_e32 v4, v12, v12
	v_fmac_f32_e32 v5, v2, v4
	v_add_f32_e32 v4, v3, v5
	v_fmac_f32_e32 v6, 0x3e76c4e1, v4
	v_fmaak_f32 v6, v4, v6, 0x3ecccdef
	v_sub_f32_e32 v3, v4, v3
	v_sub_f32_e32 v13, v5, v3
	v_mul_f32_e32 v3, v4, v6
	v_fma_f32 v5, v4, v6, -v3
	v_fmac_f32_e32 v5, v13, v6
	v_add_f32_e32 v6, v3, v5
	v_add_f32_e32 v7, 0x3f2aaaaa, v6
	v_sub_f32_e32 v3, v6, v3
	v_sub_f32_e32 v3, v5, v3
	v_add_f32_e32 v5, 0xbf2aaaaa, v7
	v_add_f32_e32 v3, 0x31739010, v3
	v_sub_f32_e32 v5, v6, v5
	v_pk_mul_f32 v[8:9], v[2:3], v[4:5]
	v_pk_add_f32 v[10:11], v[2:3], v[4:5]
	v_fma_f32 v6, v4, v2, -v8
	v_fmac_f32_e32 v6, v4, v12
	v_mov_b32_e32 v9, v11
	v_fmac_f32_e32 v6, v13, v2
	v_pk_add_f32 v[4:5], v[8:9], v[6:7]
	v_ldexp_f32 v14, v12, 1
	v_sub_f32_e32 v3, v4, v8
	v_sub_f32_e32 v3, v6, v3
	;; [unrolled: 1-line block ×3, first 2 shown]
	v_add_f32_e32 v9, v11, v6
	v_pk_mul_f32 v[6:7], v[4:5], v[4:5] op_sel:[0,1] op_sel_hi:[1,0]
	v_cvt_f64_f32_e64 v[10:11], |v18|
	v_frexp_exp_i32_f64_e32 v7, v[10:11]
	v_subbrev_co_u32_e32 v7, vcc, 0, v7, vcc
	v_cvt_f32_i32_e32 v7, v7
	v_fma_f32 v8, v4, v5, -v6
	v_fmac_f32_e32 v8, v4, v9
	v_fmac_f32_e32 v8, v3, v5
	v_mul_f32_e32 v4, 0x3f317218, v7
	v_fma_f32 v3, v7, s0, -v4
	v_fmamk_f32 v10, v7, 0xb102e308, v3
	v_ldexp_f32 v11, v2, 1
	v_add_f32_e32 v5, v6, v8
	v_pk_add_f32 v[2:3], v[4:5], v[10:11]
	v_mov_b32_e32 v12, v5
	v_mov_b32_e32 v13, v3
	;; [unrolled: 1-line block ×3, first 2 shown]
	v_pk_add_f32 v[6:7], v[12:13], v[6:7] neg_lo:[0,1] neg_hi:[0,1]
	v_mov_b32_e32 v9, v5
	v_pk_add_f32 v[6:7], v[8:9], v[6:7] neg_lo:[0,1] neg_hi:[0,1]
	v_mov_b32_e32 v11, v2
	v_add_f32_e32 v5, v14, v6
	v_add_f32_e32 v5, v5, v7
	v_pk_add_f32 v[6:7], v[2:3], v[4:5] neg_lo:[0,1] neg_hi:[0,1]
	v_pk_add_f32 v[8:9], v[2:3], v[4:5]
	v_mov_b32_e32 v16, v3
	v_mov_b32_e32 v7, v9
	v_pk_add_f32 v[12:13], v[10:11], v[6:7] neg_lo:[0,1] neg_hi:[0,1]
	v_pk_add_f32 v[6:7], v[10:11], v[6:7]
	v_mov_b32_e32 v4, v5
	v_pk_add_f32 v[10:11], v[6:7], v[2:3] op_sel:[1,0] op_sel_hi:[0,1] neg_lo:[0,1] neg_hi:[0,1]
	v_pk_add_f32 v[14:15], v[8:9], v[10:11] op_sel_hi:[1,0] neg_lo:[0,1] neg_hi:[0,1]
	v_mov_b32_e32 v8, v9
	v_mov_b32_e32 v9, v7
	;; [unrolled: 1-line block ×3, first 2 shown]
	v_pk_add_f32 v[8:9], v[8:9], v[16:17] neg_lo:[0,1] neg_hi:[0,1]
	v_mov_b32_e32 v5, v2
	v_pk_add_f32 v[2:3], v[4:5], v[8:9] neg_lo:[0,1] neg_hi:[0,1]
	v_mov_b32_e32 v14, v12
	v_pk_add_f32 v[4:5], v[14:15], v[2:3]
	v_mov_b32_e32 v13, v7
	v_pk_add_f32 v[8:9], v[4:5], v[4:5] op_sel:[0,1] op_sel_hi:[1,0]
	s_mov_b32 s0, 0x7f800000
	v_pk_add_f32 v[6:7], v[6:7], v[8:9] op_sel:[1,0] op_sel_hi:[0,1]
	v_mov_b32_e32 v5, v6
	v_pk_add_f32 v[10:11], v[4:5], v[12:13] neg_lo:[0,1] neg_hi:[0,1]
	v_mov_b32_e32 v3, v8
	v_sub_f32_e32 v4, v4, v10
	v_pk_add_f32 v[2:3], v[2:3], v[10:11] neg_lo:[0,1] neg_hi:[0,1]
	v_sub_f32_e32 v4, v12, v4
	v_add_f32_e32 v2, v2, v4
	v_add_f32_e32 v2, v2, v3
	;; [unrolled: 1-line block ×3, first 2 shown]
	v_sub_f32_e32 v4, v3, v6
	v_sub_f32_e32 v2, v2, v4
	v_mul_f32_e32 v4, v1, v3
	v_fma_f32 v3, v1, v3, -v4
	v_fmac_f32_e32 v3, v1, v2
	v_add_f32_e32 v2, v4, v3
	v_cmp_class_f32_e64 vcc, v4, s4
	v_sub_f32_e32 v5, v2, v4
	v_sub_f32_e32 v3, v3, v5
	v_cndmask_b32_e32 v2, v2, v4, vcc
	v_mov_b32_e32 v4, 0x37000000
	v_cmp_eq_f32_e32 vcc, s1, v2
	v_cmp_class_f32_e64 s[14:15], v18, s4
	s_nop 0
	v_cndmask_b32_e32 v4, 0, v4, vcc
	v_sub_f32_e32 v5, v2, v4
	v_mul_f32_e32 v6, 0x3fb8aa3b, v5
	v_fma_f32 v7, v5, s5, -v6
	v_rndne_f32_e32 v8, v6
	v_fmamk_f32 v7, v5, 0x32a5705f, v7
	v_sub_f32_e32 v6, v6, v8
	v_add_f32_e32 v6, v6, v7
	v_exp_f32_e32 v6, v6
	v_cvt_i32_f32_e32 v7, v8
	v_cmp_neq_f32_e64 vcc, |v2|, s0
	s_mov_b32 s0, 0xc2ce8ed0
	s_nop 0
	v_cndmask_b32_e32 v2, 0, v3, vcc
	v_ldexp_f32 v3, v6, v7
	v_cmp_ngt_f32_e32 vcc, s0, v5
	v_add_f32_e32 v2, v4, v2
	v_mov_b32_e32 v4, 0x7f800000
	v_cndmask_b32_e32 v3, 0, v3, vcc
	v_cmp_nlt_f32_e32 vcc, s1, v5
	v_mov_b32_e32 v5, 0x7fc00000
	s_nop 0
	v_cndmask_b32_e32 v3, v4, v3, vcc
	v_fma_f32 v2, v3, v2, v3
	v_cmp_class_f32_e64 vcc, v3, s4
	v_cmp_gt_f32_e64 s[4:5], 0, v1
	s_nop 0
	v_cndmask_b32_e32 v2, v2, v3, vcc
	v_trunc_f32_e32 v3, v1
	v_cmp_eq_f32_e32 vcc, v3, v1
	v_mul_f32_e32 v3, 0.5, v1
	v_trunc_f32_e32 v6, v3
	v_cmp_neq_f32_e64 s[0:1], v6, v3
	s_and_b64 s[0:1], vcc, s[0:1]
	s_nop 0
	v_cndmask_b32_e64 v3, 1.0, v18, s[0:1]
	v_bfi_b32 v2, s13, v2, v3
	v_cndmask_b32_e32 v3, v5, v2, vcc
	v_cmp_gt_f32_e32 vcc, 0, v18
	s_nop 1
	v_cndmask_b32_e32 v2, v2, v3, vcc
	v_cmp_eq_f32_e32 vcc, 0, v18
	s_xor_b64 s[4:5], s[4:5], vcc
	v_cndmask_b32_e64 v1, v4, 0, s[4:5]
	v_cndmask_b32_e64 v3, 0, v18, s[0:1]
	v_bfi_b32 v1, s13, v1, v3
	s_or_b64 vcc, vcc, s[14:15]
	v_cndmask_b32_e32 v1, v2, v1, vcc
	v_cmp_o_f32_e32 vcc, v18, v18
	s_nop 1
	v_cndmask_b32_e32 v26, v5, v1, vcc
.LBB24_272:
	s_mul_i32 s1, s9, s85
	v_readlane_b32 s0, v220, 17
	s_sub_i32 s1, s10, s1
	s_xor_b32 s0, s12, s0
	s_add_i32 s4, s9, 1
	s_sub_i32 s5, s1, s85
	s_cmp_ge_u32 s1, s85
	s_cselect_b32 s4, s4, s9
	s_cselect_b32 s1, s5, s1
	s_add_i32 s5, s4, 1
	s_cmp_ge_u32 s1, s85
	s_cselect_b32 s1, s5, s4
	s_xor_b32 s1, s1, s0
	s_sub_i32 s4, s1, s0
	s_cmp_eq_u64 s[46:47], 0
	v_mov_b32_e32 v16, s62
	s_cbranch_scc1 .LBB24_274
; %bb.273:
	v_readlane_b32 s0, v220, 0
	s_mul_i32 s0, s6, s0
	s_add_i32 s0, s4, s0
	s_ashr_i32 s1, s0, 31
	s_lshl_b64 s[0:1], s[0:1], 2
	s_add_u32 s0, s46, s0
	s_addc_u32 s1, s47, s1
	v_mov_b32_e32 v1, 0
	global_load_dword v1, v1, s[0:1]
	s_waitcnt vmcnt(0)
	v_ashrrev_i32_e32 v2, 31, v1
	v_lshrrev_b32_e32 v2, 26, v2
	v_add_u32_e32 v1, v1, v2
	v_ashrrev_i32_e32 v1, 6, v1
	v_min_i32_e32 v16, s62, v1
.LBB24_274:
	v_readlane_b32 s12, v220, 8
	v_readlane_b32 s13, v220, 9
	s_mul_i32 s0, s6, s13
	s_ashr_i32 s1, s0, 31
	s_add_u32 s0, s36, s0
	s_mul_i32 s11, s11, s12
	s_addc_u32 s1, s37, s1
	s_ashr_i32 s5, s11, 31
	s_add_u32 s0, s0, s11
	s_addc_u32 s1, s1, s5
	s_lshl_b32 s9, s4, 4
	v_and_b32_e32 v32, 0x3ff, v0
	v_add_u32_e32 v84, s9, v113
	s_mov_b32 s10, 0x10001
	v_lshl_add_u32 v33, v32, 2, 0
	v_cmp_le_i32_e32 vcc, s52, v84
	s_and_saveexec_b64 s[4:5], vcc
	s_xor_b64 s[4:5], exec, s[4:5]
; %bb.275:
	s_movk_i32 s11, 0x110
	v_mad_u32_u24 v0, v113, s11, v33
	v_mov_b32_e32 v1, 0
	ds_write_b32 v0, v1
; %bb.276:
	s_or_saveexec_b64 s[4:5], s[4:5]
	v_mul_lo_u32 v0, v117, s10
	s_xor_b64 exec, exec, s[4:5]
	s_cbranch_execz .LBB24_278
; %bb.277:
	v_mad_u64_u32 v[2:3], s[10:11], v84, s93, v[32:33]
	v_ashrrev_i32_e32 v3, 31, v2
	v_lshl_add_u64 v[2:3], v[2:3], 3, s[0:1]
	global_load_dwordx2 v[2:3], v[2:3], off
	s_movk_i32 s10, 0x110
	s_waitcnt vmcnt(0)
	v_cvt_pk_f16_f32 v1, v2, v3
	v_pk_mul_f16 v1, v1, v0
	v_mad_u32_u24 v2, v113, s10, v33
	ds_write_b32 v2, v1
.LBB24_278:
	s_or_b64 exec, exec, s[4:5]
	v_add_u32_e32 v85, s9, v116
	v_cmp_le_i32_e32 vcc, s52, v85
	s_and_saveexec_b64 s[4:5], vcc
	s_xor_b64 s[4:5], exec, s[4:5]
; %bb.279:
	s_movk_i32 s10, 0x110
	v_mad_u32_u24 v1, v116, s10, v33
	v_mov_b32_e32 v2, 0
	ds_write_b32 v1, v2
                                        ; implicit-def: $vgpr116
; %bb.280:
	s_andn2_saveexec_b64 s[4:5], s[4:5]
	s_cbranch_execz .LBB24_282
; %bb.281:
	v_mad_u64_u32 v[2:3], s[10:11], v85, s93, v[32:33]
	v_ashrrev_i32_e32 v3, 31, v2
	v_lshl_add_u64 v[2:3], v[2:3], 3, s[0:1]
	global_load_dwordx2 v[2:3], v[2:3], off
	s_movk_i32 s10, 0x110
	s_waitcnt vmcnt(0)
	v_cvt_pk_f16_f32 v1, v2, v3
	v_pk_mul_f16 v1, v1, v0
	v_mad_u32_u24 v2, v116, s10, v33
	ds_write_b32 v2, v1
.LBB24_282:
	s_or_b64 exec, exec, s[4:5]
	v_add_u32_e32 v86, s9, v59
	v_cmp_le_i32_e32 vcc, s52, v86
	s_and_saveexec_b64 s[4:5], vcc
	s_xor_b64 s[4:5], exec, s[4:5]
; %bb.283:
	s_movk_i32 s10, 0x110
	v_mad_u32_u24 v1, v59, s10, v33
	v_mov_b32_e32 v2, 0
	ds_write_b32 v1, v2
                                        ; implicit-def: $vgpr59
; %bb.284:
	s_andn2_saveexec_b64 s[4:5], s[4:5]
	s_cbranch_execz .LBB24_286
; %bb.285:
	v_mad_u64_u32 v[2:3], s[10:11], v86, s93, v[32:33]
	v_ashrrev_i32_e32 v3, 31, v2
	v_lshl_add_u64 v[2:3], v[2:3], 3, s[0:1]
	global_load_dwordx2 v[2:3], v[2:3], off
	s_movk_i32 s10, 0x110
	s_waitcnt vmcnt(0)
	v_cvt_pk_f16_f32 v1, v2, v3
	v_pk_mul_f16 v1, v1, v0
	v_mad_u32_u24 v2, v59, s10, v33
	ds_write_b32 v2, v1
.LBB24_286:
	s_or_b64 exec, exec, s[4:5]
	v_add_u32_e32 v87, s9, v55
	v_cmp_le_i32_e32 vcc, s52, v87
	s_and_saveexec_b64 s[4:5], vcc
	s_xor_b64 s[4:5], exec, s[4:5]
; %bb.287:
	s_movk_i32 s9, 0x110
	v_mad_u32_u24 v0, v55, s9, v33
	v_mov_b32_e32 v1, 0
	ds_write_b32 v0, v1
                                        ; implicit-def: $vgpr0
                                        ; implicit-def: $vgpr55
; %bb.288:
	s_andn2_saveexec_b64 s[4:5], s[4:5]
	s_cbranch_execz .LBB24_290
; %bb.289:
	v_mad_u64_u32 v[2:3], s[10:11], v87, s93, v[32:33]
	v_ashrrev_i32_e32 v3, 31, v2
	v_lshl_add_u64 v[2:3], v[2:3], 3, s[0:1]
	global_load_dwordx2 v[2:3], v[2:3], off
	s_movk_i32 s0, 0x110
	s_waitcnt vmcnt(0)
	v_cvt_pk_f16_f32 v1, v2, v3
	v_pk_mul_f16 v0, v1, v0
	v_mad_u32_u24 v1, v55, s0, v33
	ds_write_b32 v1, v0
.LBB24_290:
	s_or_b64 exec, exec, s[4:5]
	s_mul_i32 s0, s76, s8
	s_mul_hi_u32 s1, s76, s6
	s_add_i32 s0, s1, s0
	s_mul_i32 s1, s77, s6
	s_add_i32 s0, s0, s1
	s_mul_i32 s1, s76, s6
	s_add_u32 s1, s40, s1
	s_mul_i32 s4, s7, s59
	s_addc_u32 s0, s41, s0
	s_ashr_i32 s5, s4, 31
	s_add_u32 s31, s1, s4
	s_addc_u32 s33, s0, s5
	s_mul_i32 s0, s56, s8
	s_mul_hi_u32 s1, s56, s6
	s_add_i32 s0, s1, s0
	s_mul_i32 s1, s57, s6
	v_readlane_b32 s4, v220, 15
	s_add_i32 s0, s0, s1
	s_mul_i32 s1, s56, s6
	v_readlane_b32 s5, v220, 16
	s_add_u32 s1, s38, s1
	s_mul_i32 s7, s7, s5
	s_addc_u32 s0, s39, s0
	s_ashr_i32 s4, s7, 31
	s_add_u32 s34, s1, s7
	v_lshrrev_b32_e32 v1, 3, v32
	s_addc_u32 s35, s0, s4
	v_and_b32_e32 v17, 0xff0, v114
	s_movk_i32 s4, 0x110
	v_and_b32_e32 v62, 15, v32
	v_and_b32_e32 v1, 0x7e, v1
	v_mad_u32_u24 v0, v17, s4, 0
	v_mul_u32_u24_e32 v83, 0x110, v62
	v_lshlrev_b32_e32 v63, 2, v1
	v_add3_u32 v0, v0, v83, v63
	s_waitcnt lgkmcnt(0)
	s_barrier
	ds_read2_b64 v[12:15], v0 offset1:4
	ds_read2_b64 v[8:11], v0 offset0:8 offset1:12
	ds_read2_b64 v[4:7], v0 offset0:16 offset1:20
	;; [unrolled: 1-line block ×3, first 2 shown]
	v_add_u32_e32 v90, -1, v16
	v_cmp_ge_i32_e32 vcc, s30, v90
	s_mov_b32 s36, 0
	s_and_b64 vcc, exec, vcc
	v_or_b32_e32 v82, v17, v62
	v_lshlrev_b32_e32 v28, 1, v32
	v_lshrrev_b32_e32 v89, 4, v32
	v_lshlrev_b32_e32 v88, 2, v32
	v_lshrrev_b32_e32 v65, 2, v32
	v_lshlrev_b32_e32 v64, 1, v62
	s_waitcnt lgkmcnt(0)
	s_barrier
	s_cbranch_vccnz .LBB24_301
; %bb.291:
	v_mov_b32_e32 v31, 0
	v_mov_b32_e32 v29, v31
	v_mul_u32_u24_e32 v16, 0x90, v113
	v_lshl_add_u64 v[34:35], s[2:3], 0, v[28:29]
	v_add3_u32 v29, 0, v16, v28
	v_mul_hi_u32 v16, s68, v84
	v_add_u32_e32 v16, v84, v16
	v_lshrrev_b32_e32 v16, s69, v16
	v_mul_lo_u32 v16, v16, s52
	v_sub_u32_e32 v16, v84, v16
	v_mad_i64_i32 v[36:37], s[6:7], v16, s70, 0
	v_mul_hi_u32 v16, s68, v85
	v_add_u32_e32 v16, v85, v16
	v_lshrrev_b32_e32 v16, s69, v16
	v_mul_lo_u32 v16, v16, s52
	v_sub_u32_e32 v16, v85, v16
	v_mad_i64_i32 v[38:39], s[6:7], v16, s70, 0
	;; [unrolled: 6-line block ×4, first 2 shown]
	v_mbcnt_hi_u32_b32 v16, -1, v115
	v_and_b32_e32 v19, 64, v16
	v_add_u32_e32 v19, 64, v19
	v_xor_b32_e32 v20, 32, v16
	v_cmp_lt_i32_e32 vcc, v20, v19
	s_cmp_lg_u64 s[2:3], 0
	v_and_b32_e32 v17, 48, v112
	v_cndmask_b32_e32 v20, v16, v20, vcc
	v_lshlrev_b32_e32 v95, 2, v20
	v_xor_b32_e32 v20, 16, v16
	v_cmp_lt_i32_e32 vcc, v20, v19
	v_add_u32_e32 v19, v89, v114
	s_cselect_b64 s[24:25], -1, 0
	v_cndmask_b32_e32 v16, v16, v20, vcc
	v_lshlrev_b32_e32 v96, 2, v16
	v_and_b32_e32 v16, 60, v88
	v_mul_u32_u24_e32 v20, 0x110, v19
	v_lshlrev_b32_e32 v21, 2, v16
	v_add3_u32 v97, 0, v20, v21
	v_and_b32_e32 v20, 0xfc, v65
	v_mad_u32_u24 v18, v17, s4, 0
	v_mul_lo_u32 v44, s66, v19
	s_lshl_b32 s10, s66, 4
	v_add_u32_e32 v21, v20, v17
	v_add_u16_e32 v17, v20, v17
	v_mul_lo_u32 v52, s54, v19
	s_lshl_b32 s18, s54, 4
	v_add_u32_e32 v46, s10, v44
	v_lshrrev_b16_e32 v17, 1, v17
	v_add_u32_e32 v54, s18, v52
	v_cmp_gt_u32_e64 s[20:21], 64, v19
	v_cmp_gt_u32_e64 s[4:5], 48, v19
	v_cmp_gt_u32_e64 s[6:7], 32, v19
	v_add_u32_e32 v48, s10, v46
	v_cmp_gt_u32_e64 s[8:9], 16, v19
	v_mul_u32_u24_e32 v22, 0x90, v82
	v_lshlrev_b32_e32 v17, 2, v17
	v_add_u32_e32 v56, s18, v54
	v_mul_u32_u24_e32 v19, 0x110, v20
	v_or_b32_e32 v20, 3, v65
	s_mov_b64 s[22:23], src_private_base
	v_add_u32_e32 v50, s10, v48
	v_add3_u32 v17, 0, v22, v17
	v_add_u32_e32 v58, s18, v56
	v_mul_u32_u24_e32 v20, 0x110, v20
	v_cmp_gt_u32_e64 s[0:1], 64, v32
	v_add_u32_e32 v91, 0x240, v29
	v_add_u32_e32 v92, 0x480, v29
	;; [unrolled: 1-line block ×3, first 2 shown]
	v_ashrrev_i32_e32 v45, 31, v44
	v_add_u32_e32 v98, 0x1100, v97
	v_ashrrev_i32_e32 v47, 31, v46
	v_add_u32_e32 v99, 0x2200, v97
	;; [unrolled: 2-line block ×3, first 2 shown]
	v_ashrrev_i32_e32 v51, 31, v50
	v_add3_u32 v101, v18, v83, v63
	v_cmp_gt_u32_e64 s[10:11], 64, v21
	v_cmp_gt_u32_e64 s[12:13], 63, v21
	;; [unrolled: 1-line block ×4, first 2 shown]
	v_ashrrev_i32_e32 v53, 31, v52
	v_ashrrev_i32_e32 v55, 31, v54
	;; [unrolled: 1-line block ×4, first 2 shown]
	v_add3_u32 v102, v18, v19, v64
	v_add3_u32 v103, v18, v20, v64
	v_mov_b32_e32 v60, v26
	v_mov_b32_e32 v61, v26
	s_lshl_b32 s26, s30, 6
	v_mov_b32_e32 v108, 0xfeffffff
	v_lshlrev_b32_e32 v30, 2, v16
	v_add_u32_e32 v104, 0x4400, v17
	s_mov_b32 s22, 0x3fb8aa3b
	s_mov_b32 s37, 0xc2ce8ed0
	s_mov_b32 s38, 0x42b17218
	s_mov_b32 s39, 0xc1a00000
	s_mov_b32 s40, 0x5040100
	v_mov_b32_e32 v105, 0
	v_mov_b32_e32 v16, v31
	;; [unrolled: 1-line block ×23, first 2 shown]
.LBB24_292:                             ; =>This Inner Loop Header: Depth=1
	v_cndmask_b32_e64 v20, 0, 1, s[24:25]
	v_cmp_ne_u32_e64 s[18:19], 1, v20
	s_andn2_b64 vcc, exec, s[24:25]
	s_ashr_i32 s27, s26, 31
	s_cbranch_vccnz .LBB24_296
; %bb.293:                              ;   in Loop: Header=BB24_292 Depth=1
	v_mov_b32_e32 v20, 0
	v_mov_b32_e32 v21, 0
	;; [unrolled: 1-line block ×4, first 2 shown]
	s_and_saveexec_b64 s[28:29], s[0:1]
	s_cbranch_execz .LBB24_295
; %bb.294:                              ;   in Loop: Header=BB24_292 Depth=1
	v_lshl_add_u64 v[20:21], s[26:27], 1, v[34:35]
	v_lshl_add_u64 v[22:23], v[36:37], 1, v[20:21]
	;; [unrolled: 1-line block ×5, first 2 shown]
	global_load_ushort v20, v[22:23], off
	global_load_ushort v21, v[24:25], off
	s_nop 0
	global_load_ushort v22, v[110:111], off
	global_load_ushort v23, v[116:117], off
.LBB24_295:                             ;   in Loop: Header=BB24_292 Depth=1
	s_or_b64 exec, exec, s[28:29]
	s_waitcnt vmcnt(3)
	ds_write_b16 v29, v20 offset:17408
	s_waitcnt vmcnt(2)
	ds_write_b16 v91, v21 offset:17408
	s_waitcnt vmcnt(1)
	ds_write_b16 v92, v22 offset:17408
	s_waitcnt vmcnt(0)
	ds_write_b16 v93, v23 offset:17408
.LBB24_296:                             ;   in Loop: Header=BB24_292 Depth=1
	s_mul_hi_i32 s29, s26, s66
	s_mul_i32 s28, s26, s66
	s_lshl_b64 s[28:29], s[28:29], 2
	s_add_u32 s28, s34, s28
	s_addc_u32 s29, s35, s29
	v_lshl_add_u64 v[20:21], v[44:45], 2, s[28:29]
	v_lshl_add_u64 v[20:21], v[20:21], 0, v[30:31]
	v_mov_b32_e32 v27, s23
	v_cndmask_b32_e64 v21, v27, v21, s[20:21]
	v_cndmask_b32_e64 v20, v105, v20, s[20:21]
	scratch_store_dwordx4 off, v[16:19], off
	flat_load_dwordx4 v[20:23], v[20:21]
	v_lshl_add_u64 v[24:25], v[46:47], 2, s[28:29]
	v_lshl_add_u64 v[24:25], v[24:25], 0, v[30:31]
	v_cndmask_b32_e64 v25, v27, v25, s[4:5]
	v_cndmask_b32_e64 v24, v105, v24, s[4:5]
	s_and_b64 vcc, exec, s[18:19]
	s_waitcnt vmcnt(0) lgkmcnt(0)
	ds_write_b128 v97, v[20:23]
	flat_load_dwordx4 v[20:23], v[24:25]
	v_lshl_add_u64 v[24:25], v[48:49], 2, s[28:29]
	v_lshl_add_u64 v[24:25], v[24:25], 0, v[30:31]
	v_cndmask_b32_e64 v25, v27, v25, s[6:7]
	v_cndmask_b32_e64 v24, v105, v24, s[6:7]
	s_waitcnt vmcnt(0) lgkmcnt(0)
	ds_write_b128 v98, v[20:23]
	flat_load_dwordx4 v[20:23], v[24:25]
	v_lshl_add_u64 v[24:25], v[50:51], 2, s[28:29]
	v_lshl_add_u64 v[24:25], v[24:25], 0, v[30:31]
	v_cndmask_b32_e64 v25, v27, v25, s[8:9]
	v_cndmask_b32_e64 v24, v105, v24, s[8:9]
	s_waitcnt vmcnt(0) lgkmcnt(0)
	ds_write_b128 v99, v[20:23]
	flat_load_dwordx4 v[20:23], v[24:25]
	s_waitcnt vmcnt(0) lgkmcnt(0)
	ds_write_b128 v100, v[20:23]
	s_waitcnt lgkmcnt(0)
	s_barrier
	ds_read2_b64 v[20:23], v101 offset1:4
	s_waitcnt lgkmcnt(0)
	v_mfma_f32_16x16x16_f16 v[116:119], v[20:21], v[12:13], 0
	v_mfma_f32_16x16x16_f16 v[20:23], v[22:23], v[14:15], v[116:119]
	s_nop 6
	ds_read2_b64 v[116:119], v101 offset0:8 offset1:12
	s_waitcnt lgkmcnt(0)
	v_mfma_f32_16x16x16_f16 v[20:23], v[116:117], v[8:9], v[20:23]
	v_mfma_f32_16x16x16_f16 v[20:23], v[118:119], v[10:11], v[20:23]
	ds_read2_b64 v[116:119], v101 offset0:16 offset1:20
	s_waitcnt lgkmcnt(0)
	v_mfma_f32_16x16x16_f16 v[20:23], v[116:117], v[4:5], v[20:23]
	v_mfma_f32_16x16x16_f16 v[20:23], v[118:119], v[6:7], v[20:23]
	ds_read2_b64 v[116:119], v101 offset0:24 offset1:28
	s_waitcnt lgkmcnt(0)
	s_barrier
	v_mfma_f32_16x16x16_f16 v[20:23], v[116:117], v[0:1], v[20:23]
	v_mfma_f32_16x16x16_f16 v[20:23], v[118:119], v[2:3], v[20:23]
	s_cbranch_vccnz .LBB24_298
; %bb.297:                              ;   in Loop: Header=BB24_292 Depth=1
	ds_read2_b32 v[24:25], v104 offset1:1
	v_mov_b32_e32 v27, v26
	s_waitcnt lgkmcnt(0)
	v_cvt_f32_f16_e32 v110, v24
	v_cvt_f32_f16_e32 v116, v25
	v_cvt_f32_f16_sdwa v117, v25 dst_sel:DWORD dst_unused:UNUSED_PAD src0_sel:WORD_1
	v_cvt_f32_f16_sdwa v111, v24 dst_sel:DWORD dst_unused:UNUSED_PAD src0_sel:WORD_1
	v_pk_fma_f32 v[22:23], v[26:27], v[116:117], v[22:23]
	v_pk_fma_f32 v[20:21], v[60:61], v[110:111], v[20:21]
.LBB24_298:                             ;   in Loop: Header=BB24_292 Depth=1
	s_mul_hi_i32 s19, s26, s54
	s_mul_i32 s18, s26, s54
	s_lshl_b64 s[18:19], s[18:19], 2
	s_add_u32 s18, s31, s18
	s_addc_u32 s19, s33, s19
	v_lshl_add_u64 v[24:25], v[52:53], 2, s[18:19]
	v_lshl_add_u64 v[24:25], v[24:25], 0, v[30:31]
	v_mov_b32_e32 v94, s23
	v_cndmask_b32_e64 v25, v94, v25, s[20:21]
	v_cndmask_b32_e64 v24, v105, v24, s[20:21]
	scratch_store_dwordx4 off, v[16:19], off
	flat_load_dwordx4 v[116:119], v[24:25]
	v_lshl_add_u64 v[24:25], v[54:55], 2, s[18:19]
	v_lshl_add_u64 v[24:25], v[24:25], 0, v[30:31]
	v_cndmask_b32_e64 v25, v94, v25, s[4:5]
	v_cndmask_b32_e64 v24, v105, v24, s[4:5]
	v_add_f32_e32 v109, 0x40051340, v20
	v_max_f32_e32 v110, v108, v108
	v_max_f32_e32 v109, v110, v109
	v_cndmask_b32_e64 v109, v108, v109, s[10:11]
	v_add_f32_e32 v111, 0x40051340, v21
	v_max_f32_e32 v110, v109, v109
	v_max_f32_e32 v110, v110, v111
	v_cndmask_b32_e64 v109, v109, v110, s[12:13]
	v_add_f32_e32 v120, 0x40051340, v22
	v_max_f32_e32 v110, v109, v109
	v_max_f32_e32 v110, v110, v120
	v_cndmask_b32_e64 v109, v109, v110, s[14:15]
	v_add_f32_e32 v121, 0x40051340, v23
	v_max_f32_e32 v110, v109, v109
	v_max_f32_e32 v110, v110, v121
	v_cndmask_b32_e64 v109, v109, v110, s[16:17]
	ds_bpermute_b32 v120, v95, v109
	v_max_f32_e32 v109, v109, v109
	v_lshl_add_u64 v[110:111], v[58:59], 2, s[18:19]
	v_lshl_add_u64 v[110:111], v[110:111], 0, v[30:31]
	v_cndmask_b32_e64 v111, v94, v111, s[8:9]
	s_waitcnt lgkmcnt(0)
	v_max_f32_e32 v120, v120, v120
	v_max_f32_e32 v109, v109, v120
	ds_bpermute_b32 v120, v96, v109
	v_cndmask_b32_e64 v110, v105, v110, s[8:9]
	v_mov_b32_e32 v27, s36
	s_add_i32 s30, s30, 1
	v_cmp_lt_i32_e32 vcc, s30, v90
	s_and_b64 vcc, exec, vcc
	s_add_i32 s26, s26, 64
	s_waitcnt vmcnt(0)
	ds_write_b128 v97, v[116:119]
	flat_load_dwordx4 v[116:119], v[24:25]
	v_lshl_add_u64 v[24:25], v[56:57], 2, s[18:19]
	v_lshl_add_u64 v[24:25], v[24:25], 0, v[30:31]
	v_cndmask_b32_e64 v25, v94, v25, s[6:7]
	v_cndmask_b32_e64 v24, v105, v24, s[6:7]
	s_waitcnt lgkmcnt(0)
	v_max_f32_e32 v94, v120, v120
	v_max_f32_e32 v94, v109, v94
	v_sub_f32_e32 v20, v20, v94
	v_sub_f32_e32 v21, v21, v94
	v_sub_f32_e32 v120, v108, v94
	v_mul_f32_e32 v108, 0x3fb8aa3b, v20
	v_mul_f32_e32 v109, 0x3fb8aa3b, v21
	v_fma_f32 v124, v20, s22, -v108
	v_rndne_f32_e32 v125, v108
	v_fma_f32 v126, v21, s22, -v109
	v_rndne_f32_e32 v127, v109
	v_fmac_f32_e32 v124, 0x32a5705f, v20
	v_sub_f32_e32 v108, v108, v125
	v_fmac_f32_e32 v126, 0x32a5705f, v21
	v_sub_f32_e32 v109, v109, v127
	v_add_f32_e32 v108, v108, v124
	v_add_f32_e32 v109, v109, v126
	v_cvt_i32_f32_e32 v125, v125
	v_cvt_i32_f32_e32 v127, v127
	v_exp_f32_e32 v108, v108
	v_exp_f32_e32 v109, v109
	v_sub_f32_e32 v22, v22, v94
	v_sub_f32_e32 v23, v23, v94
	v_ldexp_f32 v124, v108, v125
	v_ldexp_f32 v125, v109, v127
	v_mul_f32_e32 v121, 0x3fb8aa3b, v22
	v_mul_f32_e32 v122, 0x3fb8aa3b, v23
	v_fma_f32 v128, v22, s22, -v121
	v_rndne_f32_e32 v129, v121
	v_mul_f32_e32 v123, 0x3fb8aa3b, v120
	v_fma_f32 v130, v23, s22, -v122
	v_rndne_f32_e32 v131, v122
	v_fmac_f32_e32 v128, 0x32a5705f, v22
	v_sub_f32_e32 v121, v121, v129
	v_fma_f32 v132, v120, s22, -v123
	v_rndne_f32_e32 v133, v123
	v_fmac_f32_e32 v130, 0x32a5705f, v23
	v_sub_f32_e32 v122, v122, v131
	v_add_f32_e32 v121, v121, v128
	v_cvt_i32_f32_e32 v129, v129
	v_fmac_f32_e32 v132, 0x32a5705f, v120
	v_sub_f32_e32 v123, v123, v133
	v_add_f32_e32 v122, v122, v130
	v_exp_f32_e32 v121, v121
	v_cvt_i32_f32_e32 v131, v131
	v_add_f32_e32 v123, v123, v132
	v_exp_f32_e32 v122, v122
	v_cvt_i32_f32_e32 v133, v133
	v_exp_f32_e32 v123, v123
	v_cmp_ngt_f32_e64 s[18:19], s37, v20
	v_ldexp_f32 v121, v121, v129
	s_waitcnt vmcnt(0)
	ds_write_b128 v98, v[116:119]
	flat_load_dwordx4 v[116:119], v[24:25]
	v_mov_b32_e32 v24, s36
	v_mov_b32_e32 v25, s36
	s_waitcnt vmcnt(0) lgkmcnt(0)
	ds_write_b128 v99, v[116:119]
	flat_load_dwordx4 v[108:111], v[110:111]
	v_cndmask_b32_e64 v118, 0, v124, s[18:19]
	v_cmp_ngt_f32_e64 s[18:19], s37, v21
	v_ldexp_f32 v116, v122, v131
	v_ldexp_f32 v117, v123, v133
	v_cndmask_b32_e64 v119, 0, v125, s[18:19]
	v_cmp_ngt_f32_e64 s[18:19], s37, v22
	s_waitcnt vmcnt(0) lgkmcnt(0)
	ds_write_b128 v100, v[108:111]
	v_cndmask_b32_e64 v121, 0, v121, s[18:19]
	v_cmp_ngt_f32_e64 s[18:19], s37, v23
	s_waitcnt lgkmcnt(0)
	s_barrier
	v_cndmask_b32_e64 v116, 0, v116, s[18:19]
	v_cmp_ngt_f32_e64 s[18:19], s37, v120
	s_nop 1
	v_cndmask_b32_e64 v117, 0, v117, s[18:19]
	v_cmp_nlt_f32_e64 s[18:19], s38, v20
	s_nop 1
	v_cndmask_b32_e64 v20, v106, v118, s[18:19]
	v_cmp_nlt_f32_e64 s[18:19], s38, v21
	v_cndmask_b32_e64 v20, 0, v20, s[10:11]
	s_nop 0
	v_cndmask_b32_e64 v118, v106, v119, s[18:19]
	v_cmp_nlt_f32_e64 s[18:19], s38, v22
	v_cndmask_b32_e64 v21, v25, v118, s[12:13]
	;; [unrolled: 4-line block ×4, first 2 shown]
	v_cvt_pk_f16_f32 v25, v22, v24
	v_cndmask_b32_e64 v116, v106, v117, s[18:19]
	v_cmp_le_f32_e64 s[18:19], s39, v120
	v_cvt_pk_f16_f32 v24, v20, v21
	s_nop 0
	v_cndmask_b32_e64 v27, 0, v116, s[18:19]
	v_add_f32_e32 v116, v118, v20
	v_cvt_f16_f32_e32 v117, v27
	v_cndmask_b32_e64 v20, v20, v116, s[12:13]
	v_add_f32_e32 v21, v20, v119
	v_cndmask_b32_e64 v20, v20, v21, s[14:15]
	v_add_f32_e32 v21, v20, v23
	v_mul_u32_u24_e32 v23, 0x10001, v117
	v_cndmask_b32_e64 v22, v20, v21, s[16:17]
	v_pk_mul_f16 v20, v81, v23
	v_pk_mul_f16 v21, v80, v23
	;; [unrolled: 1-line block ×16, first 2 shown]
	v_fmac_f32_e32 v22, v107, v27
	v_cvt_f32_f16_e32 v66, v20
	v_cvt_f32_f16_sdwa v67, v20 dst_sel:DWORD dst_unused:UNUSED_PAD src0_sel:WORD_1
	v_cvt_f32_f16_e32 v68, v21
	v_cvt_f32_f16_sdwa v69, v21 dst_sel:DWORD dst_unused:UNUSED_PAD src0_sel:WORD_1
	ds_read_u16 v20, v102
	ds_read_u16 v27, v102 offset:32
	ds_read_u16 v107, v102 offset:64
	;; [unrolled: 1-line block ×23, first 2 shown]
	ds_read_u16 v109, v103
	ds_read_u16 v126, v103 offset:32
	ds_read_u16 v131, v103 offset:64
	;; [unrolled: 1-line block ×7, first 2 shown]
	s_waitcnt lgkmcnt(7)
	v_perm_b32 v21, v109, v21, s40
	v_perm_b32 v20, v108, v20, s40
	v_cvt_f32_f16_e32 v108, v124
	v_cvt_f32_f16_sdwa v109, v124 dst_sel:DWORD dst_unused:UNUSED_PAD src0_sel:WORD_1
	s_waitcnt lgkmcnt(6)
	v_perm_b32 v129, v126, v125, s40
	v_mfma_f32_16x16x16_f16 v[124:127], v[20:21], v[24:25], v[66:69]
	s_waitcnt lgkmcnt(5)
	v_perm_b32 v21, v131, v130, s40
	v_perm_b32 v20, v111, v107, s40
	v_cvt_f32_f16_e32 v74, v77
	v_cvt_f32_f16_sdwa v75, v77 dst_sel:DWORD dst_unused:UNUSED_PAD src0_sel:WORD_1
	v_cvt_f32_f16_e32 v76, v80
	v_cvt_f32_f16_sdwa v77, v80 dst_sel:DWORD dst_unused:UNUSED_PAD src0_sel:WORD_1
	v_perm_b32 v128, v110, v27, s40
	v_cvt_f32_f16_e32 v110, v132
	v_cvt_f32_f16_sdwa v111, v132 dst_sel:DWORD dst_unused:UNUSED_PAD src0_sel:WORD_1
	s_waitcnt lgkmcnt(4)
	v_perm_b32 v69, v149, v135, s40
	v_perm_b32 v68, v134, v133, s40
	v_mfma_f32_16x16x16_f16 v[132:135], v[20:21], v[24:25], v[74:77]
	s_waitcnt lgkmcnt(3)
	v_perm_b32 v21, v150, v145, s40
	v_perm_b32 v20, v141, v137, s40
	v_cvt_f32_f16_e32 v70, v79
	v_cvt_f32_f16_sdwa v71, v79 dst_sel:DWORD dst_unused:UNUSED_PAD src0_sel:WORD_1
	v_cvt_f32_f16_e32 v72, v78
	v_cvt_f32_f16_sdwa v73, v78 dst_sel:DWORD dst_unused:UNUSED_PAD src0_sel:WORD_1
	;; [unrolled: 2-line block ×6, first 2 shown]
	v_mfma_f32_16x16x16_f16 v[128:131], v[128:129], v[24:25], v[70:73]
	v_cvt_f32_f16_e32 v120, v121
	v_cvt_f32_f16_sdwa v121, v121 dst_sel:DWORD dst_unused:UNUSED_PAD src0_sel:WORD_1
	v_cvt_f32_f16_e32 v122, v123
	v_mfma_f32_16x16x16_f16 v[74:77], v[68:69], v[24:25], v[78:81]
	s_waitcnt lgkmcnt(2)
	v_perm_b32 v71, v151, v146, s40
	v_perm_b32 v70, v142, v138, s40
	v_cvt_f32_f16_sdwa v123, v123 dst_sel:DWORD dst_unused:UNUSED_PAD src0_sel:WORD_1
	v_mfma_f32_16x16x16_f16 v[78:81], v[20:21], v[24:25], v[116:119]
	s_waitcnt lgkmcnt(1)
	v_perm_b32 v21, v152, v147, s40
	v_perm_b32 v20, v143, v139, s40
	v_cvt_f32_f16_e32 v66, v136
	s_waitcnt lgkmcnt(0)
	v_perm_b32 v117, v153, v148, s40
	v_perm_b32 v116, v144, v140, s40
	v_cvt_f32_f16_sdwa v67, v136 dst_sel:DWORD dst_unused:UNUSED_PAD src0_sel:WORD_1
	v_cvt_f32_f16_e32 v68, v23
	v_cvt_f32_f16_sdwa v69, v23 dst_sel:DWORD dst_unused:UNUSED_PAD src0_sel:WORD_1
	v_mfma_f32_16x16x16_f16 v[70:73], v[70:71], v[24:25], v[120:123]
	v_cvt_pk_f16_f32 v75, v74, v75
	v_cvt_pk_f16_f32 v74, v76, v77
	v_cvt_pk_f16_f32 v77, v132, v133
	v_mfma_f32_16x16x16_f16 v[108:111], v[20:21], v[24:25], v[108:111]
	v_cvt_pk_f16_f32 v76, v134, v135
	s_nop 2
	v_cvt_pk_f16_f32 v71, v70, v71
	v_cvt_pk_f16_f32 v70, v72, v73
	v_mfma_f32_16x16x16_f16 v[66:69], v[116:117], v[24:25], v[66:69]
	v_cvt_pk_f16_f32 v73, v78, v79
	v_cvt_pk_f16_f32 v72, v80, v81
	v_cvt_pk_f16_f32 v79, v128, v129
	v_cvt_pk_f16_f32 v78, v130, v131
	v_cvt_pk_f16_f32 v81, v124, v125
	s_nop 2
	v_cvt_pk_f16_f32 v67, v66, v67
	v_cvt_pk_f16_f32 v66, v68, v69
	;; [unrolled: 1-line block ×5, first 2 shown]
	s_barrier
	s_cbranch_vccz .LBB24_302
; %bb.299:                              ;   in Loop: Header=BB24_292 Depth=1
	v_mov_b32_e32 v107, v22
	v_mov_b32_e32 v108, v94
	s_branch .LBB24_292
.LBB24_300:
                                        ; implicit-def: $sgpr4_sgpr5
                                        ; kill: killed $sgpr4_sgpr5
	s_load_dwordx2 s[68:69], s[0:1], 0x5c
	s_branch .LBB24_7
.LBB24_301:
	v_mov_b32_e32 v94, 0xfeffffff
	v_mov_b32_e32 v22, 0
	;; [unrolled: 1-line block ×18, first 2 shown]
.LBB24_302:
	s_lshl_b32 s10, s30, 6
	v_readlane_b32 s0, v220, 4
	s_sub_i32 s14, s0, s10
	s_cmp_lg_u64 s[2:3], 0
	s_cselect_b64 s[12:13], -1, 0
	s_ashr_i32 s11, s10, 31
	s_cmp_eq_u64 s[2:3], 0
	v_readlane_b32 s1, v220, 5
	s_cbranch_scc1 .LBB24_312
; %bb.303:
	s_lshl_b64 s[0:1], s[10:11], 1
	s_add_u32 s0, s2, s0
	s_addc_u32 s1, s3, s1
	v_mov_b32_e32 v29, 0
	v_cmp_gt_i32_e32 vcc, s14, v32
	v_lshl_add_u64 v[16:17], s[0:1], 0, v[28:29]
	v_mov_b32_e32 v19, 0
	s_and_saveexec_b64 s[0:1], vcc
	s_cbranch_execz .LBB24_305
; %bb.304:
	v_mul_hi_u32 v18, s68, v84
	v_add_u32_e32 v18, v84, v18
	v_lshrrev_b32_e32 v18, s69, v18
	v_mul_lo_u32 v18, v18, s52
	v_sub_u32_e32 v18, v84, v18
	v_mad_i64_i32 v[18:19], s[2:3], v18, s70, 0
	v_lshl_add_u64 v[18:19], v[18:19], 1, v[16:17]
	global_load_ushort v19, v[18:19], off
.LBB24_305:
	s_or_b64 exec, exec, s[0:1]
	s_movk_i32 s0, 0x90
	v_mad_u32_u24 v18, v113, s0, 0
	v_lshl_add_u32 v20, v32, 1, v18
	s_waitcnt vmcnt(0)
	ds_write_b16 v20, v19 offset:17408
	s_and_saveexec_b64 s[0:1], vcc
	s_cbranch_execz .LBB24_307
; %bb.306:
	v_mul_hi_u32 v19, s68, v85
	v_add_u32_e32 v19, v85, v19
	v_lshrrev_b32_e32 v19, s69, v19
	v_mul_lo_u32 v19, v19, s52
	v_sub_u32_e32 v19, v85, v19
	v_mad_i64_i32 v[20:21], s[2:3], v19, s70, 0
	v_lshl_add_u64 v[20:21], v[20:21], 1, v[16:17]
	global_load_ushort v29, v[20:21], off
.LBB24_307:
	s_or_b64 exec, exec, s[0:1]
	v_add_u32_e32 v19, 0x240, v18
	v_lshl_add_u32 v18, v32, 1, v19
	s_waitcnt vmcnt(0)
	ds_write_b16 v18, v29 offset:17408
	v_mov_b32_e32 v18, 0
	v_mov_b32_e32 v20, 0
	s_and_saveexec_b64 s[0:1], vcc
	s_cbranch_execz .LBB24_309
; %bb.308:
	v_mul_hi_u32 v20, s68, v86
	v_add_u32_e32 v20, v86, v20
	v_lshrrev_b32_e32 v20, s69, v20
	v_mul_lo_u32 v20, v20, s52
	v_sub_u32_e32 v20, v86, v20
	v_mad_i64_i32 v[20:21], s[2:3], v20, s70, 0
	v_lshl_add_u64 v[20:21], v[20:21], 1, v[16:17]
	global_load_ushort v20, v[20:21], off
.LBB24_309:
	s_or_b64 exec, exec, s[0:1]
	v_add_u32_e32 v19, 0x240, v19
	v_lshl_add_u32 v19, v32, 1, v19
	s_waitcnt vmcnt(0)
	ds_write_b16 v19, v20 offset:17408
	s_and_saveexec_b64 s[0:1], vcc
	s_cbranch_execz .LBB24_311
; %bb.310:
	v_mul_hi_u32 v18, s68, v87
	v_add_u32_e32 v18, v87, v18
	v_lshrrev_b32_e32 v18, s69, v18
	v_mul_lo_u32 v18, v18, s52
	v_sub_u32_e32 v18, v87, v18
	v_mad_i64_i32 v[20:21], s[2:3], v18, s70, 0
	v_lshl_add_u64 v[16:17], v[20:21], 1, v[16:17]
	global_load_ushort v18, v[16:17], off
.LBB24_311:
	s_or_b64 exec, exec, s[0:1]
	s_waitcnt vmcnt(0)
	ds_write_b16 v19, v18 offset:17984
.LBB24_312:
	s_mul_hi_i32 s1, s10, s66
	s_mul_i32 s0, s10, s66
	s_lshl_b64 s[0:1], s[0:1], 2
	v_add_u32_e32 v24, v89, v114
	s_add_u32 s0, s34, s0
	v_mul_lo_u32 v34, s66, v24
	s_addc_u32 s1, s35, s1
	v_and_b32_e32 v16, 60, v88
	v_ashrrev_i32_e32 v35, 31, v34
	s_mov_b64 s[2:3], src_private_base
	v_mov_b32_e32 v21, 0
	v_lshlrev_b32_e32 v20, 2, v16
	v_lshl_add_u64 v[16:17], v[34:35], 2, s[0:1]
	v_lshl_add_u64 v[16:17], v[16:17], 0, v[20:21]
	v_mov_b32_e32 v25, s3
	v_cmp_gt_i32_e64 s[4:5], s14, v24
	v_mov_b32_e32 v23, 0
	v_mov_b32_e32 v18, v21
	v_cndmask_b32_e64 v29, v25, v17, s[4:5]
	v_cndmask_b32_e64 v28, v23, v16, s[4:5]
	v_mov_b32_e32 v16, v21
	v_mov_b32_e32 v17, v21
	v_mov_b32_e32 v19, v21
	scratch_store_dwordx4 off, v[16:19], off
	flat_load_dwordx4 v[28:31], v[28:29]
	s_lshl_b32 s2, s66, 4
	v_add_u32_e32 v34, s2, v34
	v_ashrrev_i32_e32 v35, 31, v34
	v_mul_u32_u24_e32 v27, 0x110, v24
	v_add_u32_e32 v38, 16, v24
	v_lshl_add_u64 v[36:37], v[34:35], 2, s[0:1]
	v_add3_u32 v27, 0, v27, v20
	v_lshl_add_u64 v[36:37], v[36:37], 0, v[20:21]
	v_cmp_gt_i32_e64 s[6:7], s14, v38
	v_add_u32_e32 v34, s2, v34
	v_ashrrev_i32_e32 v35, 31, v34
	v_cndmask_b32_e64 v37, v25, v37, s[6:7]
	v_cndmask_b32_e64 v36, v23, v36, s[6:7]
	v_add_u32_e32 v38, 32, v24
	v_cmp_gt_i32_e64 s[8:9], s14, v38
	v_and_b32_e32 v38, 48, v112
	s_andn2_b64 vcc, exec, s[12:13]
	s_waitcnt vmcnt(0) lgkmcnt(0)
	ds_write_b128 v27, v[28:31]
	flat_load_dwordx4 v[28:31], v[36:37]
	v_lshl_add_u64 v[36:37], v[34:35], 2, s[0:1]
	v_lshl_add_u64 v[36:37], v[36:37], 0, v[20:21]
	v_cndmask_b32_e64 v37, v25, v37, s[8:9]
	v_cndmask_b32_e64 v36, v23, v36, s[8:9]
	v_add_u32_e32 v34, s2, v34
	v_ashrrev_i32_e32 v35, 31, v34
	v_lshl_add_u64 v[34:35], v[34:35], 2, s[0:1]
	v_lshl_add_u64 v[34:35], v[34:35], 0, v[20:21]
	s_movk_i32 s2, 0x110
	s_waitcnt vmcnt(0) lgkmcnt(0)
	ds_write_b128 v27, v[28:31] offset:4352
	flat_load_dwordx4 v[28:31], v[36:37]
	v_add_u32_e32 v36, 48, v24
	v_cmp_gt_i32_e64 s[0:1], s14, v36
	s_waitcnt vmcnt(0) lgkmcnt(0)
	ds_write_b128 v27, v[28:31] offset:8704
	v_cndmask_b32_e64 v35, v25, v35, s[0:1]
	v_cndmask_b32_e64 v34, v23, v34, s[0:1]
	flat_load_dwordx4 v[28:31], v[34:35]
	v_mad_u32_u24 v25, v38, s2, 0
	v_add3_u32 v39, v25, v83, v63
	s_waitcnt vmcnt(0) lgkmcnt(0)
	ds_write_b128 v27, v[28:31] offset:13056
	s_waitcnt lgkmcnt(0)
	s_barrier
	ds_read2_b64 v[28:31], v39 offset1:4
	s_waitcnt lgkmcnt(0)
	v_mfma_f32_16x16x16_f16 v[34:37], v[28:29], v[12:13], 0
	v_mfma_f32_16x16x16_f16 v[12:15], v[30:31], v[14:15], v[34:37]
	ds_read2_b64 v[28:31], v39 offset0:8 offset1:12
	s_waitcnt lgkmcnt(0)
	v_mfma_f32_16x16x16_f16 v[12:15], v[28:29], v[8:9], v[12:15]
	v_mfma_f32_16x16x16_f16 v[8:11], v[30:31], v[10:11], v[12:15]
	ds_read2_b64 v[28:31], v39 offset0:24 offset1:28
	s_nop 5
	ds_read2_b64 v[12:15], v39 offset0:16 offset1:20
	s_waitcnt lgkmcnt(0)
	v_mfma_f32_16x16x16_f16 v[10:13], v[12:13], v[4:5], v[8:11]
	s_nop 2
	v_and_b32_e32 v8, 0xfc, v65
	v_add_u32_e32 v5, 0x2200, v27
	v_add_u32_e32 v4, 0x3300, v27
	v_mfma_f32_16x16x16_f16 v[10:13], v[14:15], v[6:7], v[10:13]
	v_add_u32_e32 v6, 0x1100, v27
	v_add_u32_e32 v7, v8, v38
	v_mfma_f32_16x16x16_f16 v[10:13], v[28:29], v[0:1], v[10:13]
	s_barrier
	v_mfma_f32_16x16x16_f16 v[0:3], v[30:31], v[2:3], v[10:13]
	s_cbranch_vccnz .LBB24_314
; %bb.313:
	s_movk_i32 s2, 0x90
	v_mad_u32_u24 v9, v82, s2, 0
	s_nop 2
	v_lshlrev_b32_e32 v10, 1, v7
	s_movk_i32 s2, 0x4400
	v_add3_u32 v9, v9, v10, s2
	ds_read2_b32 v[10:11], v9 offset1:1
	s_waitcnt lgkmcnt(0)
	v_cvt_f32_f16_e32 v12, v10
	v_cvt_f32_f16_e32 v14, v11
	v_cvt_f32_f16_sdwa v15, v11 dst_sel:DWORD dst_unused:UNUSED_PAD src0_sel:WORD_1
	v_cvt_f32_f16_sdwa v13, v10 dst_sel:DWORD dst_unused:UNUSED_PAD src0_sel:WORD_1
	v_pk_fma_f32 v[2:3], v[26:27], v[14:15], v[2:3] op_sel_hi:[0,1,1]
	v_pk_fma_f32 v[0:1], v[26:27], v[12:13], v[0:1] op_sel_hi:[0,1,1]
.LBB24_314:
	s_mul_hi_i32 s11, s10, s54
	s_mul_i32 s10, s10, s54
	s_lshl_b64 s[10:11], s[10:11], 2
	s_add_u32 s10, s31, s10
	v_mul_lo_u32 v14, s54, v24
	s_addc_u32 s11, s33, s11
	v_ashrrev_i32_e32 v15, 31, v14
	s_mov_b64 s[2:3], src_private_base
	v_lshl_add_u64 v[10:11], v[14:15], 2, s[10:11]
	v_lshl_add_u64 v[10:11], v[10:11], 0, v[20:21]
	v_mov_b32_e32 v24, s3
	v_cndmask_b32_e64 v11, v24, v11, s[4:5]
	v_cndmask_b32_e64 v10, v23, v10, s[4:5]
	scratch_store_dwordx4 off, v[16:19], off
	flat_load_dwordx4 v[10:13], v[10:11]
	s_lshl_b32 s3, s54, 4
	v_add_u32_e32 v14, s3, v14
	v_ashrrev_i32_e32 v15, 31, v14
	v_lshl_add_u64 v[16:17], v[14:15], 2, s[10:11]
	v_lshl_add_u64 v[16:17], v[16:17], 0, v[20:21]
	v_cndmask_b32_e64 v17, v24, v17, s[6:7]
	v_cndmask_b32_e64 v16, v23, v16, s[6:7]
	v_add_f32_e32 v9, 0x40051340, v0
	v_max_f32_e32 v15, v94, v94
	v_mbcnt_hi_u32_b32 v34, -1, v115
	v_max_f32_e32 v18, v15, v9
	v_and_b32_e32 v19, 64, v34
	v_cmp_gt_u32_e32 vcc, s14, v7
	v_or_b32_e32 v26, 1, v7
	v_or_b32_e32 v28, 2, v7
	;; [unrolled: 1-line block ×3, first 2 shown]
	v_cndmask_b32_e32 v7, v94, v18, vcc
	v_add_u32_e32 v39, 64, v19
	s_mov_b32 s4, 0
	v_xor_b32_e32 v35, 32, v34
	v_xor_b32_e32 v37, 16, v34
	v_mov_b32_e32 v9, s4
	v_mov_b32_e32 v15, s4
	v_add_f32_e32 v29, 0x40051340, v2
	v_add_f32_e32 v31, 0x40051340, v3
	v_cmp_gt_u32_e64 s[6:7], s14, v30
	s_mov_b32 s12, 0x3fb8aa3b
	s_mov_b32 s13, 0xc2ce8ed0
	;; [unrolled: 1-line block ×3, first 2 shown]
	v_mov_b32_e32 v36, 0x7f800000
	s_mov_b32 s16, 0xc1a00000
	s_mov_b32 s2, 0x5040100
	s_waitcnt vmcnt(0) lgkmcnt(0)
	ds_write_b128 v27, v[10:13]
	flat_load_dwordx4 v[10:13], v[16:17]
	v_mul_u32_u24_e32 v16, 0x110, v8
	v_or_b32_e32 v17, 3, v65
	v_mul_u32_u24_e32 v17, 0x110, v17
	v_add3_u32 v38, v25, v16, v64
	v_add_u32_e32 v16, s3, v14
	v_add3_u32 v40, v25, v17, v64
	v_ashrrev_i32_e32 v17, 31, v16
	v_lshl_add_u64 v[18:19], v[16:17], 2, s[10:11]
	v_lshl_add_u64 v[18:19], v[18:19], 0, v[20:21]
	v_cndmask_b32_e64 v19, v24, v19, s[8:9]
	v_cndmask_b32_e64 v18, v23, v18, s[8:9]
	v_add_f32_e32 v27, 0x40051340, v1
	v_cmp_gt_u32_e64 s[8:9], s14, v26
	v_mov_b32_e32 v8, s4
	v_cmp_lt_i32_e64 s[4:5], v35, v39
	s_waitcnt vmcnt(0) lgkmcnt(0)
	ds_write_b128 v6, v[10:13]
	flat_load_dwordx4 v[10:13], v[18:19]
	v_max_f32_e32 v6, v7, v7
	v_max_f32_e32 v6, v6, v27
	v_cndmask_b32_e64 v6, v7, v6, s[8:9]
	v_cndmask_b32_e64 v14, v34, v35, s[4:5]
	v_cmp_lt_i32_e64 s[4:5], v37, v39
	v_max_f32_e32 v7, v6, v6
	v_max_f32_e32 v7, v7, v29
	v_cndmask_b32_e64 v17, v34, v37, s[4:5]
	v_cmp_gt_u32_e64 s[4:5], s14, v28
	v_lshlrev_b32_e32 v35, 2, v14
	v_lshlrev_b32_e32 v37, 2, v17
	v_cndmask_b32_e64 v6, v6, v7, s[4:5]
	v_max_f32_e32 v7, v6, v6
	v_max_f32_e32 v7, v7, v31
	v_cndmask_b32_e64 v14, v6, v7, s[6:7]
	ds_bpermute_b32 v18, v35, v14
	v_add_u32_e32 v6, s3, v16
	v_max_f32_e32 v14, v14, v14
	v_ashrrev_i32_e32 v7, 31, v6
	v_lshl_add_u64 v[6:7], v[6:7], 2, s[10:11]
	s_waitcnt lgkmcnt(0)
	v_max_f32_e32 v16, v18, v18
	v_max_f32_e32 v14, v14, v16
	ds_bpermute_b32 v16, v37, v14
	v_lshl_add_u64 v[6:7], v[6:7], 0, v[20:21]
	v_cndmask_b32_e64 v7, v24, v7, s[0:1]
	v_cndmask_b32_e64 v6, v23, v6, s[0:1]
	s_waitcnt lgkmcnt(0)
	v_max_f32_e32 v16, v16, v16
	v_max_f32_e32 v34, v14, v16
	v_sub_f32_e32 v14, v0, v34
	v_sub_f32_e32 v16, v1, v34
	v_sub_f32_e32 v17, v2, v34
	v_mul_f32_e32 v0, 0x3fb8aa3b, v14
	v_mul_f32_e32 v1, 0x3fb8aa3b, v16
	;; [unrolled: 1-line block ×3, first 2 shown]
	v_fma_f32 v21, v14, s12, -v0
	v_rndne_f32_e32 v23, v0
	v_fma_f32 v24, v16, s12, -v1
	v_rndne_f32_e32 v25, v1
	;; [unrolled: 2-line block ×3, first 2 shown]
	v_fmac_f32_e32 v21, 0x32a5705f, v14
	v_sub_f32_e32 v0, v0, v23
	v_fmac_f32_e32 v24, 0x32a5705f, v16
	v_sub_f32_e32 v1, v1, v25
	;; [unrolled: 2-line block ×3, first 2 shown]
	v_sub_f32_e32 v18, v3, v34
	v_add_f32_e32 v0, v0, v21
	v_add_f32_e32 v1, v1, v24
	;; [unrolled: 1-line block ×3, first 2 shown]
	v_mul_f32_e32 v3, 0x3fb8aa3b, v18
	v_cvt_i32_f32_e32 v23, v23
	v_cvt_i32_f32_e32 v25, v25
	;; [unrolled: 1-line block ×3, first 2 shown]
	v_exp_f32_e32 v0, v0
	v_exp_f32_e32 v1, v1
	;; [unrolled: 1-line block ×3, first 2 shown]
	v_fma_f32 v28, v18, s12, -v3
	v_rndne_f32_e32 v29, v3
	v_fmac_f32_e32 v28, 0x32a5705f, v18
	v_sub_f32_e32 v3, v3, v29
	v_add_f32_e32 v3, v3, v28
	v_exp_f32_e32 v21, v3
	v_ldexp_f32 v23, v0, v23
	v_ldexp_f32 v24, v1, v25
	;; [unrolled: 1-line block ×3, first 2 shown]
	v_sub_f32_e32 v19, v94, v34
	v_mul_f32_e32 v20, 0x3fb8aa3b, v19
	v_fma_f32 v30, v19, s12, -v20
	v_rndne_f32_e32 v31, v20
	v_fmac_f32_e32 v30, 0x32a5705f, v19
	v_sub_f32_e32 v20, v20, v31
	v_cvt_i32_f32_e32 v29, v29
	v_add_f32_e32 v20, v20, v30
	v_cvt_i32_f32_e32 v31, v31
	v_exp_f32_e32 v20, v20
	v_cmp_ngt_f32_e64 s[0:1], s13, v14
	s_waitcnt vmcnt(0)
	ds_write_b128 v5, v[10:13]
	flat_load_dwordx4 v[0:3], v[6:7]
	v_cndmask_b32_e64 v7, 0, v23, s[0:1]
	v_cmp_ngt_f32_e64 s[0:1], s13, v16
	v_ldexp_f32 v5, v21, v29
	v_ldexp_f32 v6, v20, v31
	v_cndmask_b32_e64 v10, 0, v24, s[0:1]
	v_cmp_ngt_f32_e64 s[0:1], s13, v17
	s_waitcnt vmcnt(0) lgkmcnt(0)
	ds_write_b128 v4, v[0:3]
	v_cndmask_b32_e64 v11, 0, v25, s[0:1]
	v_cmp_ngt_f32_e64 s[0:1], s13, v18
	s_waitcnt lgkmcnt(0)
	s_barrier
	v_cndmask_b32_e64 v5, 0, v5, s[0:1]
	v_cmp_ngt_f32_e64 s[0:1], s13, v19
	s_nop 1
	v_cndmask_b32_e64 v6, 0, v6, s[0:1]
	v_cmp_nlt_f32_e64 s[0:1], s15, v14
	s_nop 1
	v_cndmask_b32_e64 v7, v36, v7, s[0:1]
	v_cmp_nlt_f32_e64 s[0:1], s15, v16
	;; [unrolled: 3-line block ×4, first 2 shown]
	v_cndmask_b32_e64 v8, v8, v11, s[4:5]
	s_nop 0
	v_cndmask_b32_e64 v12, v36, v5, s[0:1]
	v_cmp_nlt_f32_e64 s[0:1], s15, v19
	v_cndmask_b32_e64 v5, v9, v10, s[8:9]
	s_nop 0
	v_cndmask_b32_e64 v13, v36, v6, s[0:1]
	v_cndmask_b32_e32 v6, 0, v7, vcc
	v_cmp_le_f32_e32 vcc, s16, v19
	v_add_f32_e32 v10, v10, v6
	v_cvt_pk_f16_f32 v30, v6, v5
	v_cndmask_b32_e32 v9, 0, v13, vcc
	v_cvt_f16_f32_e32 v13, v9
	v_cndmask_b32_e64 v5, v6, v10, s[8:9]
	v_add_f32_e32 v6, v5, v11
	v_cndmask_b32_e64 v7, v15, v12, s[6:7]
	v_cndmask_b32_e64 v5, v5, v6, s[4:5]
	v_cvt_pk_f16_f32 v31, v8, v7
	v_add_f32_e32 v6, v5, v12
	v_mul_u32_u24_e32 v7, 0x10001, v13
	v_cndmask_b32_e64 v36, v5, v6, s[6:7]
	v_pk_mul_f16 v5, v81, v7
	v_pk_mul_f16 v10, v80, v7
	;; [unrolled: 1-line block ×16, first 2 shown]
	v_cvt_f32_f16_e32 v6, v5
	v_cvt_f32_f16_sdwa v7, v5 dst_sel:DWORD dst_unused:UNUSED_PAD src0_sel:WORD_1
	ds_read_u16 v0, v38
	ds_read_u16 v2, v38 offset:32
	ds_read_u16 v42, v38 offset:64
	;; [unrolled: 1-line block ×23, first 2 shown]
	ds_read_u16 v38, v40
	ds_read_u16 v64, v40 offset:32
	ds_read_u16 v65, v40 offset:64
	;; [unrolled: 1-line block ×7, first 2 shown]
	s_waitcnt lgkmcnt(7)
	v_perm_b32 v1, v38, v1, s2
	v_perm_b32 v0, v3, v0, s2
	v_fmac_f32_e32 v36, v22, v9
	v_cvt_f32_f16_e32 v8, v10
	v_cvt_f32_f16_sdwa v9, v10 dst_sel:DWORD dst_unused:UNUSED_PAD src0_sel:WORD_1
	s_waitcnt lgkmcnt(6)
	v_perm_b32 v5, v64, v5, s2
	v_perm_b32 v4, v4, v2, s2
	v_cvt_f32_f16_e32 v10, v11
	v_cvt_f32_f16_sdwa v11, v11 dst_sel:DWORD dst_unused:UNUSED_PAD src0_sel:WORD_1
	v_cvt_f32_f16_e32 v12, v13
	v_cvt_f32_f16_sdwa v13, v13 dst_sel:DWORD dst_unused:UNUSED_PAD src0_sel:WORD_1
	v_mfma_f32_16x16x16_f16 v[0:3], v[0:1], v[30:31], v[6:9]
	v_cvt_f32_f16_e32 v14, v15
	v_cvt_f32_f16_sdwa v15, v15 dst_sel:DWORD dst_unused:UNUSED_PAD src0_sel:WORD_1
	v_cvt_f32_f16_e32 v16, v17
	s_waitcnt lgkmcnt(5)
	v_perm_b32 v9, v65, v56, s2
	v_perm_b32 v8, v50, v42, s2
	v_cvt_f32_f16_sdwa v17, v17 dst_sel:DWORD dst_unused:UNUSED_PAD src0_sel:WORD_1
	v_mfma_f32_16x16x16_f16 v[4:7], v[4:5], v[30:31], v[10:13]
	v_cvt_f32_f16_e32 v18, v19
	v_cvt_f32_f16_sdwa v19, v19 dst_sel:DWORD dst_unused:UNUSED_PAD src0_sel:WORD_1
	v_cvt_f32_f16_e32 v20, v21
	s_waitcnt lgkmcnt(4)
	v_perm_b32 v13, v66, v57, s2
	v_perm_b32 v12, v51, v44, s2
	;; [unrolled: 8-line block ×4, first 2 shown]
	v_cvt_f32_f16_sdwa v29, v29 dst_sel:DWORD dst_unused:UNUSED_PAD src0_sel:WORD_1
	ds_bpermute_b32 v46, v35, v36
	v_mfma_f32_16x16x16_f16 v[16:19], v[16:17], v[30:31], v[22:25]
	v_cvt_f32_f16_e32 v38, v39
	v_cvt_f32_f16_sdwa v39, v39 dst_sel:DWORD dst_unused:UNUSED_PAD src0_sel:WORD_1
	v_cvt_f32_f16_e32 v40, v41
	s_waitcnt lgkmcnt(2)
	v_perm_b32 v25, v69, v60, s2
	v_perm_b32 v24, v54, v48, s2
	v_cvt_f32_f16_sdwa v41, v41 dst_sel:DWORD dst_unused:UNUSED_PAD src0_sel:WORD_1
	v_mfma_f32_16x16x16_f16 v[20:23], v[20:21], v[30:31], v[26:29]
	v_cvt_f32_f16_e32 v42, v43
	v_cvt_f32_f16_sdwa v43, v43 dst_sel:DWORD dst_unused:UNUSED_PAD src0_sel:WORD_1
	v_cvt_f32_f16_e32 v44, v45
	s_waitcnt lgkmcnt(1)
	v_perm_b32 v29, v70, v61, s2
	v_perm_b32 v28, v55, v49, s2
	v_cvt_f32_f16_sdwa v45, v45 dst_sel:DWORD dst_unused:UNUSED_PAD src0_sel:WORD_1
	s_waitcnt lgkmcnt(0)
	v_add_f32_e32 v36, v36, v46
	v_mfma_f32_16x16x16_f16 v[24:27], v[24:25], v[30:31], v[38:41]
	v_cmp_gt_u32_e64 s[0:1], 16, v32
	s_barrier
	s_nop 0
	ds_bpermute_b32 v38, v37, v36
	v_mfma_f32_16x16x16_f16 v[28:31], v[28:29], v[30:31], v[42:45]
	s_waitcnt lgkmcnt(0)
	s_and_saveexec_b64 s[2:3], s[0:1]
; %bb.315:
	v_add_f32_e32 v36, v36, v38
	v_or_b32_e32 v38, v112, v32
	s_movk_i32 s4, 0x110
	v_mad_u32_u24 v38, v38, s4, 0
	ds_write2_b32 v38, v34, v36 offset0:64 offset1:65
; %bb.316:
	s_or_b64 exec, exec, s[2:3]
	v_and_b32_e32 v34, 3, v113
	v_cmp_eq_u32_e32 vcc, 0, v34
	v_cmp_ne_u32_e64 s[4:5], 0, v34
	s_waitcnt lgkmcnt(0)
	s_barrier
	s_and_saveexec_b64 s[2:3], s[4:5]
	s_xor_b64 s[2:3], exec, s[2:3]
	s_cbranch_execz .LBB24_318
; %bb.317:
	s_barrier
                                        ; implicit-def: $vgpr35
                                        ; implicit-def: $vgpr37
                                        ; implicit-def: $vgpr114
.LBB24_318:
	s_andn2_saveexec_b64 s[2:3], s[2:3]
	s_cbranch_execz .LBB24_322
; %bb.319:
	v_add_u32_e32 v34, v112, v32
	s_movk_i32 s4, 0x110
	v_mad_u32_u24 v40, v34, s4, 0
	ds_read_b64 v[38:39], v40 offset:256
	s_mov_b32 s4, 0x3fb8aa3b
	s_mov_b32 s6, 0x42b17218
	s_mov_b32 s7, 0
	s_waitcnt lgkmcnt(0)
	ds_bpermute_b32 v34, v35, v38
	v_max_f32_e32 v36, v38, v38
	s_barrier
	s_waitcnt lgkmcnt(0)
	v_max_f32_e32 v34, v34, v34
	v_max_f32_e32 v34, v36, v34
	ds_bpermute_b32 v36, v37, v34
	s_waitcnt lgkmcnt(0)
	v_max_f32_e32 v36, v36, v36
	v_max_f32_e32 v34, v34, v36
	v_sub_f32_e32 v36, v38, v34
	v_mul_f32_e32 v38, 0x3fb8aa3b, v36
	v_fma_f32 v41, v36, s4, -v38
	v_rndne_f32_e32 v42, v38
	v_fmamk_f32 v41, v36, 0x32a5705f, v41
	v_sub_f32_e32 v38, v38, v42
	v_add_f32_e32 v38, v38, v41
	v_cvt_i32_f32_e32 v42, v42
	v_exp_f32_e32 v38, v38
	s_mov_b32 s4, 0xc2ce8ed0
	v_cmp_ngt_f32_e64 s[4:5], s4, v36
	v_mov_b32_e32 v41, 0x7f800000
	v_ldexp_f32 v38, v38, v42
	v_cndmask_b32_e64 v38, 0, v38, s[4:5]
	v_cmp_nlt_f32_e64 s[4:5], s6, v36
	s_nop 1
	v_cndmask_b32_e64 v36, v41, v38, s[4:5]
	v_mul_f32_e32 v38, v39, v36
	ds_bpermute_b32 v35, v35, v38
	s_waitcnt lgkmcnt(0)
	v_fmac_f32_e32 v35, v39, v36
	ds_bpermute_b32 v37, v37, v35
	s_waitcnt lgkmcnt(0)
	v_add_f32_e32 v37, v35, v37
	ds_write_b64 v40, v[36:37] offset:256
	s_and_saveexec_b64 s[4:5], s[0:1]
	s_cbranch_execz .LBB24_321
; %bb.320:
	s_add_i32 s0, s60, s61
	s_lshl_b32 s6, s0, 4
	s_lshl_b64 s[0:1], s[6:7], 3
	s_add_u32 s0, s50, s0
	v_or_b32_e32 v35, v114, v32
	s_addc_u32 s1, s51, s1
	v_lshlrev_b32_e32 v36, 3, v35
	v_mov_b32_e32 v35, v37
	global_store_dwordx2 v36, v[34:35], s[0:1]
.LBB24_321:
	s_or_b64 exec, exec, s[4:5]
.LBB24_322:
	s_or_b64 exec, exec, s[2:3]
	v_cvt_pk_f16_f32 v2, v2, v3
	v_cvt_pk_f16_f32 v3, v4, v5
	;; [unrolled: 1-line block ×4, first 2 shown]
	v_or_b32_e32 v16, v112, v62
	v_mul_u32_u24_e32 v16, 0x110, v16
	v_cvt_pk_f16_f32 v0, v0, v1
	s_movk_i32 s4, 0x110
	s_mov_b32 s3, 0
	v_add3_u32 v16, 0, v16, v63
	v_cvt_pk_f16_f32 v1, v6, v7
	v_cvt_pk_f16_f32 v4, v10, v11
	v_cvt_pk_f16_f32 v6, v14, v15
	v_cvt_pk_f16_f32 v7, v12, v13
	v_cvt_pk_f16_f32 v8, v18, v19
	v_cvt_pk_f16_f32 v10, v22, v23
	v_cvt_pk_f16_f32 v11, v20, v21
	v_cvt_pk_f16_f32 v12, v26, v27
	v_cvt_pk_f16_f32 v13, v24, v25
	v_cvt_pk_f16_f32 v14, v30, v31
	v_cvt_pk_f16_f32 v15, v28, v29
	ds_write2_b32 v16, v0, v2 offset1:1
	ds_write2_b32 v16, v3, v1 offset0:8 offset1:9
	ds_write2_b32 v16, v5, v4 offset0:16 offset1:17
	ds_write2_b32 v16, v7, v6 offset0:24 offset1:25
	ds_write2_b32 v16, v9, v8 offset0:32 offset1:33
	ds_write2_b32 v16, v11, v10 offset0:40 offset1:41
	ds_write2_b32 v16, v13, v12 offset0:48 offset1:49
	ds_write2_b32 v16, v15, v14 offset0:56 offset1:57
	s_waitcnt lgkmcnt(0)
	s_barrier
	s_and_saveexec_b64 s[0:1], vcc
	s_cbranch_execz .LBB24_324
; %bb.323:
	s_lshl_b32 s2, s61, 10
	s_lshl_b64 s[6:7], s[2:3], 3
	s_add_u32 s5, s50, s6
	s_addc_u32 s6, s51, s7
	v_bfe_u32 v1, v113, 2, 4
	s_movk_i32 s7, 0x3c0
	v_and_or_b32 v1, v113, s7, v1
	v_mad_u32_u24 v10, v1, s4, v33
	ds_read2st64_b32 v[2:3], v10 offset1:17
	v_mad_u32_u24 v1, v1, s4, 0
	ds_read2st64_b32 v[4:5], v1 offset0:1 offset1:18
	ds_read2st64_b32 v[8:9], v1 offset0:35 offset1:52
	;; [unrolled: 1-line block ×3, first 2 shown]
	v_lshrrev_b32_e32 v0, 2, v113
	s_waitcnt lgkmcnt(3)
	v_cvt_f32_f16_e32 v6, v2
	v_cvt_f32_f16_sdwa v7, v2 dst_sel:DWORD dst_unused:UNUSED_PAD src0_sel:WORD_1
	v_cvt_f32_f16_e32 v2, v3
	v_cvt_f32_f16_sdwa v3, v3 dst_sel:DWORD dst_unused:UNUSED_PAD src0_sel:WORD_1
	s_waitcnt lgkmcnt(0)
	v_cvt_f32_f16_e32 v12, v10
	v_cvt_f32_f16_sdwa v13, v10 dst_sel:DWORD dst_unused:UNUSED_PAD src0_sel:WORD_1
	v_cvt_f32_f16_e32 v10, v11
	v_cvt_f32_f16_sdwa v11, v11 dst_sel:DWORD dst_unused:UNUSED_PAD src0_sel:WORD_1
	v_pk_fma_f32 v[6:7], v[4:5], v[6:7], 0 op_sel_hi:[0,1,0]
	v_mov_b32_e32 v4, v5
	s_lshl_b32 s2, s60, 5
	v_pk_fma_f32 v[2:3], v[4:5], v[2:3], v[6:7] op_sel_hi:[0,1,1]
	s_lshl_b64 s[2:3], s[2:3], 3
	v_pk_fma_f32 v[2:3], v[8:9], v[12:13], v[2:3] op_sel_hi:[0,1,1]
	v_mov_b32_e32 v4, v9
	v_add_u32_e32 v6, 1, v0
	s_add_u32 s2, s5, s2
	v_pk_fma_f32 v[2:3], v[4:5], v[10:11], v[2:3] op_sel_hi:[0,1,1]
	v_lshlrev_b32_e32 v4, 2, v6
	v_and_b32_e32 v5, 15, v6
	s_movk_i32 s5, 0x7c0
	v_and_or_b32 v7, v4, s5, v5
	v_mad_u32_u24 v10, v7, s4, v33
	s_addc_u32 s3, s6, s3
	v_add_lshl_u32 v1, v112, v32, 3
	ds_read2st64_b32 v[4:5], v10 offset1:17
	global_store_dwordx2 v1, v[2:3], s[2:3]
	v_mad_u32_u24 v1, v7, s4, 0
	ds_read2st64_b32 v[2:3], v1 offset0:1 offset1:18
	ds_read2st64_b32 v[8:9], v1 offset0:35 offset1:52
	ds_read2st64_b32 v[10:11], v10 offset0:34 offset1:51
	v_lshlrev_b32_e32 v12, 6, v6
	s_waitcnt lgkmcnt(3)
	v_cvt_f32_f16_e32 v6, v4
	v_cvt_f32_f16_sdwa v7, v4 dst_sel:DWORD dst_unused:UNUSED_PAD src0_sel:WORD_1
	v_cvt_f32_f16_e32 v4, v5
	v_cvt_f32_f16_sdwa v5, v5 dst_sel:DWORD dst_unused:UNUSED_PAD src0_sel:WORD_1
	v_add_lshl_u32 v1, v12, v32, 3
	s_waitcnt lgkmcnt(0)
	v_cvt_f32_f16_e32 v12, v10
	v_cvt_f32_f16_sdwa v13, v10 dst_sel:DWORD dst_unused:UNUSED_PAD src0_sel:WORD_1
	v_cvt_f32_f16_e32 v10, v11
	v_cvt_f32_f16_sdwa v11, v11 dst_sel:DWORD dst_unused:UNUSED_PAD src0_sel:WORD_1
	v_pk_fma_f32 v[6:7], v[2:3], v[6:7], 0 op_sel_hi:[0,1,0]
	v_mov_b32_e32 v2, v3
	v_pk_fma_f32 v[2:3], v[2:3], v[4:5], v[6:7] op_sel_hi:[0,1,1]
	v_pk_fma_f32 v[2:3], v[8:9], v[12:13], v[2:3] op_sel_hi:[0,1,1]
	v_mov_b32_e32 v4, v9
	v_add_u32_e32 v6, 2, v0
	v_pk_fma_f32 v[2:3], v[4:5], v[10:11], v[2:3] op_sel_hi:[0,1,1]
	v_lshlrev_b32_e32 v4, 2, v6
	v_and_b32_e32 v5, 15, v6
	v_and_or_b32 v7, v4, s5, v5
	v_mad_u32_u24 v10, v7, s4, v33
	ds_read2st64_b32 v[4:5], v10 offset1:17
	global_store_dwordx2 v1, v[2:3], s[2:3]
	v_mad_u32_u24 v1, v7, s4, 0
	ds_read2st64_b32 v[2:3], v1 offset0:1 offset1:18
	ds_read2st64_b32 v[8:9], v1 offset0:35 offset1:52
	ds_read2st64_b32 v[10:11], v10 offset0:34 offset1:51
	v_lshlrev_b32_e32 v12, 6, v6
	s_waitcnt lgkmcnt(3)
	v_cvt_f32_f16_e32 v6, v4
	v_cvt_f32_f16_sdwa v7, v4 dst_sel:DWORD dst_unused:UNUSED_PAD src0_sel:WORD_1
	v_cvt_f32_f16_e32 v4, v5
	v_cvt_f32_f16_sdwa v5, v5 dst_sel:DWORD dst_unused:UNUSED_PAD src0_sel:WORD_1
	v_add_lshl_u32 v1, v12, v32, 3
	s_waitcnt lgkmcnt(0)
	v_cvt_f32_f16_e32 v12, v10
	v_cvt_f32_f16_sdwa v13, v10 dst_sel:DWORD dst_unused:UNUSED_PAD src0_sel:WORD_1
	v_cvt_f32_f16_e32 v10, v11
	v_cvt_f32_f16_sdwa v11, v11 dst_sel:DWORD dst_unused:UNUSED_PAD src0_sel:WORD_1
	v_pk_fma_f32 v[6:7], v[2:3], v[6:7], 0 op_sel_hi:[0,1,0]
	v_mov_b32_e32 v2, v3
	v_pk_fma_f32 v[2:3], v[2:3], v[4:5], v[6:7] op_sel_hi:[0,1,1]
	v_pk_fma_f32 v[2:3], v[8:9], v[12:13], v[2:3] op_sel_hi:[0,1,1]
	v_mov_b32_e32 v4, v9
	v_add_u32_e32 v6, 3, v0
	v_pk_fma_f32 v[2:3], v[4:5], v[10:11], v[2:3] op_sel_hi:[0,1,1]
	v_lshlrev_b32_e32 v4, 2, v6
	v_and_b32_e32 v5, 15, v6
	v_and_or_b32 v7, v4, s5, v5
	v_mad_u32_u24 v10, v7, s4, v33
	;; [unrolled: 29-line block ×13, first 2 shown]
	ds_read2st64_b32 v[4:5], v10 offset1:17
	global_store_dwordx2 v1, v[2:3], s[2:3]
	v_mad_u32_u24 v1, v7, s4, 0
	ds_read2st64_b32 v[2:3], v1 offset0:1 offset1:18
	ds_read2st64_b32 v[8:9], v1 offset0:35 offset1:52
	;; [unrolled: 1-line block ×3, first 2 shown]
	v_lshlrev_b32_e32 v12, 6, v6
	s_waitcnt lgkmcnt(3)
	v_cvt_f32_f16_e32 v6, v4
	v_cvt_f32_f16_sdwa v7, v4 dst_sel:DWORD dst_unused:UNUSED_PAD src0_sel:WORD_1
	v_cvt_f32_f16_e32 v4, v5
	v_cvt_f32_f16_sdwa v5, v5 dst_sel:DWORD dst_unused:UNUSED_PAD src0_sel:WORD_1
	v_add_lshl_u32 v14, v12, v32, 3
	s_waitcnt lgkmcnt(0)
	v_cvt_f32_f16_e32 v12, v10
	v_cvt_f32_f16_sdwa v13, v10 dst_sel:DWORD dst_unused:UNUSED_PAD src0_sel:WORD_1
	v_cvt_f32_f16_e32 v10, v11
	v_cvt_f32_f16_sdwa v11, v11 dst_sel:DWORD dst_unused:UNUSED_PAD src0_sel:WORD_1
	v_pk_fma_f32 v[6:7], v[2:3], v[6:7], 0 op_sel_hi:[0,1,0]
	v_mov_b32_e32 v2, v3
	v_pk_fma_f32 v[2:3], v[2:3], v[4:5], v[6:7] op_sel_hi:[0,1,1]
	v_pk_fma_f32 v[2:3], v[8:9], v[12:13], v[2:3] op_sel_hi:[0,1,1]
	v_mov_b32_e32 v4, v9
	v_pk_fma_f32 v[2:3], v[4:5], v[10:11], v[2:3] op_sel_hi:[0,1,1]
	v_add_u32_e32 v4, 15, v0
	v_lshlrev_b32_e32 v0, 2, v4
	v_and_b32_e32 v1, 15, v4
	v_and_or_b32 v5, v0, s5, v1
	v_mad_u32_u24 v8, v5, s4, v33
	ds_read2st64_b32 v[0:1], v8 offset1:17
	global_store_dwordx2 v14, v[2:3], s[2:3]
	v_mad_u32_u24 v6, v5, s4, 0
	ds_read2st64_b32 v[2:3], v6 offset0:1 offset1:18
	ds_read2st64_b32 v[6:7], v6 offset0:35 offset1:52
	;; [unrolled: 1-line block ×3, first 2 shown]
	v_lshlrev_b32_e32 v10, 6, v4
	s_waitcnt lgkmcnt(3)
	v_cvt_f32_f16_e32 v4, v0
	v_cvt_f32_f16_sdwa v5, v0 dst_sel:DWORD dst_unused:UNUSED_PAD src0_sel:WORD_1
	v_cvt_f32_f16_e32 v0, v1
	v_cvt_f32_f16_sdwa v1, v1 dst_sel:DWORD dst_unused:UNUSED_PAD src0_sel:WORD_1
	v_add_lshl_u32 v12, v10, v32, 3
	s_waitcnt lgkmcnt(0)
	v_cvt_f32_f16_e32 v10, v8
	v_cvt_f32_f16_sdwa v11, v8 dst_sel:DWORD dst_unused:UNUSED_PAD src0_sel:WORD_1
	v_cvt_f32_f16_e32 v8, v9
	v_cvt_f32_f16_sdwa v9, v9 dst_sel:DWORD dst_unused:UNUSED_PAD src0_sel:WORD_1
	v_pk_fma_f32 v[4:5], v[2:3], v[4:5], 0 op_sel_hi:[0,1,0]
	v_mov_b32_e32 v2, v3
	v_pk_fma_f32 v[0:1], v[2:3], v[0:1], v[4:5] op_sel_hi:[0,1,1]
	v_pk_fma_f32 v[0:1], v[6:7], v[10:11], v[0:1] op_sel_hi:[0,1,1]
	v_mov_b32_e32 v2, v7
	v_pk_fma_f32 v[0:1], v[2:3], v[8:9], v[0:1] op_sel_hi:[0,1,1]
	global_store_dwordx2 v12, v[0:1], s[2:3]
.LBB24_324:
	s_or_b64 exec, exec, s[0:1]
	s_barrier
	s_endpgm
	.section	.rodata,"a",@progbits
	.p2align	6, 0x0
	.amdhsa_kernel _ZL18flash_attn_ext_f16ILi128ELi128ELi16ELi1ELb0ELb0EEvPKcS1_S1_S1_S1_PKiPfP15HIP_vector_typeIfLj2EEffffjfiS5_IjLj3EEiiiiiiiiiiiliiliiiiil
		.amdhsa_group_segment_fixed_size 0
		.amdhsa_private_segment_fixed_size 32
		.amdhsa_kernarg_size 464
		.amdhsa_user_sgpr_count 2
		.amdhsa_user_sgpr_dispatch_ptr 0
		.amdhsa_user_sgpr_queue_ptr 0
		.amdhsa_user_sgpr_kernarg_segment_ptr 1
		.amdhsa_user_sgpr_dispatch_id 0
		.amdhsa_user_sgpr_kernarg_preload_length 0
		.amdhsa_user_sgpr_kernarg_preload_offset 0
		.amdhsa_user_sgpr_private_segment_size 0
		.amdhsa_uses_dynamic_stack 0
		.amdhsa_enable_private_segment 1
		.amdhsa_system_sgpr_workgroup_id_x 1
		.amdhsa_system_sgpr_workgroup_id_y 0
		.amdhsa_system_sgpr_workgroup_id_z 0
		.amdhsa_system_sgpr_workgroup_info 0
		.amdhsa_system_vgpr_workitem_id 1
		.amdhsa_next_free_vgpr 221
		.amdhsa_next_free_sgpr 100
		.amdhsa_accum_offset 224
		.amdhsa_reserve_vcc 1
		.amdhsa_float_round_mode_32 0
		.amdhsa_float_round_mode_16_64 0
		.amdhsa_float_denorm_mode_32 3
		.amdhsa_float_denorm_mode_16_64 3
		.amdhsa_dx10_clamp 1
		.amdhsa_ieee_mode 1
		.amdhsa_fp16_overflow 0
		.amdhsa_tg_split 0
		.amdhsa_exception_fp_ieee_invalid_op 0
		.amdhsa_exception_fp_denorm_src 0
		.amdhsa_exception_fp_ieee_div_zero 0
		.amdhsa_exception_fp_ieee_overflow 0
		.amdhsa_exception_fp_ieee_underflow 0
		.amdhsa_exception_fp_ieee_inexact 0
		.amdhsa_exception_int_div_zero 0
	.end_amdhsa_kernel
	.section	.text._ZL18flash_attn_ext_f16ILi128ELi128ELi16ELi1ELb0ELb0EEvPKcS1_S1_S1_S1_PKiPfP15HIP_vector_typeIfLj2EEffffjfiS5_IjLj3EEiiiiiiiiiiiliiliiiiil,"axG",@progbits,_ZL18flash_attn_ext_f16ILi128ELi128ELi16ELi1ELb0ELb0EEvPKcS1_S1_S1_S1_PKiPfP15HIP_vector_typeIfLj2EEffffjfiS5_IjLj3EEiiiiiiiiiiiliiliiiiil,comdat
.Lfunc_end24:
	.size	_ZL18flash_attn_ext_f16ILi128ELi128ELi16ELi1ELb0ELb0EEvPKcS1_S1_S1_S1_PKiPfP15HIP_vector_typeIfLj2EEffffjfiS5_IjLj3EEiiiiiiiiiiiliiliiiiil, .Lfunc_end24-_ZL18flash_attn_ext_f16ILi128ELi128ELi16ELi1ELb0ELb0EEvPKcS1_S1_S1_S1_PKiPfP15HIP_vector_typeIfLj2EEffffjfiS5_IjLj3EEiiiiiiiiiiiliiliiiiil
                                        ; -- End function
	.set _ZL18flash_attn_ext_f16ILi128ELi128ELi16ELi1ELb0ELb0EEvPKcS1_S1_S1_S1_PKiPfP15HIP_vector_typeIfLj2EEffffjfiS5_IjLj3EEiiiiiiiiiiiliiliiiiil.num_vgpr, 221
	.set _ZL18flash_attn_ext_f16ILi128ELi128ELi16ELi1ELb0ELb0EEvPKcS1_S1_S1_S1_PKiPfP15HIP_vector_typeIfLj2EEffffjfiS5_IjLj3EEiiiiiiiiiiiliiliiiiil.num_agpr, 0
	.set _ZL18flash_attn_ext_f16ILi128ELi128ELi16ELi1ELb0ELb0EEvPKcS1_S1_S1_S1_PKiPfP15HIP_vector_typeIfLj2EEffffjfiS5_IjLj3EEiiiiiiiiiiiliiliiiiil.numbered_sgpr, 100
	.set _ZL18flash_attn_ext_f16ILi128ELi128ELi16ELi1ELb0ELb0EEvPKcS1_S1_S1_S1_PKiPfP15HIP_vector_typeIfLj2EEffffjfiS5_IjLj3EEiiiiiiiiiiiliiliiiiil.num_named_barrier, 0
	.set _ZL18flash_attn_ext_f16ILi128ELi128ELi16ELi1ELb0ELb0EEvPKcS1_S1_S1_S1_PKiPfP15HIP_vector_typeIfLj2EEffffjfiS5_IjLj3EEiiiiiiiiiiiliiliiiiil.private_seg_size, 32
	.set _ZL18flash_attn_ext_f16ILi128ELi128ELi16ELi1ELb0ELb0EEvPKcS1_S1_S1_S1_PKiPfP15HIP_vector_typeIfLj2EEffffjfiS5_IjLj3EEiiiiiiiiiiiliiliiiiil.uses_vcc, 1
	.set _ZL18flash_attn_ext_f16ILi128ELi128ELi16ELi1ELb0ELb0EEvPKcS1_S1_S1_S1_PKiPfP15HIP_vector_typeIfLj2EEffffjfiS5_IjLj3EEiiiiiiiiiiiliiliiiiil.uses_flat_scratch, 0
	.set _ZL18flash_attn_ext_f16ILi128ELi128ELi16ELi1ELb0ELb0EEvPKcS1_S1_S1_S1_PKiPfP15HIP_vector_typeIfLj2EEffffjfiS5_IjLj3EEiiiiiiiiiiiliiliiiiil.has_dyn_sized_stack, 0
	.set _ZL18flash_attn_ext_f16ILi128ELi128ELi16ELi1ELb0ELb0EEvPKcS1_S1_S1_S1_PKiPfP15HIP_vector_typeIfLj2EEffffjfiS5_IjLj3EEiiiiiiiiiiiliiliiiiil.has_recursion, 0
	.set _ZL18flash_attn_ext_f16ILi128ELi128ELi16ELi1ELb0ELb0EEvPKcS1_S1_S1_S1_PKiPfP15HIP_vector_typeIfLj2EEffffjfiS5_IjLj3EEiiiiiiiiiiiliiliiiiil.has_indirect_call, 0
	.section	.AMDGPU.csdata,"",@progbits
; Kernel info:
; codeLenInByte = 43984
; TotalNumSgprs: 106
; NumVgprs: 221
; NumAgprs: 0
; TotalNumVgprs: 221
; ScratchSize: 32
; MemoryBound: 0
; FloatMode: 240
; IeeeMode: 1
; LDSByteSize: 0 bytes/workgroup (compile time only)
; SGPRBlocks: 13
; VGPRBlocks: 27
; NumSGPRsForWavesPerEU: 106
; NumVGPRsForWavesPerEU: 221
; AccumOffset: 224
; Occupancy: 2
; WaveLimiterHint : 0
; COMPUTE_PGM_RSRC2:SCRATCH_EN: 1
; COMPUTE_PGM_RSRC2:USER_SGPR: 2
; COMPUTE_PGM_RSRC2:TRAP_HANDLER: 0
; COMPUTE_PGM_RSRC2:TGID_X_EN: 1
; COMPUTE_PGM_RSRC2:TGID_Y_EN: 0
; COMPUTE_PGM_RSRC2:TGID_Z_EN: 0
; COMPUTE_PGM_RSRC2:TIDIG_COMP_CNT: 1
; COMPUTE_PGM_RSRC3_GFX90A:ACCUM_OFFSET: 55
; COMPUTE_PGM_RSRC3_GFX90A:TG_SPLIT: 0
	.section	.text._ZL18flash_attn_ext_f16ILi128ELi128ELi16ELi1ELb1ELb0EEvPKcS1_S1_S1_S1_PKiPfP15HIP_vector_typeIfLj2EEffffjfiS5_IjLj3EEiiiiiiiiiiiliiliiiiil,"axG",@progbits,_ZL18flash_attn_ext_f16ILi128ELi128ELi16ELi1ELb1ELb0EEvPKcS1_S1_S1_S1_PKiPfP15HIP_vector_typeIfLj2EEffffjfiS5_IjLj3EEiiiiiiiiiiiliiliiiiil,comdat
	.globl	_ZL18flash_attn_ext_f16ILi128ELi128ELi16ELi1ELb1ELb0EEvPKcS1_S1_S1_S1_PKiPfP15HIP_vector_typeIfLj2EEffffjfiS5_IjLj3EEiiiiiiiiiiiliiliiiiil ; -- Begin function _ZL18flash_attn_ext_f16ILi128ELi128ELi16ELi1ELb1ELb0EEvPKcS1_S1_S1_S1_PKiPfP15HIP_vector_typeIfLj2EEffffjfiS5_IjLj3EEiiiiiiiiiiiliiliiiiil
	.p2align	8
	.type	_ZL18flash_attn_ext_f16ILi128ELi128ELi16ELi1ELb1ELb0EEvPKcS1_S1_S1_S1_PKiPfP15HIP_vector_typeIfLj2EEffffjfiS5_IjLj3EEiiiiiiiiiiiliiliiiiil,@function
_ZL18flash_attn_ext_f16ILi128ELi128ELi16ELi1ELb1ELb0EEvPKcS1_S1_S1_S1_PKiPfP15HIP_vector_typeIfLj2EEffffjfiS5_IjLj3EEiiiiiiiiiiiliiliiiiil: ; @_ZL18flash_attn_ext_f16ILi128ELi128ELi16ELi1ELb1ELb0EEvPKcS1_S1_S1_S1_PKiPfP15HIP_vector_typeIfLj2EEffffjfiS5_IjLj3EEiiiiiiiiiiiliiliiiiil
; %bb.0:
	s_load_dwordx2 s[10:11], s[0:1], 0x80
	s_load_dwordx4 s[52:55], s[0:1], 0x64
	s_mov_b32 s60, s2
                                        ; implicit-def: $vgpr218 : SGPR spill to VGPR lane
	s_load_dword s61, s[0:1], 0xd0
	s_mov_b32 s4, 0
	s_waitcnt lgkmcnt(0)
	s_abs_i32 s2, s11
	v_cvt_f32_u32_e32 v1, s2
	s_sub_i32 s6, 0, s2
	s_abs_i32 s5, s53
	s_xor_b32 s3, s53, s11
	v_rcp_iflag_f32_e32 v1, v1
	s_ashr_i32 s3, s3, 31
	v_mul_f32_e32 v1, 0x4f7ffffe, v1
	v_cvt_u32_f32_e32 v1, v1
	s_nop 0
	v_readfirstlane_b32 s7, v1
	s_mul_i32 s6, s6, s7
	s_mul_hi_u32 s6, s7, s6
	s_add_i32 s7, s7, s6
	s_mul_hi_u32 s6, s5, s7
	s_mul_i32 s7, s6, s2
	s_sub_i32 s5, s5, s7
	s_add_i32 s8, s6, 1
	s_sub_i32 s7, s5, s2
	s_cmp_ge_u32 s5, s2
	s_cselect_b32 s6, s8, s6
	s_cselect_b32 s5, s7, s5
	s_add_i32 s7, s6, 1
	s_cmp_ge_u32 s5, s2
	s_cselect_b32 s2, s7, s6
	s_add_i32 s5, s10, 63
	s_xor_b32 s2, s2, s3
	s_ashr_i32 s6, s5, 31
	s_sub_i32 s3, s2, s3
	s_lshr_b32 s2, s6, 26
	s_add_i32 s5, s5, s2
	s_add_i32 s2, s52, 15
	s_lshr_b32 s2, s2, 4
	s_ashr_i32 s5, s5, 6
	v_writelane_b32 v218, s2, 0
	v_writelane_b32 v218, s5, 1
	s_mul_i32 s2, s2, s5
	v_writelane_b32 v218, s3, 2
	v_writelane_b32 v218, s2, 3
	s_mul_i32 s3, s2, s3
	s_mov_b32 s2, s10
	v_writelane_b32 v218, s2, 4
	s_nop 1
	v_writelane_b32 v218, s3, 5
	s_mul_i32 s2, s3, s11
	s_mul_i32 s8, s2, s54
	v_writelane_b32 v218, s3, 6
	s_ashr_i32 s9, s8, 31
	v_writelane_b32 v218, s2, 7
	s_mul_i32 s2, s9, s60
	s_mul_hi_u32 s3, s8, s60
	s_add_i32 s5, s3, s2
	s_cmp_lg_u64 s[4:5], 0
	s_mul_i32 s4, s8, s60
	s_cbranch_scc0 .LBB25_2
; %bb.1:
	s_add_u32 s2, s61, 0
	s_addc_u32 s3, 0, 0
	s_xor_b64 s[6:7], s[2:3], 0
	v_cvt_f32_u32_e32 v1, s6
	v_cvt_f32_u32_e32 v2, s7
	s_sub_u32 s12, 0, s6
	s_subb_u32 s13, 0, s7
	s_mov_b64 s[2:3], 0
	v_fmamk_f32 v1, v2, 0x4f800000, v1
	v_rcp_f32_e32 v1, v1
	s_nop 0
	v_mul_f32_e32 v1, 0x5f7ffffc, v1
	v_mul_f32_e32 v2, 0x2f800000, v1
	v_trunc_f32_e32 v2, v2
	v_fmamk_f32 v1, v2, 0xcf800000, v1
	v_cvt_u32_f32_e32 v2, v2
	v_cvt_u32_f32_e32 v1, v1
	v_readfirstlane_b32 s14, v2
	v_readfirstlane_b32 s10, v1
	s_mul_i32 s11, s12, s14
	s_mul_hi_u32 s16, s12, s10
	s_mul_i32 s15, s13, s10
	s_add_i32 s11, s16, s11
	s_add_i32 s11, s11, s15
	s_mul_i32 s17, s12, s10
	s_mul_i32 s16, s10, s11
	s_mul_hi_u32 s18, s10, s17
	s_mul_hi_u32 s15, s10, s11
	s_add_u32 s16, s18, s16
	s_addc_u32 s15, 0, s15
	s_mul_hi_u32 s19, s14, s17
	s_mul_i32 s17, s14, s17
	s_add_u32 s16, s16, s17
	s_mul_hi_u32 s18, s14, s11
	s_addc_u32 s15, s15, s19
	s_addc_u32 s16, s18, 0
	s_mul_i32 s11, s14, s11
	s_add_u32 s11, s15, s11
	s_addc_u32 s15, 0, s16
	s_add_u32 s16, s10, s11
	s_cselect_b64 s[10:11], -1, 0
	s_cmp_lg_u64 s[10:11], 0
	s_addc_u32 s14, s14, s15
	s_mul_i32 s10, s12, s14
	s_mul_hi_u32 s11, s12, s16
	s_add_i32 s10, s11, s10
	s_mul_i32 s13, s13, s16
	s_add_i32 s10, s10, s13
	s_mul_i32 s12, s12, s16
	s_mul_hi_u32 s13, s14, s12
	s_mul_i32 s15, s14, s12
	s_mul_i32 s18, s16, s10
	s_mul_hi_u32 s12, s16, s12
	s_mul_hi_u32 s17, s16, s10
	s_add_u32 s12, s12, s18
	s_addc_u32 s17, 0, s17
	s_add_u32 s12, s12, s15
	s_mul_hi_u32 s11, s14, s10
	s_addc_u32 s12, s17, s13
	s_addc_u32 s11, s11, 0
	s_mul_i32 s10, s14, s10
	s_add_u32 s10, s12, s10
	s_addc_u32 s12, 0, s11
	s_add_u32 s15, s16, s10
	s_cselect_b64 s[10:11], -1, 0
	s_cmp_lg_u64 s[10:11], 0
	s_addc_u32 s14, s14, s12
	s_ashr_i32 s10, s5, 31
	s_add_u32 s12, s4, s10
	s_mov_b32 s11, s10
	s_addc_u32 s13, s5, s10
	s_xor_b64 s[12:13], s[12:13], s[10:11]
	s_mul_i32 s16, s12, s14
	s_mul_hi_u32 s17, s12, s15
	s_mul_hi_u32 s5, s12, s14
	s_add_u32 s16, s17, s16
	s_addc_u32 s5, 0, s5
	s_mul_hi_u32 s18, s13, s15
	s_mul_i32 s15, s13, s15
	s_add_u32 s15, s16, s15
	s_mul_hi_u32 s17, s13, s14
	s_addc_u32 s5, s5, s18
	s_addc_u32 s15, s17, 0
	s_mul_i32 s14, s13, s14
	s_add_u32 s5, s5, s14
	s_addc_u32 s18, 0, s15
	s_mul_i32 s14, s6, s18
	s_mul_hi_u32 s15, s6, s5
	s_add_i32 s14, s15, s14
	s_mul_i32 s15, s7, s5
	s_add_i32 s19, s14, s15
	s_sub_i32 s16, s13, s19
	s_mul_i32 s14, s6, s5
	s_sub_u32 s12, s12, s14
	s_cselect_b64 s[14:15], -1, 0
	s_cmp_lg_u64 s[14:15], 0
	s_subb_u32 s20, s16, s7
	s_sub_u32 s21, s12, s6
	s_cselect_b64 s[16:17], -1, 0
	s_cmp_lg_u64 s[16:17], 0
	s_subb_u32 s16, s20, 0
	s_cmp_ge_u32 s16, s7
	s_cselect_b32 s17, -1, 0
	s_cmp_ge_u32 s21, s6
	s_cselect_b32 s20, -1, 0
	s_cmp_eq_u32 s16, s7
	s_cselect_b32 s16, s20, s17
	s_add_u32 s17, s5, 1
	s_addc_u32 s20, s18, 0
	s_add_u32 s21, s5, 2
	s_addc_u32 s22, s18, 0
	s_cmp_lg_u32 s16, 0
	s_cselect_b32 s16, s21, s17
	s_cselect_b32 s17, s22, s20
	s_cmp_lg_u64 s[14:15], 0
	s_subb_u32 s13, s13, s19
	s_cmp_ge_u32 s13, s7
	s_cselect_b32 s14, -1, 0
	s_cmp_ge_u32 s12, s6
	s_cselect_b32 s6, -1, 0
	s_cmp_eq_u32 s13, s7
	s_cselect_b32 s6, s6, s14
	s_cmp_lg_u32 s6, 0
	s_cselect_b32 s7, s17, s18
	s_cselect_b32 s6, s16, s5
	s_xor_b64 s[10:11], s[10:11], 0
	s_xor_b64 s[6:7], s[6:7], s[10:11]
	s_sub_u32 s80, s6, s10
	s_branch .LBB25_3
.LBB25_2:
	s_mov_b64 s[2:3], -1
                                        ; implicit-def: $sgpr80_sgpr81
.LBB25_3:
	s_load_dwordx2 s[6:7], s[0:1], 0x74
	v_cvt_f32_u32_e32 v1, s61
	s_andn2_b64 vcc, exec, s[2:3]
	s_waitcnt lgkmcnt(0)
	v_writelane_b32 v218, s6, 8
	s_nop 1
	v_writelane_b32 v218, s7, 9
	s_cbranch_vccnz .LBB25_5
; %bb.4:
	v_rcp_iflag_f32_e32 v2, v1
	s_sub_i32 s2, 0, s61
	v_mul_f32_e32 v2, 0x4f7ffffe, v2
	v_cvt_u32_f32_e32 v2, v2
	s_nop 0
	v_readfirstlane_b32 s3, v2
	s_mul_i32 s2, s2, s3
	s_mul_hi_u32 s2, s3, s2
	s_add_i32 s3, s3, s2
	s_mul_hi_u32 s2, s4, s3
	s_mul_i32 s5, s2, s61
	s_sub_i32 s4, s4, s5
	s_add_i32 s3, s2, 1
	s_sub_i32 s5, s4, s61
	s_cmp_ge_u32 s4, s61
	s_cselect_b32 s2, s3, s2
	s_cselect_b32 s4, s5, s4
	s_add_i32 s3, s2, 1
	s_cmp_ge_u32 s4, s61
	s_cselect_b32 s80, s3, s2
.LBB25_5:
	s_add_i32 s2, s60, 1
	s_mul_i32 s3, s9, s2
	s_mul_hi_u32 s4, s8, s2
	s_add_i32 s7, s4, s3
	s_mov_b32 s6, 0
	s_cmp_lg_u64 s[6:7], 0
	s_mul_i32 s6, s8, s2
	s_cbranch_scc0 .LBB25_388
; %bb.6:
	s_add_u32 s2, s61, 0
	s_addc_u32 s3, 0, 0
	s_xor_b64 s[4:5], s[2:3], 0
	v_cvt_f32_u32_e32 v2, s4
	v_cvt_f32_u32_e32 v3, s5
	s_sub_u32 s10, 0, s4
	s_subb_u32 s11, 0, s5
	v_fmamk_f32 v2, v3, 0x4f800000, v2
	v_rcp_f32_e32 v2, v2
	s_nop 0
	v_mul_f32_e32 v2, 0x5f7ffffc, v2
	v_mul_f32_e32 v3, 0x2f800000, v2
	v_trunc_f32_e32 v3, v3
	v_fmamk_f32 v2, v3, 0xcf800000, v2
	v_cvt_u32_f32_e32 v3, v3
	v_cvt_u32_f32_e32 v2, v2
	v_readfirstlane_b32 s12, v3
	v_readfirstlane_b32 s8, v2
	s_mul_i32 s9, s10, s12
	s_mul_hi_u32 s14, s10, s8
	s_mul_i32 s13, s11, s8
	s_add_i32 s9, s14, s9
	s_add_i32 s9, s9, s13
	s_mul_i32 s15, s10, s8
	s_mul_i32 s14, s8, s9
	s_mul_hi_u32 s16, s8, s15
	s_mul_hi_u32 s13, s8, s9
	s_add_u32 s14, s16, s14
	s_addc_u32 s13, 0, s13
	s_mul_hi_u32 s17, s12, s15
	s_mul_i32 s15, s12, s15
	s_add_u32 s14, s14, s15
	s_mul_hi_u32 s16, s12, s9
	s_addc_u32 s13, s13, s17
	s_addc_u32 s14, s16, 0
	s_mul_i32 s9, s12, s9
	s_add_u32 s9, s13, s9
	s_addc_u32 s13, 0, s14
	s_add_u32 s14, s8, s9
	s_cselect_b64 s[8:9], -1, 0
	s_cmp_lg_u64 s[8:9], 0
	s_addc_u32 s12, s12, s13
	s_mul_i32 s8, s10, s12
	s_mul_hi_u32 s9, s10, s14
	s_add_i32 s8, s9, s8
	s_mul_i32 s11, s11, s14
	s_add_i32 s8, s8, s11
	s_mul_i32 s10, s10, s14
	s_mul_hi_u32 s11, s12, s10
	s_mul_i32 s13, s12, s10
	s_mul_i32 s16, s14, s8
	s_mul_hi_u32 s10, s14, s10
	s_mul_hi_u32 s15, s14, s8
	s_add_u32 s10, s10, s16
	s_addc_u32 s15, 0, s15
	s_add_u32 s10, s10, s13
	s_mul_hi_u32 s9, s12, s8
	s_addc_u32 s10, s15, s11
	s_addc_u32 s9, s9, 0
	s_mul_i32 s8, s12, s8
	s_add_u32 s8, s10, s8
	s_addc_u32 s10, 0, s9
	s_add_u32 s13, s14, s8
	s_cselect_b64 s[8:9], -1, 0
	s_cmp_lg_u64 s[8:9], 0
	s_addc_u32 s12, s12, s10
	s_ashr_i32 s8, s7, 31
	s_add_u32 s10, s6, s8
	s_mov_b32 s9, s8
	s_addc_u32 s11, s7, s8
	s_xor_b64 s[10:11], s[10:11], s[8:9]
	s_mul_i32 s14, s10, s12
	s_mul_hi_u32 s15, s10, s13
	s_mul_hi_u32 s7, s10, s12
	s_add_u32 s14, s15, s14
	s_addc_u32 s7, 0, s7
	s_mul_hi_u32 s16, s11, s13
	s_mul_i32 s13, s11, s13
	s_add_u32 s13, s14, s13
	s_mul_hi_u32 s15, s11, s12
	s_addc_u32 s7, s7, s16
	s_addc_u32 s13, s15, 0
	s_mul_i32 s12, s11, s12
	s_add_u32 s7, s7, s12
	s_addc_u32 s16, 0, s13
	s_mul_i32 s12, s4, s16
	s_mul_hi_u32 s13, s4, s7
	s_add_i32 s12, s13, s12
	s_mul_i32 s13, s5, s7
	s_add_i32 s17, s12, s13
	s_sub_i32 s14, s11, s17
	s_mul_i32 s12, s4, s7
	s_sub_u32 s10, s10, s12
	s_cselect_b64 s[12:13], -1, 0
	s_cmp_lg_u64 s[12:13], 0
	s_subb_u32 s18, s14, s5
	s_sub_u32 s19, s10, s4
	s_cselect_b64 s[14:15], -1, 0
	s_cmp_lg_u64 s[14:15], 0
	s_subb_u32 s14, s18, 0
	s_cmp_ge_u32 s14, s5
	s_cselect_b32 s15, -1, 0
	s_cmp_ge_u32 s19, s4
	s_cselect_b32 s18, -1, 0
	s_cmp_eq_u32 s14, s5
	s_cselect_b32 s14, s18, s15
	s_add_u32 s15, s7, 1
	s_addc_u32 s18, s16, 0
	s_add_u32 s19, s7, 2
	s_addc_u32 s20, s16, 0
	s_cmp_lg_u32 s14, 0
	s_cselect_b32 s14, s19, s15
	s_cselect_b32 s15, s20, s18
	s_cmp_lg_u64 s[12:13], 0
	s_subb_u32 s11, s11, s17
	s_cmp_ge_u32 s11, s5
	s_cselect_b32 s12, -1, 0
	s_cmp_ge_u32 s10, s4
	s_cselect_b32 s4, -1, 0
	s_cmp_eq_u32 s11, s5
	s_cselect_b32 s4, s4, s12
	s_cmp_lg_u32 s4, 0
	s_cselect_b32 s5, s15, s16
	s_cselect_b32 s4, s14, s7
	s_xor_b64 s[8:9], s[8:9], 0
	s_xor_b64 s[4:5], s[4:5], s[8:9]
	s_sub_u32 s4, s4, s8
	v_writelane_b32 v218, s4, 10
	s_nop 1
	v_writelane_b32 v218, s5, 11
	s_load_dwordx2 s[70:71], s[0:1], 0x5c
	s_cbranch_execnz .LBB25_8
.LBB25_7:
	v_rcp_iflag_f32_e32 v1, v1
	s_sub_i32 s2, 0, s61
	v_mul_f32_e32 v1, 0x4f7ffffe, v1
	v_cvt_u32_f32_e32 v1, v1
	s_nop 0
	v_readfirstlane_b32 s3, v1
	s_mul_i32 s2, s2, s3
	s_mul_hi_u32 s2, s3, s2
	s_add_i32 s3, s3, s2
	s_mul_hi_u32 s2, s6, s3
	s_mul_i32 s4, s2, s61
	s_sub_i32 s4, s6, s4
	s_add_i32 s3, s2, 1
	s_sub_i32 s5, s4, s61
	s_cmp_ge_u32 s4, s61
	s_cselect_b32 s2, s3, s2
	s_cselect_b32 s4, s5, s4
	s_add_i32 s3, s2, 1
	s_cmp_ge_u32 s4, s61
	s_cselect_b32 s2, s3, s2
	v_writelane_b32 v218, s2, 10
	s_nop 1
	v_writelane_b32 v218, s3, 11
.LBB25_8:
	s_load_dwordx16 s[36:51], s[0:1], 0x0
	s_load_dwordx4 s[12:15], s[0:1], 0x40
	s_load_dwordx2 s[64:65], s[0:1], 0x50
	s_load_dwordx2 s[2:3], s[0:1], 0x8c
	s_load_dwordx4 s[56:59], s[0:1], 0x98
	s_load_dwordx2 s[4:5], s[0:1], 0xa8
	s_load_dwordx2 s[16:17], s[0:1], 0xb8
	s_nop 0
	s_load_dwordx2 s[0:1], s[0:1], 0xc8
	s_waitcnt lgkmcnt(0)
	v_cvt_f16_f32_e32 v117, s12
	s_ashr_i32 s68, s2, 2
	s_ashr_i32 s54, s58, 2
	v_writelane_b32 v218, s4, 12
	s_ashr_i32 s62, s17, 1
	v_bfe_u32 v113, v0, 10, 10
	v_writelane_b32 v218, s5, 13
	v_writelane_b32 v218, s0, 14
	s_mov_b32 s89, 0
	v_lshlrev_b32_e32 v114, 2, v113
	v_writelane_b32 v218, s1, 15
	s_ashr_i32 s0, s55, 3
	v_readlane_b32 s6, v218, 1
	s_abs_i32 s87, s6
	v_cvt_f32_u32_e32 v1, s87
	v_writelane_b32 v218, s0, 16
	s_mov_b32 s1, s3
	s_sub_i32 s2, 0, s87
	v_rcp_iflag_f32_e32 v1, v1
	v_writelane_b32 v218, s0, 17
	v_add_u32_e32 v116, 4, v113
	v_add_u32_e32 v59, 8, v113
	v_mul_f32_e32 v1, 0x4f7ffffe, v1
	v_cvt_u32_f32_e32 v1, v1
	v_writelane_b32 v218, s1, 18
	s_ashr_i32 s1, s6, 31
	v_writelane_b32 v218, s1, 19
	v_readfirstlane_b32 s3, v1
	s_mul_i32 s2, s2, s3
	s_mul_hi_u32 s2, s3, s2
	s_abs_i32 s1, s80
	s_add_i32 s33, s3, s2
	s_mul_hi_u32 s2, s1, s33
	s_mul_i32 s2, s2, s87
	s_sub_i32 s1, s1, s2
	s_ashr_i32 s0, s80, 31
	s_sub_i32 s2, s1, s87
	s_cmp_ge_u32 s1, s87
	s_cselect_b32 s1, s2, s1
	s_sub_i32 s2, s1, s87
	s_cmp_ge_u32 s1, s87
	s_cselect_b32 s1, s2, s1
	s_xor_b32 s1, s1, s0
	s_sub_i32 s28, s1, s0
	v_readlane_b32 s0, v218, 10
	s_mov_b32 s8, s0
	s_sub_i32 s0, s0, s80
	s_add_i32 s2, s0, s28
	s_min_i32 s82, s6, s2
	s_cmp_gt_i32 s8, s80
	v_readlane_b32 s1, v218, 11
	s_cselect_b64 s[4:5], -1, 0
	s_cmp_le_i32 s8, s80
	s_cselect_b64 s[0:1], -1, 0
	s_cmp_gt_i32 s6, s2
	s_cselect_b64 s[2:3], -1, 0
	s_or_b64 s[0:1], s[2:3], s[0:1]
	s_and_b64 vcc, exec, s[0:1]
	v_add_u32_e32 v55, 12, v113
	v_lshlrev_b32_e32 v112, 4, v113
	v_mbcnt_lo_u32_b32 v115, -1, 0
	s_cbranch_vccz .LBB25_11
; %bb.9:
	s_andn2_b64 vcc, exec, s[4:5]
	s_cbranch_vccz .LBB25_339
.LBB25_10:
	s_endpgm
.LBB25_11:
	s_cmp_lg_u64 s[42:43], 0
	v_writelane_b32 v218, s61, 20
	s_cselect_b64 s[0:1], -1, 0
	v_writelane_b32 v218, s0, 21
	s_cmp_eq_u64 s[44:45], 0
	v_and_b32_e32 v54, 0x3ff, v0
	v_writelane_b32 v218, s1, 22
	s_mul_i32 s0, s52, s53
	v_writelane_b32 v218, s0, 23
	s_cselect_b64 s[0:1], -1, 0
	v_lshlrev_b32_e32 v1, 2, v54
	v_bfe_u32 v8, v0, 4, 6
	v_writelane_b32 v218, s0, 24
	v_add_u32_e32 v120, v8, v114
	v_and_b32_e32 v58, 60, v1
	v_writelane_b32 v218, s1, 25
	s_mov_b64 s[2:3], s[14:15]
	s_mov_b32 s1, s13
	v_add_u32_e32 v118, 0, v1
	v_and_b32_e32 v2, 0x3f0, v114
	s_movk_i32 s5, 0x110
	v_and_b32_e32 v4, 15, v0
	v_lshrrev_b32_e32 v6, 1, v0
	v_mul_u32_u24_e32 v8, 0x110, v120
	v_lshlrev_b32_e32 v1, 2, v58
	v_writelane_b32 v218, s0, 26
	v_mad_u32_u24 v3, v2, s5, 0
	v_mul_u32_u24_e32 v5, 0x110, v4
	v_and_b32_e32 v6, 0x78, v6
	v_add3_u32 v121, 0, v8, v1
	v_bfe_u32 v1, v0, 2, 8
	v_writelane_b32 v218, s1, 27
	v_add3_u32 v119, v3, v5, v6
	v_and_b32_e32 v5, 48, v112
	v_and_b32_e32 v8, 60, v1
	v_writelane_b32 v218, s2, 28
	v_mad_u32_u24 v7, v5, s5, 0
	v_add_u32_e32 v122, v8, v5
	v_add_u16_e32 v5, v8, v5
	v_writelane_b32 v218, s3, 29
	v_cmp_nle_f32_e64 s[0:1], s13, 0
	v_or_b32_e32 v2, v2, v4
	v_lshrrev_b16_e32 v5, 1, v5
	v_writelane_b32 v218, s0, 30
	s_cmp_lg_u64 s[46:47], 0
	v_mul_u32_u24_e32 v2, 0x90, v2
	v_lshlrev_b32_e32 v5, 2, v5
	v_writelane_b32 v218, s1, 31
	s_cselect_b64 s[0:1], -1, 0
	v_add3_u32 v123, 0, v2, v5
	v_mul_u32_u24_e32 v2, 0x110, v8
	v_lshlrev_b32_e32 v5, 1, v4
	v_writelane_b32 v218, s0, 32
	v_add3_u32 v124, v7, v2, v5
	v_bfe_u32 v2, v0, 10, 2
	v_writelane_b32 v218, s1, 33
	v_cmp_eq_u32_e64 s[2:3], 0, v2
	v_bfe_u32 v5, v113, 2, 4
	s_movk_i32 s6, 0xc0
	v_writelane_b32 v218, s2, 34
	s_lshl_b32 s88, s60, 4
	s_ashr_i32 s63, s62, 31
	v_writelane_b32 v218, s3, 35
	v_cmp_ne_u32_e64 s[2:3], 0, v2
	v_or_b32_e32 v2, v114, v54
	v_lshlrev_b32_e32 v56, 3, v2
	v_lshrrev_b32_e32 v2, 10, v0
	v_bfe_u32 v125, v2, 2, 8
	v_add_u32_e32 v126, 1, v125
	v_and_or_b32 v2, v2, s6, v5
	v_lshlrev_b32_e32 v5, 2, v126
	v_and_b32_e32 v8, 15, v126
	s_movk_i32 s6, 0x1c0
	v_add_u32_e32 v127, 2, v125
	v_and_or_b32 v5, v5, s6, v8
	v_lshlrev_b32_e32 v8, 2, v127
	v_and_b32_e32 v9, 15, v127
	v_add_u32_e32 v128, 3, v125
	v_and_or_b32 v8, v8, s6, v9
	v_lshlrev_b32_e32 v9, 2, v128
	v_and_b32_e32 v10, 15, v128
	;; [unrolled: 4-line block ×8, first 2 shown]
	v_add_u32_e32 v135, 10, v125
	v_writelane_b32 v218, s2, 36
	v_and_or_b32 v15, v15, s6, v16
	v_lshlrev_b32_e32 v16, 2, v135
	v_and_b32_e32 v17, 15, v135
	v_add_u32_e32 v136, 11, v125
	v_writelane_b32 v218, s3, 37
	v_and_or_b32 v16, v16, s6, v17
	v_lshlrev_b32_e32 v17, 2, v136
	v_and_b32_e32 v18, 15, v136
	v_add_u32_e32 v137, 12, v125
	s_ashr_i32 s69, s68, 31
	s_ashr_i32 s55, s54, 31
	s_lshl_b32 s14, s68, 4
	s_lshl_b32 s15, s54, 4
	v_writelane_b32 v218, s60, 38
	s_lshl_b64 s[2:3], s[88:89], 3
	v_and_or_b32 v17, v17, s6, v18
	v_lshlrev_b32_e32 v18, 2, v137
	v_and_b32_e32 v19, 15, v137
	v_add_u32_e32 v138, 13, v125
	s_add_u32 s2, s50, s2
	v_and_or_b32 v18, v18, s6, v19
	v_lshlrev_b32_e32 v19, 2, v138
	v_and_b32_e32 v20, 15, v138
	v_add_u32_e32 v139, 14, v125
	v_readlane_b32 s22, v218, 7
	s_addc_u32 s3, s51, s3
	v_and_or_b32 v19, v19, s6, v20
	v_lshlrev_b32_e32 v20, 2, v139
	v_and_b32_e32 v21, 15, v139
	s_abs_i32 s23, s22
	v_and_or_b32 v20, v20, s6, v21
	v_cvt_f32_u32_e32 v21, s23
	v_readlane_b32 s21, v218, 6
	s_abs_i32 s24, s21
	v_cvt_f32_u32_e32 v22, s24
	v_rcp_iflag_f32_e32 v21, v21
	v_add_u32_e32 v140, 15, v125
	v_lshlrev_b32_e32 v23, 2, v140
	v_and_b32_e32 v24, 15, v140
	v_mul_f32_e32 v21, 0x4f7ffffe, v21
	v_readlane_b32 s20, v218, 3
	v_mul_u32_u24_e32 v3, 0x90, v113
	v_rcp_iflag_f32_e32 v22, v22
	v_and_or_b32 v23, v23, s6, v24
	v_cvt_u32_f32_e32 v21, v21
	s_abs_i32 s25, s20
	s_mov_b32 s6, s16
	v_lshlrev_b32_e32 v60, 1, v54
	v_cvt_f32_u32_e32 v24, s25
	v_writelane_b32 v218, s6, 39
	v_add3_u32 v141, 0, v3, v60
	v_mad_u32_u24 v3, v4, s5, v7
	s_movk_i32 s5, 0xfef2
	v_writelane_b32 v218, s7, 40
	v_mad_i32_i24 v144, v4, s5, v3
	s_lshl_b32 s5, s53, 6
	v_writelane_b32 v218, s5, 41
	s_ashr_i32 s5, s22, 31
	v_mul_f32_e32 v22, 0x4f7ffffe, v22
	s_abs_i32 s26, s16
	v_readfirstlane_b32 s16, v21
	v_writelane_b32 v218, s5, 42
	s_sub_i32 s5, 0, s23
	v_cvt_u32_f32_e32 v22, v22
	v_cvt_f32_u32_e32 v25, s26
	v_rcp_iflag_f32_e32 v21, v24
	s_mul_i32 s5, s5, s16
	s_mul_hi_u32 s5, s16, s5
	v_writelane_b32 v218, s23, 43
	s_add_i32 s5, s16, s5
	v_writelane_b32 v218, s5, 44
	s_ashr_i32 s5, s21, 31
	v_readfirstlane_b32 s17, v22
	v_rcp_iflag_f32_e32 v22, v25
	v_mul_f32_e32 v21, 0x4f7ffffe, v21
	v_writelane_b32 v218, s5, 45
	s_sub_i32 s5, 0, s24
	v_cvt_u32_f32_e32 v21, v21
	s_mul_i32 s5, s5, s17
	s_mul_hi_u32 s5, s17, s5
	v_writelane_b32 v218, s24, 46
	s_add_i32 s5, s17, s5
	v_mul_f32_e32 v22, 0x4f7ffffe, v22
	v_writelane_b32 v218, s5, 47
	s_ashr_i32 s5, s20, 31
	v_cvt_u32_f32_e32 v22, v22
	v_readfirstlane_b32 s18, v21
	v_writelane_b32 v218, s5, 48
	s_sub_i32 s5, 0, s25
	s_mul_i32 s5, s5, s18
	s_mul_hi_u32 s5, s18, s5
	v_writelane_b32 v218, s25, 49
	s_add_i32 s5, s18, s5
	v_readfirstlane_b32 s19, v22
	v_writelane_b32 v218, s5, 50
	s_sub_i32 s5, 0, s26
	s_mul_i32 s5, s5, s19
	s_mul_hi_u32 s5, s19, s5
	v_mov_b32_e32 v57, 0
	v_writelane_b32 v218, s26, 51
	s_add_i32 s5, s19, s5
	v_writelane_b32 v218, s5, 52
	v_lshl_add_u64 v[80:81], s[2:3], 0, v[56:57]
	v_cmp_gt_u32_e64 s[2:3], 16, v54
	v_mul_lo_u32 v62, s68, v120
	v_mul_lo_u32 v70, s54, v120
	v_writelane_b32 v218, s2, 53
	v_add_u32_e32 v64, s14, v62
	v_add_u32_e32 v72, s15, v70
	v_writelane_b32 v218, s3, 54
	s_mov_b32 s2, s62
	v_add_u32_e32 v66, s14, v64
	v_add_u32_e32 v74, s15, v72
	v_writelane_b32 v218, s2, 55
	v_add_u32_e32 v68, s14, v66
	v_or_b32_e32 v7, v112, v4
	v_add_u32_e32 v76, s15, v74
	v_or_b32_e32 v1, 3, v1
	v_writelane_b32 v218, s3, 56
	s_lshl_b64 s[2:3], s[62:63], 1
	s_mov_b32 s4, 0x10001
	v_ashrrev_i32_e32 v63, 31, v62
	v_ashrrev_i32_e32 v65, 31, v64
	v_ashrrev_i32_e32 v67, 31, v66
	v_ashrrev_i32_e32 v69, 31, v68
	v_mul_u32_u24_e32 v7, 0x110, v7
	v_ashrrev_i32_e32 v71, 31, v70
	v_ashrrev_i32_e32 v73, 31, v72
	;; [unrolled: 1-line block ×4, first 2 shown]
	v_mul_u32_u24_e32 v145, 0x110, v1
	v_add_u32_e32 v1, v112, v54
	v_writelane_b32 v218, s2, 57
	s_mov_b64 s[90:91], src_private_base
	v_cmp_gt_u32_e64 s[0:1], 64, v54
	v_cmp_gt_u32_e64 s[6:7], 64, v120
	;; [unrolled: 1-line block ×5, first 2 shown]
	v_add3_u32 v142, 0, v7, v6
	v_add_u32_e32 v143, v3, v6
	v_cmp_gt_u32_e64 s[14:15], 64, v122
	v_mul_u32_u24_e32 v146, 0x110, v1
	v_mul_u32_u24_e32 v147, 0x110, v2
	;; [unrolled: 1-line block ×17, first 2 shown]
	v_mov_b32_e32 v61, v57
	v_lshlrev_b32_e32 v78, 4, v4
	v_mov_b32_e32 v79, v57
	s_mov_b32 s53, 0x42b17218
	s_mov_b32 s23, 0x3fb8aa3b
	s_mov_b32 s74, 0xc2ce8ed0
	s_brev_b32 s75, -2
	s_mov_b32 s58, 0x3f200000
	v_mov_b32_e32 v2, v57
	s_mov_b32 s86, 0xc1a00000
	v_mul_lo_u32 v163, v117, s4
	s_mov_b32 s81, 0x5040100
	v_mov_b32_e32 v3, v57
	v_mov_b32_e32 v4, v57
	;; [unrolled: 1-line block ×3, first 2 shown]
	v_add_u32_e32 v164, 0x240, v141
	v_add_u32_e32 v165, 0x480, v141
	;; [unrolled: 1-line block ×9, first 2 shown]
	v_mul_u32_u24_e32 v173, 0x110, v113
	v_or_b32_e32 v174, 1, v122
	v_or_b32_e32 v175, 2, v122
	v_or_b32_e32 v176, 3, v122
	v_mov_b32_e32 v177, 0x3e91f4c4
	v_mov_b32_e32 v178, 0x3ca908c9
	;; [unrolled: 1-line block ×5, first 2 shown]
	v_mbcnt_hi_u32_b32 v182, -1, v115
	v_mov_b32_e32 v183, 0
	v_lshl_add_u64 v[82:83], v[70:71], 2, s[40:41]
	v_lshl_add_u64 v[84:85], v[72:73], 2, s[40:41]
	v_lshl_add_u64 v[86:87], v[74:75], 2, s[40:41]
	v_lshl_add_u64 v[88:89], v[76:77], 2, s[40:41]
	v_lshl_add_u64 v[90:91], v[62:63], 2, s[38:39]
	v_lshl_add_u64 v[92:93], v[64:65], 2, s[38:39]
	v_lshl_add_u64 v[94:95], v[66:67], 2, s[38:39]
	v_lshl_add_u64 v[96:97], v[68:69], 2, s[38:39]
	v_cmp_gt_u32_e64 s[16:17], 63, v122
	v_cmp_gt_u32_e64 s[18:19], 62, v122
	;; [unrolled: 1-line block ×3, first 2 shown]
	v_writelane_b32 v218, s3, 58
	s_lshl_b64 s[92:93], s[54:55], 8
	s_lshl_b64 s[2:3], s[68:69], 8
	s_mov_b64 s[94:95], 0x80
                                        ; implicit-def: $vgpr1
                                        ; implicit-def: $vgpr1
	;; [unrolled: 1-line block ×4, first 2 shown]
	v_writelane_b32 v218, s33, 59
	s_branch .LBB25_14
.LBB25_12:                              ;   in Loop: Header=BB25_14 Depth=1
	s_or_b64 exec, exec, s[24:25]
	s_barrier
.LBB25_13:                              ;   in Loop: Header=BB25_14 Depth=1
	v_readlane_b32 s25, v218, 1
	s_add_i32 s4, s80, s25
	s_abs_i32 s22, s4
	v_readlane_b32 s33, v218, 59
	s_mul_hi_u32 s24, s22, s33
	s_mul_i32 s24, s24, s87
	s_sub_i32 s22, s22, s24
	s_ashr_i32 s5, s4, 31
	s_sub_i32 s24, s22, s87
	s_cmp_ge_u32 s22, s87
	s_cselect_b32 s22, s24, s22
	s_sub_i32 s24, s22, s87
	s_cmp_ge_u32 s22, s87
	s_cselect_b32 s22, s24, s22
	s_xor_b32 s22, s22, s5
	s_sub_i32 s5, s5, s22
	s_add_i32 s80, s4, s5
	v_readlane_b32 s4, v218, 10
	s_sub_i32 s22, s4, s80
	s_min_i32 s82, s25, s22
	v_readlane_b32 s5, v218, 11
	s_cmp_gt_i32 s4, s80
	s_cselect_b64 s[4:5], -1, 0
	s_cmp_le_i32 s25, s22
	s_cselect_b64 s[24:25], -1, 0
	s_and_b64 s[24:25], s[24:25], s[4:5]
	s_mov_b32 s28, 0
	s_and_b64 vcc, exec, s[24:25]
	s_cbranch_vccz .LBB25_338
.LBB25_14:                              ; =>This Loop Header: Depth=1
                                        ;     Child Loop BB25_201 Depth 2
                                        ;     Child Loop BB25_42 Depth 2
	s_ashr_i32 s4, s80, 31
	v_readlane_b32 s5, v218, 42
	s_xor_b32 s4, s4, s5
	s_abs_i32 s5, s80
	v_readlane_b32 s22, v218, 44
	s_mul_hi_u32 s22, s5, s22
	v_readlane_b32 s26, v218, 43
	s_mul_i32 s24, s22, s26
	s_sub_i32 s5, s5, s24
	s_add_i32 s24, s22, 1
	s_sub_i32 s25, s5, s26
	s_cmp_ge_u32 s5, s26
	s_cselect_b32 s22, s24, s22
	s_cselect_b32 s5, s25, s5
	s_add_i32 s24, s22, 1
	s_cmp_ge_u32 s5, s26
	s_cselect_b32 s5, s24, s22
	s_xor_b32 s5, s5, s4
	s_sub_i32 s29, s5, s4
	v_readlane_b32 s4, v218, 21
	v_readlane_b32 s5, v218, 22
	s_ashr_i32 s30, s29, 31
	s_andn2_b64 vcc, exec, s[4:5]
	s_mov_b64 s[84:85], 0
	s_cbranch_vccnz .LBB25_16
; %bb.15:                               ;   in Loop: Header=BB25_14 Depth=1
	s_abs_i32 s4, s29
	v_readlane_b32 s5, v218, 52
	s_mul_hi_u32 s5, s4, s5
	v_readlane_b32 s22, v218, 51
	s_mul_i32 s5, s5, s22
	s_sub_i32 s4, s4, s5
	s_sub_i32 s5, s4, s22
	s_cmp_ge_u32 s4, s22
	s_cselect_b32 s4, s5, s4
	s_sub_i32 s5, s4, s22
	s_cmp_ge_u32 s4, s22
	s_cselect_b32 s4, s5, s4
	s_xor_b32 s4, s4, s30
	s_sub_i32 s4, s4, s30
	s_ashr_i32 s5, s4, 31
	v_readlane_b32 s24, v218, 14
	v_readlane_b32 s25, v218, 15
	s_mul_i32 s5, s24, s5
	s_mul_hi_u32 s22, s24, s4
	s_add_i32 s5, s22, s5
	s_mul_i32 s22, s25, s4
	s_add_i32 s5, s5, s22
	s_mul_i32 s4, s24, s4
	s_add_u32 s84, s42, s4
	s_addc_u32 s85, s43, s5
.LBB25_16:                              ;   in Loop: Header=BB25_14 Depth=1
	v_readlane_b32 s4, v218, 7
	s_mul_i32 s4, s29, s4
	s_sub_i32 s4, s80, s4
	s_ashr_i32 s5, s4, 31
	v_readlane_b32 s22, v218, 45
	s_xor_b32 s5, s5, s22
	s_abs_i32 s22, s4
	v_readlane_b32 s24, v218, 47
	s_mul_hi_u32 s24, s22, s24
	v_readlane_b32 s27, v218, 46
	s_mul_i32 s25, s24, s27
	s_sub_i32 s22, s22, s25
	s_add_i32 s25, s24, 1
	s_sub_i32 s26, s22, s27
	s_cmp_ge_u32 s22, s27
	s_cselect_b32 s24, s25, s24
	s_cselect_b32 s22, s26, s22
	s_add_i32 s25, s24, 1
	s_cmp_ge_u32 s22, s27
	s_cselect_b32 s22, s25, s24
	s_xor_b32 s22, s22, s5
	s_sub_i32 s31, s22, s5
	v_readlane_b32 s5, v218, 6
	s_mul_i32 s5, s31, s5
	s_sub_i32 s5, s4, s5
	s_ashr_i32 s4, s5, 31
	v_readlane_b32 s22, v218, 48
	s_xor_b32 s4, s4, s22
	s_abs_i32 s22, s5
	v_readlane_b32 s24, v218, 50
	s_mul_hi_u32 s24, s22, s24
	v_readlane_b32 s27, v218, 49
	s_mul_i32 s25, s24, s27
	s_sub_i32 s22, s22, s25
	s_add_i32 s25, s24, 1
	s_sub_i32 s26, s22, s27
	s_cmp_ge_u32 s22, s27
	s_cselect_b32 s24, s25, s24
	s_cselect_b32 s22, s26, s22
	s_add_i32 s25, s24, 1
	s_cmp_ge_u32 s22, s27
	s_cselect_b32 s22, s25, s24
	s_xor_b32 s22, s22, s4
	s_sub_i32 s22, s22, s4
	v_readlane_b32 s4, v218, 2
	v_readlane_b32 s24, v218, 30
	s_mul_i32 s4, s31, s4
	v_readlane_b32 s25, v218, 31
	s_add_i32 s4, s4, s22
	s_andn2_b64 vcc, exec, s[24:25]
	v_mov_b32_e32 v98, 1.0
	s_cbranch_vccnz .LBB25_18
; %bb.17:                               ;   in Loop: Header=BB25_14 Depth=1
	v_mov_b32_e32 v1, s64
	v_readlane_b32 s24, v218, 26
	v_sub_co_u32_e32 v1, vcc, s4, v1
	s_add_i32 s24, s4, 1
	v_lshlrev_b32_e32 v1, 1, v1
	v_mov_b32_e32 v7, s24
	v_or_b32_e32 v1, 1, v1
	v_cndmask_b32_e32 v1, v1, v7, vcc
	v_readlane_b32 s26, v218, 28
	v_readlane_b32 s27, v218, 29
	v_cvt_f32_i32_e32 v1, v1
	v_mov_b32_e32 v7, s26
	v_mov_b32_e32 v6, s27
	v_cndmask_b32_e32 v6, v6, v7, vcc
	v_cmp_neq_f32_e32 vcc, 1.0, v6
	s_mov_b32 s24, 0x3f2aaaab
	s_movk_i32 s26, 0x204
	v_cndmask_b32_e32 v1, 1.0, v1, vcc
	v_cmp_neq_f32_e32 vcc, 0, v1
	v_readlane_b32 s25, v218, 27
	s_nop 0
	v_cndmask_b32_e32 v22, 1.0, v6, vcc
	v_frexp_mant_f32_e64 v6, |v22|
	v_cmp_gt_f32_e32 vcc, s24, v6
	s_mov_b32 s24, 0x3f317218
	v_cmp_class_f32_e64 s[34:35], v22, s26
	v_cndmask_b32_e64 v7, 1.0, 2.0, vcc
	v_mul_f32_e32 v6, v6, v7
	v_add_f32_e32 v9, 1.0, v6
	v_rcp_f32_e32 v14, v9
	v_add_f32_e32 v7, -1.0, v9
	v_sub_f32_e32 v11, v6, v7
	v_add_f32_e32 v7, -1.0, v6
	v_mul_f32_e32 v15, v7, v14
	v_mul_f32_e32 v8, v9, v15
	v_fma_f32 v10, v15, v9, -v8
	v_fmac_f32_e32 v10, v15, v11
	v_add_f32_e32 v6, v8, v10
	v_sub_f32_e32 v9, v7, v6
	v_pk_add_f32 v[12:13], v[6:7], v[8:9] neg_lo:[0,1] neg_hi:[0,1]
	v_mov_b32_e32 v11, v6
	v_pk_add_f32 v[6:7], v[12:13], v[10:11] neg_lo:[0,1] neg_hi:[0,1]
	s_nop 0
	v_add_f32_e32 v6, v6, v7
	v_add_f32_e32 v6, v9, v6
	v_mul_f32_e32 v7, v14, v6
	v_add_f32_e32 v6, v15, v7
	v_sub_f32_e32 v8, v6, v15
	v_sub_f32_e32 v16, v7, v8
	v_mul_f32_e32 v7, v6, v6
	v_fma_f32 v9, v6, v6, -v7
	v_add_f32_e32 v8, v16, v16
	v_fmac_f32_e32 v9, v6, v8
	v_add_f32_e32 v8, v7, v9
	v_fmamk_f32 v10, v8, 0x3e76c4e1, v177
	v_fmaak_f32 v10, v8, v10, 0x3ecccdef
	v_sub_f32_e32 v7, v8, v7
	v_sub_f32_e32 v17, v9, v7
	v_mul_f32_e32 v7, v8, v10
	v_fma_f32 v9, v8, v10, -v7
	v_fmac_f32_e32 v9, v17, v10
	v_add_f32_e32 v10, v7, v9
	v_add_f32_e32 v11, 0x3f2aaaaa, v10
	v_sub_f32_e32 v7, v10, v7
	v_sub_f32_e32 v7, v9, v7
	v_add_f32_e32 v9, 0xbf2aaaaa, v11
	v_add_f32_e32 v7, 0x31739010, v7
	v_sub_f32_e32 v9, v10, v9
	v_pk_mul_f32 v[12:13], v[6:7], v[8:9]
	v_pk_add_f32 v[14:15], v[6:7], v[8:9]
	v_fma_f32 v10, v8, v6, -v12
	v_fmac_f32_e32 v10, v8, v16
	v_mov_b32_e32 v13, v15
	v_fmac_f32_e32 v10, v17, v6
	v_pk_add_f32 v[8:9], v[12:13], v[10:11]
	v_ldexp_f32 v18, v16, 1
	v_sub_f32_e32 v7, v8, v12
	v_sub_f32_e32 v7, v10, v7
	;; [unrolled: 1-line block ×3, first 2 shown]
	v_add_f32_e32 v14, v15, v10
	v_pk_mul_f32 v[10:11], v[8:9], v[8:9] op_sel:[0,1] op_sel_hi:[1,0]
	v_cvt_f64_f32_e64 v[12:13], |v22|
	v_frexp_exp_i32_f64_e32 v11, v[12:13]
	v_subbrev_co_u32_e32 v11, vcc, 0, v11, vcc
	v_cvt_f32_i32_e32 v11, v11
	v_fma_f32 v12, v8, v9, -v10
	v_fmac_f32_e32 v12, v8, v14
	v_fmac_f32_e32 v12, v7, v9
	v_mul_f32_e32 v8, 0x3f317218, v11
	v_fma_f32 v14, v11, s24, -v8
	v_fmac_f32_e32 v14, 0xb102e308, v11
	v_ldexp_f32 v15, v6, 1
	v_add_f32_e32 v9, v10, v12
	v_pk_add_f32 v[6:7], v[8:9], v[14:15]
	v_mov_b32_e32 v16, v9
	v_mov_b32_e32 v17, v7
	v_mov_b32_e32 v11, v15
	v_pk_add_f32 v[10:11], v[16:17], v[10:11] neg_lo:[0,1] neg_hi:[0,1]
	v_mov_b32_e32 v13, v9
	v_pk_add_f32 v[10:11], v[12:13], v[10:11] neg_lo:[0,1] neg_hi:[0,1]
	v_mov_b32_e32 v15, v6
	v_add_f32_e32 v9, v18, v10
	v_add_f32_e32 v9, v9, v11
	v_pk_add_f32 v[10:11], v[6:7], v[8:9] neg_lo:[0,1] neg_hi:[0,1]
	v_pk_add_f32 v[12:13], v[6:7], v[8:9]
	v_mov_b32_e32 v20, v7
	v_mov_b32_e32 v11, v13
	v_pk_add_f32 v[16:17], v[14:15], v[10:11] neg_lo:[0,1] neg_hi:[0,1]
	v_pk_add_f32 v[10:11], v[14:15], v[10:11]
	v_mov_b32_e32 v8, v9
	v_pk_add_f32 v[14:15], v[10:11], v[6:7] op_sel:[1,0] op_sel_hi:[0,1] neg_lo:[0,1] neg_hi:[0,1]
	v_pk_add_f32 v[18:19], v[12:13], v[14:15] op_sel_hi:[1,0] neg_lo:[0,1] neg_hi:[0,1]
	v_mov_b32_e32 v12, v13
	v_mov_b32_e32 v13, v11
	;; [unrolled: 1-line block ×3, first 2 shown]
	v_pk_add_f32 v[12:13], v[12:13], v[20:21] neg_lo:[0,1] neg_hi:[0,1]
	v_mov_b32_e32 v9, v6
	v_pk_add_f32 v[6:7], v[8:9], v[12:13] neg_lo:[0,1] neg_hi:[0,1]
	v_mov_b32_e32 v18, v16
	v_pk_add_f32 v[8:9], v[18:19], v[6:7]
	v_mov_b32_e32 v17, v11
	v_pk_add_f32 v[12:13], v[8:9], v[8:9] op_sel:[0,1] op_sel_hi:[1,0]
	s_mov_b32 s24, 0x7f800000
	v_pk_add_f32 v[10:11], v[10:11], v[12:13] op_sel:[1,0] op_sel_hi:[0,1]
	v_mov_b32_e32 v9, v10
	v_pk_add_f32 v[14:15], v[8:9], v[16:17] neg_lo:[0,1] neg_hi:[0,1]
	v_mov_b32_e32 v7, v12
	v_sub_f32_e32 v8, v8, v14
	v_pk_add_f32 v[6:7], v[6:7], v[14:15] neg_lo:[0,1] neg_hi:[0,1]
	v_sub_f32_e32 v8, v16, v8
	v_add_f32_e32 v6, v6, v8
	v_add_f32_e32 v6, v6, v7
	;; [unrolled: 1-line block ×3, first 2 shown]
	v_sub_f32_e32 v8, v7, v10
	v_sub_f32_e32 v6, v6, v8
	v_mul_f32_e32 v8, v1, v7
	v_fma_f32 v7, v1, v7, -v8
	v_fmac_f32_e32 v7, v1, v6
	v_add_f32_e32 v6, v8, v7
	v_cmp_class_f32_e64 vcc, v8, s26
	v_sub_f32_e32 v9, v6, v8
	v_sub_f32_e32 v7, v7, v9
	v_cndmask_b32_e32 v6, v6, v8, vcc
	v_cmp_eq_f32_e32 vcc, s53, v6
	s_nop 1
	v_cndmask_b32_e32 v8, 0, v179, vcc
	v_sub_f32_e32 v9, v6, v8
	v_mul_f32_e32 v10, 0x3fb8aa3b, v9
	v_fma_f32 v11, v9, s23, -v10
	v_rndne_f32_e32 v12, v10
	v_fmac_f32_e32 v11, 0x32a5705f, v9
	v_sub_f32_e32 v10, v10, v12
	v_add_f32_e32 v10, v10, v11
	v_exp_f32_e32 v10, v10
	v_cvt_i32_f32_e32 v11, v12
	v_cmp_neq_f32_e64 vcc, |v6|, s24
	s_nop 1
	v_cndmask_b32_e32 v6, 0, v7, vcc
	v_ldexp_f32 v7, v10, v11
	v_cmp_ngt_f32_e32 vcc, s74, v9
	v_add_f32_e32 v6, v8, v6
	s_nop 0
	v_cndmask_b32_e32 v7, 0, v7, vcc
	v_cmp_nlt_f32_e32 vcc, s53, v9
	s_nop 1
	v_cndmask_b32_e32 v7, v180, v7, vcc
	v_fma_f32 v6, v7, v6, v7
	v_cmp_class_f32_e64 vcc, v7, s26
	v_cmp_gt_f32_e64 s[26:27], 0, v1
	s_nop 0
	v_cndmask_b32_e32 v6, v6, v7, vcc
	v_trunc_f32_e32 v7, v1
	v_cmp_eq_f32_e32 vcc, v7, v1
	v_mul_f32_e32 v7, 0.5, v1
	v_trunc_f32_e32 v8, v7
	v_cmp_neq_f32_e64 s[24:25], v8, v7
	s_and_b64 s[24:25], vcc, s[24:25]
	s_nop 0
	v_cndmask_b32_e64 v7, 1.0, v22, s[24:25]
	v_bfi_b32 v6, s75, v6, v7
	v_cndmask_b32_e32 v7, v181, v6, vcc
	v_cmp_gt_f32_e32 vcc, 0, v22
	s_nop 1
	v_cndmask_b32_e32 v6, v6, v7, vcc
	v_cmp_eq_f32_e32 vcc, 0, v22
	s_xor_b64 s[26:27], s[26:27], vcc
	v_cndmask_b32_e64 v1, v180, 0, s[26:27]
	v_cndmask_b32_e64 v7, 0, v22, s[24:25]
	v_bfi_b32 v1, s75, v1, v7
	s_or_b64 vcc, vcc, s[34:35]
	v_cndmask_b32_e32 v1, v6, v1, vcc
	v_cmp_o_f32_e32 vcc, v22, v22
	s_nop 1
	v_cndmask_b32_e32 v98, v181, v1, vcc
.LBB25_18:                              ;   in Loop: Header=BB25_14 Depth=1
	v_readlane_b32 s24, v218, 3
	s_mul_i32 s22, s22, s24
	s_sub_i32 s5, s5, s22
	s_ashr_i32 s22, s5, 31
	v_readlane_b32 s24, v218, 19
	s_abs_i32 s5, s5
	s_xor_b32 s22, s22, s24
	s_mul_hi_u32 s24, s5, s33
	s_mul_i32 s25, s24, s87
	s_sub_i32 s5, s5, s25
	s_add_i32 s25, s24, 1
	s_sub_i32 s26, s5, s87
	s_cmp_ge_u32 s5, s87
	s_cselect_b32 s24, s25, s24
	s_cselect_b32 s5, s26, s5
	s_add_i32 s25, s24, 1
	s_cmp_ge_u32 s5, s87
	s_cselect_b32 s5, s25, s24
	v_readlane_b32 s24, v218, 32
	s_xor_b32 s5, s5, s22
	v_readlane_b32 s25, v218, 33
	s_andn2_b64 vcc, exec, s[24:25]
	s_sub_i32 s90, s5, s22
	s_cbranch_vccnz .LBB25_20
; %bb.19:                               ;   in Loop: Header=BB25_14 Depth=1
	v_readlane_b32 s5, v218, 0
	s_mul_i32 s5, s29, s5
	s_add_i32 s24, s90, s5
	s_ashr_i32 s25, s24, 31
	s_lshl_b64 s[24:25], s[24:25], 2
	s_add_u32 s24, s46, s24
	s_addc_u32 s25, s47, s25
	global_load_dword v1, v57, s[24:25]
	s_waitcnt vmcnt(0)
	v_readfirstlane_b32 s5, v1
	s_ashr_i32 s22, s5, 31
	s_lshr_b32 s22, s22, 26
	s_add_i32 s5, s5, s22
	s_ashr_i32 s5, s5, 6
	s_min_i32 s82, s82, s5
.LBB25_20:                              ;   in Loop: Header=BB25_14 Depth=1
	v_readlane_b32 s5, v218, 23
	s_mul_i32 s5, s5, s29
	s_add_i32 s5, s4, s5
	s_lshl_b32 s88, s5, 6
	s_lshl_b64 s[24:25], s[88:89], 3
	s_add_u32 s24, s48, s24
	s_addc_u32 s25, s49, s25
	v_writelane_b32 v218, s24, 60
	s_mul_i32 s88, s56, s29
	s_nop 0
	v_writelane_b32 v218, s25, 61
	s_nop 0
	v_readlane_b32 s24, v218, 12
	v_readlane_b32 s25, v218, 13
	s_mul_i32 s5, s24, s30
	s_mul_hi_u32 s22, s24, s29
	s_add_i32 s5, s22, s5
	s_mul_i32 s22, s25, s29
	s_add_i32 s22, s5, s22
	s_mul_i32 s5, s24, s29
	v_writelane_b32 v218, s5, 62
	s_add_u32 s5, s40, s5
	v_writelane_b32 v218, s22, 63
	s_addc_u32 s24, s41, s22
	s_mul_i32 s22, s31, s59
	s_ashr_i32 s33, s22, 31
	s_add_u32 s73, s5, s22
	s_addc_u32 s34, s24, s33
	s_ashr_i32 s5, s4, 31
	s_lshl_b64 s[24:25], s[4:5], 2
	s_add_u32 s5, s44, s24
	s_addc_u32 s26, s45, s25
	v_readlane_b32 s24, v218, 24
	v_readlane_b32 s25, v218, 25
	s_and_b64 s[24:25], s[24:25], exec
	s_cselect_b32 s99, 0, s26
	v_readlane_b32 s26, v218, 8
	v_readlane_b32 s27, v218, 9
	s_cselect_b32 s98, 0, s5
	s_mul_i32 s5, s29, s27
	s_ashr_i32 s24, s5, 31
	s_add_u32 s5, s36, s5
	s_mul_i32 s4, s4, s26
	s_addc_u32 s24, s37, s24
	s_ashr_i32 s25, s4, 31
	s_add_u32 s76, s5, s4
	s_mul_i32 s4, s56, s30
	s_mul_hi_u32 s5, s56, s29
	s_addc_u32 s77, s24, s25
	s_add_i32 s4, s5, s4
	s_mul_i32 s5, s57, s29
	v_readlane_b32 s24, v218, 17
	s_add_i32 s83, s4, s5
	v_readlane_b32 s25, v218, 18
	s_add_u32 s4, s38, s88
	s_mul_i32 s78, s31, s25
	s_addc_u32 s5, s39, s83
	s_ashr_i32 s79, s78, 31
	s_add_u32 s35, s4, s78
	s_addc_u32 s72, s5, s79
	s_cmp_lg_u32 s28, 0
	s_cbranch_scc0 .LBB25_64
; %bb.21:                               ;   in Loop: Header=BB25_14 Depth=1
	s_lshl_b32 s67, s90, 4
	v_add_u32_e32 v185, s67, v113
	v_cmp_le_i32_e32 vcc, s52, v185
	s_and_saveexec_b64 s[4:5], vcc
	s_xor_b64 s[4:5], exec, s[4:5]
; %bb.22:                               ;   in Loop: Header=BB25_14 Depth=1
	v_add_u32_e32 v1, v118, v173
	ds_write_b32 v1, v57
; %bb.23:                               ;   in Loop: Header=BB25_14 Depth=1
	s_andn2_saveexec_b64 s[4:5], s[4:5]
	s_cbranch_execz .LBB25_25
; %bb.24:                               ;   in Loop: Header=BB25_14 Depth=1
	v_readlane_b32 s24, v218, 16
	s_nop 1
	v_mad_u64_u32 v[6:7], s[24:25], v185, s24, v[54:55]
	v_ashrrev_i32_e32 v7, 31, v6
	v_lshl_add_u64 v[6:7], v[6:7], 3, s[76:77]
	global_load_dwordx2 v[6:7], v[6:7], off
	s_waitcnt vmcnt(0)
	v_cvt_pk_f16_f32 v1, v6, v7
	v_pk_mul_f16 v1, v1, v163
	v_add_u32_e32 v6, v118, v173
	ds_write_b32 v6, v1
.LBB25_25:                              ;   in Loop: Header=BB25_14 Depth=1
	s_or_b64 exec, exec, s[4:5]
	v_add_u32_e32 v186, s67, v116
	v_cmp_le_i32_e32 vcc, s52, v186
	s_and_saveexec_b64 s[4:5], vcc
	s_xor_b64 s[4:5], exec, s[4:5]
; %bb.26:                               ;   in Loop: Header=BB25_14 Depth=1
	v_add_u32_e32 v1, v118, v173
	ds_write_b32 v1, v57 offset:1088
; %bb.27:                               ;   in Loop: Header=BB25_14 Depth=1
	s_andn2_saveexec_b64 s[4:5], s[4:5]
	s_cbranch_execz .LBB25_29
; %bb.28:                               ;   in Loop: Header=BB25_14 Depth=1
	v_readlane_b32 s24, v218, 16
	s_nop 1
	v_mad_u64_u32 v[6:7], s[24:25], v186, s24, v[54:55]
	v_ashrrev_i32_e32 v7, 31, v6
	v_lshl_add_u64 v[6:7], v[6:7], 3, s[76:77]
	global_load_dwordx2 v[6:7], v[6:7], off
	s_waitcnt vmcnt(0)
	v_cvt_pk_f16_f32 v1, v6, v7
	v_pk_mul_f16 v1, v1, v163
	v_add_u32_e32 v6, v118, v173
	ds_write_b32 v6, v1 offset:1088
.LBB25_29:                              ;   in Loop: Header=BB25_14 Depth=1
	s_or_b64 exec, exec, s[4:5]
	v_add_u32_e32 v187, s67, v59
	v_cmp_le_i32_e32 vcc, s52, v187
	s_and_saveexec_b64 s[4:5], vcc
	s_xor_b64 s[4:5], exec, s[4:5]
; %bb.30:                               ;   in Loop: Header=BB25_14 Depth=1
	v_add_u32_e32 v1, v118, v173
	ds_write_b32 v1, v57 offset:2176
; %bb.31:                               ;   in Loop: Header=BB25_14 Depth=1
	s_andn2_saveexec_b64 s[4:5], s[4:5]
	s_cbranch_execz .LBB25_33
; %bb.32:                               ;   in Loop: Header=BB25_14 Depth=1
	v_readlane_b32 s24, v218, 16
	s_nop 1
	v_mad_u64_u32 v[6:7], s[24:25], v187, s24, v[54:55]
	v_ashrrev_i32_e32 v7, 31, v6
	v_lshl_add_u64 v[6:7], v[6:7], 3, s[76:77]
	global_load_dwordx2 v[6:7], v[6:7], off
	s_waitcnt vmcnt(0)
	v_cvt_pk_f16_f32 v1, v6, v7
	v_pk_mul_f16 v1, v1, v163
	v_add_u32_e32 v6, v118, v173
	ds_write_b32 v6, v1 offset:2176
.LBB25_33:                              ;   in Loop: Header=BB25_14 Depth=1
	;; [unrolled: 24-line block ×3, first 2 shown]
	s_or_b64 exec, exec, s[4:5]
	s_waitcnt lgkmcnt(0)
	s_barrier
	ds_read2_b64 v[18:21], v119 offset1:4
	ds_read2_b64 v[14:17], v119 offset0:8 offset1:12
	ds_read2_b64 v[10:13], v119 offset0:16 offset1:20
	;; [unrolled: 1-line block ×3, first 2 shown]
	s_add_i32 s29, s82, -1
	s_cmp_ge_i32 s28, s29
	s_waitcnt lgkmcnt(0)
	s_barrier
	s_cbranch_scc1 .LBB25_65
; %bb.38:                               ;   in Loop: Header=BB25_14 Depth=1
	v_mul_hi_u32 v1, s70, v185
	v_add_u32_e32 v1, v185, v1
	v_lshrrev_b32_e32 v1, s71, v1
	v_mul_lo_u32 v1, v1, s52
	v_readlane_b32 s4, v218, 55
	v_sub_u32_e32 v1, v185, v1
	v_readlane_b32 s5, v218, 56
	s_mov_b32 s26, s4
	v_mad_i64_i32 v[102:103], s[4:5], v1, s26, 0
	v_mul_hi_u32 v1, s70, v186
	v_add_u32_e32 v1, v186, v1
	v_lshrrev_b32_e32 v1, s71, v1
	v_mul_lo_u32 v1, v1, s52
	v_sub_u32_e32 v1, v186, v1
	v_mad_i64_i32 v[104:105], s[4:5], v1, s26, 0
	v_mul_hi_u32 v1, s70, v187
	v_add_u32_e32 v1, v187, v1
	v_lshrrev_b32_e32 v1, s71, v1
	v_mul_lo_u32 v1, v1, s52
	v_sub_u32_e32 v1, v187, v1
	;; [unrolled: 6-line block ×3, first 2 shown]
	v_mad_i64_i32 v[108:109], s[4:5], v1, s26, 0
	v_and_b32_e32 v1, 64, v182
	v_add_u32_e32 v1, 64, v1
	v_xor_b32_e32 v22, 32, v182
	v_cmp_lt_i32_e32 vcc, v22, v1
	s_cmp_lg_u64 s[84:85], 0
	v_lshlrev_b32_e32 v56, 1, v54
	v_cndmask_b32_e32 v22, v182, v22, vcc
	v_lshlrev_b32_e32 v189, 2, v22
	v_xor_b32_e32 v22, 16, v182
	v_cmp_lt_i32_e32 vcc, v22, v1
	s_cselect_b64 s[24:25], -1, 0
	v_lshl_add_u64 v[100:101], s[84:85], 0, v[56:57]
	v_cndmask_b32_e32 v1, v182, v22, vcc
	v_lshlrev_b32_e32 v190, 2, v1
	v_mov_b32_e32 v110, v98
	v_mov_b32_e32 v111, v98
	s_lshl_b32 s26, s28, 6
	v_mov_b32_e32 v50, 0
	v_mov_b32_e32 v40, 0xfeffffff
	;; [unrolled: 1-line block ×18, first 2 shown]
	s_andn2_b64 vcc, exec, s[24:25]
	s_ashr_i32 s27, s26, 31
	s_cbranch_vccnz .LBB25_42
.LBB25_39:                              ;   in Loop: Header=BB25_14 Depth=1
	v_mov_b32_e32 v1, 0
	v_mov_b32_e32 v22, 0
	;; [unrolled: 1-line block ×4, first 2 shown]
	s_and_saveexec_b64 s[4:5], s[0:1]
	s_cbranch_execz .LBB25_41
; %bb.40:                               ;   in Loop: Header=BB25_14 Depth=1
	v_lshl_add_u64 v[24:25], s[26:27], 1, v[100:101]
	v_lshl_add_u64 v[22:23], v[102:103], 1, v[24:25]
	global_load_ushort v1, v[22:23], off
	v_lshl_add_u64 v[22:23], v[104:105], 1, v[24:25]
	v_lshl_add_u64 v[26:27], v[106:107], 1, v[24:25]
	;; [unrolled: 1-line block ×3, first 2 shown]
	global_load_ushort v22, v[22:23], off
	s_nop 0
	global_load_ushort v24, v[24:25], off
	s_nop 0
	global_load_ushort v23, v[26:27], off
.LBB25_41:                              ;   in Loop: Header=BB25_14 Depth=1
	s_or_b64 exec, exec, s[4:5]
	s_waitcnt vmcnt(3)
	ds_write_b16 v141, v1 offset:17408
	s_waitcnt vmcnt(2)
	ds_write_b16 v164, v22 offset:17408
	;; [unrolled: 2-line block ×3, first 2 shown]
	ds_write_b16 v166, v24 offset:17408
.LBB25_42:                              ;   Parent Loop BB25_14 Depth=1
                                        ; =>  This Inner Loop Header: Depth=2
	s_mul_hi_i32 s5, s26, s68
	s_mul_i32 s4, s26, s68
	s_lshl_b64 s[4:5], s[4:5], 2
	s_add_u32 s4, s35, s4
	s_addc_u32 s5, s72, s5
	v_lshl_add_u64 v[22:23], v[62:63], 2, s[4:5]
	v_lshlrev_b32_e32 v56, 2, v58
	v_lshl_add_u64 v[22:23], v[22:23], 0, v[56:57]
	v_mov_b32_e32 v1, s91
	v_cndmask_b32_e64 v23, v1, v23, s[6:7]
	v_cndmask_b32_e64 v22, v183, v22, s[6:7]
	scratch_store_dwordx4 off, v[2:5], off
	flat_load_dwordx4 v[22:25], v[22:23]
	v_lshl_add_u64 v[26:27], v[64:65], 2, s[4:5]
	v_lshl_add_u64 v[26:27], v[26:27], 0, v[56:57]
	v_cndmask_b32_e64 v27, v1, v27, s[8:9]
	v_cndmask_b32_e64 v26, v183, v26, s[8:9]
	s_waitcnt vmcnt(0) lgkmcnt(0)
	ds_write_b128 v121, v[22:25]
	flat_load_dwordx4 v[22:25], v[26:27]
	v_lshl_add_u64 v[26:27], v[66:67], 2, s[4:5]
	v_lshl_add_u64 v[26:27], v[26:27], 0, v[56:57]
	v_cndmask_b32_e64 v27, v1, v27, s[10:11]
	v_cndmask_b32_e64 v26, v183, v26, s[10:11]
	s_waitcnt vmcnt(0) lgkmcnt(0)
	ds_write_b128 v168, v[22:25]
	flat_load_dwordx4 v[22:25], v[26:27]
	v_lshl_add_u64 v[26:27], v[68:69], 2, s[4:5]
	v_lshl_add_u64 v[26:27], v[26:27], 0, v[56:57]
	v_cndmask_b32_e64 v27, v1, v27, s[12:13]
	v_cndmask_b32_e64 v26, v183, v26, s[12:13]
                                        ; implicit-def: $vgpr1
	s_waitcnt vmcnt(0) lgkmcnt(0)
	ds_write_b128 v170, v[22:25]
	flat_load_dwordx4 v[22:25], v[26:27]
	s_waitcnt vmcnt(0) lgkmcnt(0)
	ds_write_b128 v172, v[22:25]
	s_waitcnt lgkmcnt(0)
	s_barrier
	ds_read2_b64 v[22:25], v143 offset1:4
	s_waitcnt lgkmcnt(0)
	v_mfma_f32_16x16x16_f16 v[26:29], v[22:23], v[18:19], 0
	v_mfma_f32_16x16x16_f16 v[22:25], v[24:25], v[20:21], v[26:29]
	s_nop 6
	ds_read2_b64 v[26:29], v143 offset0:8 offset1:12
	s_waitcnt lgkmcnt(0)
	v_mfma_f32_16x16x16_f16 v[22:25], v[26:27], v[14:15], v[22:25]
	v_mfma_f32_16x16x16_f16 v[22:25], v[28:29], v[16:17], v[22:25]
	ds_read2_b64 v[26:29], v143 offset0:16 offset1:20
	s_waitcnt lgkmcnt(0)
	v_mfma_f32_16x16x16_f16 v[22:25], v[26:27], v[10:11], v[22:25]
	v_mfma_f32_16x16x16_f16 v[22:25], v[28:29], v[12:13], v[22:25]
	ds_read2_b64 v[26:29], v143 offset0:24 offset1:28
	s_waitcnt lgkmcnt(0)
	s_barrier
	v_mfma_f32_16x16x16_f16 v[22:25], v[26:27], v[6:7], v[22:25]
	v_mfma_f32_16x16x16_f16 v[22:25], v[28:29], v[8:9], v[22:25]
	s_nop 7
	v_cmp_nlt_f32_e64 s[4:5], |v22|, s58
	s_and_saveexec_b64 s[30:31], s[4:5]
	s_xor_b64 s[4:5], exec, s[30:31]
	s_cbranch_execz .LBB25_44
; %bb.43:                               ;   in Loop: Header=BB25_42 Depth=2
	v_add_f32_e64 v1, |v22|, |v22|
	v_mul_f32_e32 v26, 0x3fb8aa3b, v1
	v_rndne_f32_e32 v27, v26
	v_sub_f32_e32 v28, v26, v27
	v_fma_f32 v26, v1, s23, -v26
	v_fmac_f32_e32 v26, 0x32a5705f, v1
	v_add_f32_e32 v26, v28, v26
	v_cvt_i32_f32_e32 v27, v27
	v_exp_f32_e32 v26, v26
	v_cmp_ngt_f32_e32 vcc, s74, v1
	v_ldexp_f32 v26, v26, v27
	s_nop 0
	v_cndmask_b32_e32 v26, 0, v26, vcc
	v_cmp_nlt_f32_e32 vcc, s53, v1
	s_nop 1
	v_cndmask_b32_e32 v1, v180, v26, vcc
	v_add_f32_e32 v1, 1.0, v1
	v_rcp_f32_e32 v1, v1
	s_nop 0
	v_fma_f32 v1, v1, -2.0, 1.0
.LBB25_44:                              ;   in Loop: Header=BB25_42 Depth=2
	s_andn2_saveexec_b64 s[4:5], s[4:5]
; %bb.45:                               ;   in Loop: Header=BB25_42 Depth=2
	v_mul_f32_e32 v1, v22, v22
	v_fmamk_f32 v26, v1, 0xbbbac73d, v178
	v_fmaak_f32 v26, v1, v26, 0xbd5c1c4e
	v_fmaak_f32 v26, v1, v26, 0x3e088382
	;; [unrolled: 1-line block ×3, first 2 shown]
	v_mul_f32_e64 v26, |v22|, v26
	v_fma_f32 v1, v1, v26, |v22|
; %bb.46:                               ;   in Loop: Header=BB25_42 Depth=2
	s_or_b64 exec, exec, s[4:5]
	v_cmp_nlt_f32_e64 s[4:5], |v23|, s58
                                        ; implicit-def: $vgpr27
	s_and_saveexec_b64 s[30:31], s[4:5]
	s_xor_b64 s[4:5], exec, s[30:31]
	s_cbranch_execz .LBB25_48
; %bb.47:                               ;   in Loop: Header=BB25_42 Depth=2
	v_add_f32_e64 v26, |v23|, |v23|
	v_mul_f32_e32 v27, 0x3fb8aa3b, v26
	v_rndne_f32_e32 v28, v27
	v_sub_f32_e32 v29, v27, v28
	v_fma_f32 v27, v26, s23, -v27
	v_fmac_f32_e32 v27, 0x32a5705f, v26
	v_add_f32_e32 v27, v29, v27
	v_cvt_i32_f32_e32 v28, v28
	v_exp_f32_e32 v27, v27
	v_cmp_ngt_f32_e32 vcc, s74, v26
	v_ldexp_f32 v27, v27, v28
	s_nop 0
	v_cndmask_b32_e32 v27, 0, v27, vcc
	v_cmp_nlt_f32_e32 vcc, s53, v26
	s_nop 1
	v_cndmask_b32_e32 v26, v180, v27, vcc
	v_add_f32_e32 v26, 1.0, v26
	v_rcp_f32_e32 v26, v26
	s_nop 0
	v_fma_f32 v27, v26, -2.0, 1.0
.LBB25_48:                              ;   in Loop: Header=BB25_42 Depth=2
	s_andn2_saveexec_b64 s[4:5], s[4:5]
; %bb.49:                               ;   in Loop: Header=BB25_42 Depth=2
	v_mul_f32_e32 v26, v23, v23
	v_fmamk_f32 v27, v26, 0xbbbac73d, v178
	v_fmaak_f32 v27, v26, v27, 0xbd5c1c4e
	v_fmaak_f32 v27, v26, v27, 0x3e088382
	;; [unrolled: 1-line block ×3, first 2 shown]
	v_mul_f32_e64 v27, |v23|, v27
	v_fma_f32 v27, v26, v27, |v23|
; %bb.50:                               ;   in Loop: Header=BB25_42 Depth=2
	s_or_b64 exec, exec, s[4:5]
	v_cmp_nlt_f32_e64 s[4:5], |v24|, s58
                                        ; implicit-def: $vgpr28
	s_and_saveexec_b64 s[30:31], s[4:5]
	s_xor_b64 s[4:5], exec, s[30:31]
	s_cbranch_execz .LBB25_52
; %bb.51:                               ;   in Loop: Header=BB25_42 Depth=2
	v_add_f32_e64 v26, |v24|, |v24|
	v_mul_f32_e32 v28, 0x3fb8aa3b, v26
	v_rndne_f32_e32 v29, v28
	v_sub_f32_e32 v41, v28, v29
	v_fma_f32 v28, v26, s23, -v28
	v_fmac_f32_e32 v28, 0x32a5705f, v26
	v_add_f32_e32 v28, v41, v28
	v_cvt_i32_f32_e32 v29, v29
	v_exp_f32_e32 v28, v28
	v_cmp_ngt_f32_e32 vcc, s74, v26
	v_ldexp_f32 v28, v28, v29
	s_nop 0
	v_cndmask_b32_e32 v28, 0, v28, vcc
	v_cmp_nlt_f32_e32 vcc, s53, v26
	s_nop 1
	v_cndmask_b32_e32 v26, v180, v28, vcc
	v_add_f32_e32 v26, 1.0, v26
	v_rcp_f32_e32 v26, v26
	s_nop 0
	v_fma_f32 v28, v26, -2.0, 1.0
.LBB25_52:                              ;   in Loop: Header=BB25_42 Depth=2
	s_andn2_saveexec_b64 s[4:5], s[4:5]
; %bb.53:                               ;   in Loop: Header=BB25_42 Depth=2
	v_mul_f32_e32 v26, v24, v24
	v_fmamk_f32 v28, v26, 0xbbbac73d, v178
	v_fmaak_f32 v28, v26, v28, 0xbd5c1c4e
	v_fmaak_f32 v28, v26, v28, 0x3e088382
	;; [unrolled: 1-line block ×3, first 2 shown]
	v_mul_f32_e64 v28, |v24|, v28
	v_fma_f32 v28, v26, v28, |v24|
; %bb.54:                               ;   in Loop: Header=BB25_42 Depth=2
	s_or_b64 exec, exec, s[4:5]
	v_cmp_nlt_f32_e64 s[4:5], |v25|, s58
                                        ; implicit-def: $vgpr29
	s_and_saveexec_b64 s[30:31], s[4:5]
	s_xor_b64 s[4:5], exec, s[30:31]
	s_cbranch_execz .LBB25_56
; %bb.55:                               ;   in Loop: Header=BB25_42 Depth=2
	v_add_f32_e64 v26, |v25|, |v25|
	v_mul_f32_e32 v29, 0x3fb8aa3b, v26
	v_rndne_f32_e32 v41, v29
	v_sub_f32_e32 v45, v29, v41
	v_fma_f32 v29, v26, s23, -v29
	v_fmac_f32_e32 v29, 0x32a5705f, v26
	v_add_f32_e32 v29, v45, v29
	v_cvt_i32_f32_e32 v41, v41
	v_exp_f32_e32 v29, v29
	v_cmp_ngt_f32_e32 vcc, s74, v26
	v_ldexp_f32 v29, v29, v41
	s_nop 0
	v_cndmask_b32_e32 v29, 0, v29, vcc
	v_cmp_nlt_f32_e32 vcc, s53, v26
	s_nop 1
	v_cndmask_b32_e32 v26, v180, v29, vcc
	v_add_f32_e32 v26, 1.0, v26
	v_rcp_f32_e32 v26, v26
	s_nop 0
	v_fma_f32 v29, v26, -2.0, 1.0
.LBB25_56:                              ;   in Loop: Header=BB25_42 Depth=2
	s_andn2_saveexec_b64 s[4:5], s[4:5]
; %bb.57:                               ;   in Loop: Header=BB25_42 Depth=2
	v_mul_f32_e32 v26, v25, v25
	v_fmamk_f32 v29, v26, 0xbbbac73d, v178
	v_fmaak_f32 v29, v26, v29, 0xbd5c1c4e
	v_fmaak_f32 v29, v26, v29, 0x3e088382
	;; [unrolled: 1-line block ×3, first 2 shown]
	v_mul_f32_e64 v29, |v25|, v29
	v_fma_f32 v29, v26, v29, |v25|
; %bb.58:                               ;   in Loop: Header=BB25_42 Depth=2
	s_or_b64 exec, exec, s[4:5]
	v_bfi_b32 v1, s75, v1, v22
	v_mul_f32_e32 v26, s65, v1
	v_bfi_b32 v1, s75, v27, v23
	v_mul_f32_e32 v27, s65, v1
	v_bfi_b32 v1, s75, v28, v24
	v_mul_f32_e32 v28, s65, v1
	v_bfi_b32 v1, s75, v29, v25
	v_mul_f32_e32 v29, s65, v1
	s_and_b64 vcc, exec, s[24:25]
	s_cbranch_vccz .LBB25_63
; %bb.59:                               ;   in Loop: Header=BB25_42 Depth=2
	v_add_u32_e32 v1, 0x4400, v123
	ds_read2_b32 v[22:23], v1 offset1:1
	v_mov_b32_e32 v99, v98
	s_waitcnt lgkmcnt(0)
	v_cvt_f32_f16_e32 v48, v22
	v_cvt_f32_f16_e32 v24, v23
	v_cvt_f32_f16_sdwa v25, v23 dst_sel:DWORD dst_unused:UNUSED_PAD src0_sel:WORD_1
	v_cvt_f32_f16_sdwa v49, v22 dst_sel:DWORD dst_unused:UNUSED_PAD src0_sel:WORD_1
	v_pk_fma_f32 v[24:25], v[98:99], v[24:25], v[28:29]
	v_pk_fma_f32 v[22:23], v[110:111], v[48:49], v[26:27]
	s_cbranch_execnz .LBB25_61
.LBB25_60:                              ;   in Loop: Header=BB25_42 Depth=2
	v_mov_b64_e32 v[22:23], v[26:27]
	v_mov_b64_e32 v[24:25], v[28:29]
.LBB25_61:                              ;   in Loop: Header=BB25_42 Depth=2
	v_add_f32_e32 v1, 0x40051340, v22
	v_max_f32_e32 v26, v40, v40
	v_max_f32_e32 v1, v26, v1
	v_cndmask_b32_e64 v1, v40, v1, s[14:15]
	v_add_f32_e32 v26, 0x40051340, v23
	v_max_f32_e32 v27, v1, v1
	v_max_f32_e32 v26, v27, v26
	v_cndmask_b32_e64 v1, v1, v26, s[16:17]
	;; [unrolled: 4-line block ×4, first 2 shown]
	ds_bpermute_b32 v26, v189, v1
	v_max_f32_e32 v1, v1, v1
	s_mul_hi_i32 s5, s26, s54
	s_mul_i32 s4, s26, s54
	s_lshl_b64 s[4:5], s[4:5], 2
	s_waitcnt lgkmcnt(0)
	v_max_f32_e32 v26, v26, v26
	v_max_f32_e32 v1, v1, v26
	ds_bpermute_b32 v26, v190, v1
	s_add_u32 s4, s73, s4
	s_addc_u32 s5, s34, s5
	scratch_store_dwordx4 off, v[2:5], off
	v_lshl_add_u64 v[48:49], v[76:77], 2, s[4:5]
	s_waitcnt lgkmcnt(0)
	v_max_f32_e32 v26, v26, v26
	v_max_f32_e32 v184, v1, v26
	v_sub_f32_e32 v1, v22, v184
	v_mul_f32_e32 v22, 0x3fb8aa3b, v1
	v_fma_f32 v26, v1, s23, -v22
	v_rndne_f32_e32 v27, v22
	v_fmac_f32_e32 v26, 0x32a5705f, v1
	v_sub_f32_e32 v22, v22, v27
	v_add_f32_e32 v22, v22, v26
	v_exp_f32_e32 v22, v22
	v_cvt_i32_f32_e32 v26, v27
	v_cmp_ngt_f32_e32 vcc, s74, v1
	v_sub_f32_e32 v24, v24, v184
	v_lshl_add_u64 v[48:49], v[48:49], 0, v[56:57]
	v_ldexp_f32 v22, v22, v26
	v_cndmask_b32_e32 v22, 0, v22, vcc
	v_cmp_nlt_f32_e32 vcc, s53, v1
	v_cndmask_b32_e64 v48, v183, v48, s[12:13]
	s_add_i32 s28, s28, 1
	v_cndmask_b32_e32 v1, v180, v22, vcc
	v_cndmask_b32_e64 v22, 0, v1, s[14:15]
	v_sub_f32_e32 v1, v23, v184
	v_mul_f32_e32 v23, 0x3fb8aa3b, v1
	v_fma_f32 v26, v1, s23, -v23
	v_rndne_f32_e32 v27, v23
	v_fmac_f32_e32 v26, 0x32a5705f, v1
	v_sub_f32_e32 v23, v23, v27
	v_add_f32_e32 v23, v23, v26
	v_exp_f32_e32 v23, v23
	v_cvt_i32_f32_e32 v26, v27
	v_cmp_ngt_f32_e32 vcc, s74, v1
	s_add_i32 s26, s26, 64
	s_cmp_lt_i32 s28, s29
	v_ldexp_f32 v23, v23, v26
	v_cndmask_b32_e32 v23, 0, v23, vcc
	v_cmp_nlt_f32_e32 vcc, s53, v1
	v_mov_b32_e32 v1, s89
	s_nop 0
	v_cndmask_b32_e32 v23, v180, v23, vcc
	v_add_f32_e32 v26, v23, v22
	v_cndmask_b32_e64 v1, v1, v23, s[16:17]
	v_cndmask_b32_e64 v23, v22, v26, s[16:17]
	v_mul_f32_e32 v26, 0x3fb8aa3b, v24
	v_fma_f32 v27, v24, s23, -v26
	v_rndne_f32_e32 v28, v26
	v_fmac_f32_e32 v27, 0x32a5705f, v24
	v_sub_f32_e32 v26, v26, v28
	v_add_f32_e32 v26, v26, v27
	v_exp_f32_e32 v26, v26
	v_cvt_i32_f32_e32 v27, v28
	v_cmp_ngt_f32_e32 vcc, s74, v24
	v_cvt_pk_f16_f32 v196, v22, v1
	v_ldexp_f32 v26, v26, v27
	v_cndmask_b32_e32 v26, 0, v26, vcc
	v_cmp_nlt_f32_e32 vcc, s53, v24
	v_mov_b32_e32 v24, s89
	s_nop 0
	v_cndmask_b32_e32 v26, v180, v26, vcc
	v_add_f32_e32 v27, v23, v26
	v_cndmask_b32_e64 v24, v24, v26, s[18:19]
	v_cndmask_b32_e64 v26, v23, v27, s[18:19]
	v_sub_f32_e32 v23, v25, v184
	v_mul_f32_e32 v25, 0x3fb8aa3b, v23
	v_fma_f32 v27, v23, s23, -v25
	v_rndne_f32_e32 v28, v25
	v_fmac_f32_e32 v27, 0x32a5705f, v23
	v_sub_f32_e32 v25, v25, v28
	v_add_f32_e32 v25, v25, v27
	v_exp_f32_e32 v25, v25
	v_cvt_i32_f32_e32 v27, v28
	v_cmp_ngt_f32_e32 vcc, s74, v23
	v_ldexp_f32 v25, v25, v27
	s_nop 0
	v_cndmask_b32_e32 v25, 0, v25, vcc
	v_cmp_nlt_f32_e32 vcc, s53, v23
	v_mov_b32_e32 v23, s89
	s_nop 0
	v_cndmask_b32_e32 v25, v180, v25, vcc
	v_cndmask_b32_e64 v28, v23, v25, s[20:21]
	v_sub_f32_e32 v23, v40, v184
	v_add_f32_e32 v27, v26, v25
	v_mul_f32_e32 v25, 0x3fb8aa3b, v23
	v_cndmask_b32_e64 v99, v26, v27, s[20:21]
	v_fma_f32 v26, v23, s23, -v25
	v_rndne_f32_e32 v27, v25
	v_fmac_f32_e32 v26, 0x32a5705f, v23
	v_sub_f32_e32 v25, v25, v27
	v_add_f32_e32 v25, v25, v26
	v_exp_f32_e32 v25, v25
	v_cvt_i32_f32_e32 v26, v27
	v_cmp_ngt_f32_e32 vcc, s74, v23
	v_cvt_pk_f16_f32 v197, v24, v28
	v_ldexp_f32 v25, v25, v26
	v_cndmask_b32_e32 v25, 0, v25, vcc
	v_cmp_nlt_f32_e32 vcc, s53, v23
	s_nop 1
	v_cndmask_b32_e32 v25, v180, v25, vcc
	v_cmp_le_f32_e32 vcc, s86, v23
	s_nop 1
	v_cndmask_b32_e32 v23, 0, v25, vcc
	v_fmac_f32_e32 v99, v38, v23
	v_cvt_f16_f32_e32 v23, v23
	v_mul_u32_u24_e32 v29, 0x10001, v23
	v_pk_mul_f16 v27, v33, v29
	v_pk_mul_f16 v26, v32, v29
	v_lshl_add_u64 v[32:33], v[70:71], 2, s[4:5]
	v_pk_mul_f16 v25, v37, v29
	v_pk_mul_f16 v23, v36, v29
	;; [unrolled: 1-line block ×14, first 2 shown]
	v_lshl_add_u64 v[32:33], v[32:33], 0, v[56:57]
	v_mov_b32_e32 v29, s91
	v_cndmask_b32_e64 v33, v29, v33, s[6:7]
	v_cndmask_b32_e64 v32, v183, v32, s[6:7]
	flat_load_dwordx4 v[192:195], v[32:33]
	v_lshl_add_u64 v[36:37], v[72:73], 2, s[4:5]
	v_lshl_add_u64 v[36:37], v[36:37], 0, v[56:57]
	v_cndmask_b32_e64 v37, v29, v37, s[8:9]
	v_cndmask_b32_e64 v36, v183, v36, s[8:9]
	v_lshl_add_u64 v[44:45], v[74:75], 2, s[4:5]
	v_lshl_add_u64 v[44:45], v[44:45], 0, v[56:57]
	v_cndmask_b32_e64 v45, v29, v45, s[10:11]
	v_cndmask_b32_e64 v44, v183, v44, s[10:11]
	;; [unrolled: 1-line block ×3, first 2 shown]
	v_add_u32_e32 v51, v144, v145
	s_waitcnt vmcnt(0) lgkmcnt(0)
	ds_write_b128 v121, v[192:195]
	flat_load_dwordx4 v[192:195], v[36:37]
	s_waitcnt vmcnt(0) lgkmcnt(0)
	ds_write_b128 v168, v[192:195]
	flat_load_dwordx4 v[192:195], v[44:45]
	;; [unrolled: 3-line block ×3, first 2 shown]
	s_waitcnt vmcnt(0) lgkmcnt(0)
	ds_write_b128 v172, v[192:195]
	s_waitcnt lgkmcnt(0)
	s_barrier
	ds_read_u16 v1, v124 offset:272
	ds_read_u16 v22, v124 offset:544
	ds_read_u16 v24, v124
	ds_read_u16 v32, v124 offset:32
	v_cvt_f32_f16_e32 v192, v25
	v_cvt_f32_f16_sdwa v193, v25 dst_sel:DWORD dst_unused:UNUSED_PAD src0_sel:WORD_1
	v_cvt_f32_f16_e32 v194, v23
	s_waitcnt lgkmcnt(1)
	v_perm_b32 v28, v1, v24, s81
	ds_read_u16 v1, v51
	ds_read_u16 v33, v51 offset:32
	v_cvt_f32_f16_sdwa v195, v23 dst_sel:DWORD dst_unused:UNUSED_PAD src0_sel:WORD_1
	s_waitcnt lgkmcnt(1)
	v_perm_b32 v29, v1, v22, s81
	s_nop 1
	v_mfma_f32_16x16x16_f16 v[22:25], v[28:29], v[196:197], v[192:195]
	ds_read_u16 v1, v124 offset:304
	ds_read_u16 v29, v124 offset:576
	s_nop 0
	v_cvt_f32_f16_e32 v192, v27
	v_cvt_f32_f16_sdwa v193, v27 dst_sel:DWORD dst_unused:UNUSED_PAD src0_sel:WORD_1
	v_cvt_f32_f16_e32 v194, v26
	s_waitcnt lgkmcnt(1)
	v_perm_b32 v28, v1, v32, s81
	s_waitcnt lgkmcnt(0)
	v_perm_b32 v29, v33, v29, s81
	ds_read_u16 v1, v124 offset:64
	ds_read_u16 v32, v124 offset:336
	;; [unrolled: 1-line block ×4, first 2 shown]
	v_cvt_f32_f16_sdwa v195, v26 dst_sel:DWORD dst_unused:UNUSED_PAD src0_sel:WORD_1
	s_waitcnt lgkmcnt(2)
	v_perm_b32 v32, v32, v1, s81
	v_mfma_f32_16x16x16_f16 v[26:29], v[28:29], v[196:197], v[192:195]
	s_waitcnt lgkmcnt(0)
	v_perm_b32 v33, v36, v33, s81
	ds_read_u16 v1, v124 offset:96
	ds_read_u16 v36, v124 offset:368
	;; [unrolled: 1-line block ×4, first 2 shown]
	v_cvt_f32_f16_e32 v192, v31
	v_cvt_f32_f16_sdwa v193, v31 dst_sel:DWORD dst_unused:UNUSED_PAD src0_sel:WORD_1
	v_cvt_f32_f16_e32 v194, v30
	v_cvt_f32_f16_sdwa v195, v30 dst_sel:DWORD dst_unused:UNUSED_PAD src0_sel:WORD_1
	s_waitcnt lgkmcnt(2)
	v_perm_b32 v36, v36, v1, s81
	s_waitcnt lgkmcnt(0)
	v_perm_b32 v37, v39, v37, s81
	ds_read_u16 v1, v124 offset:128
	ds_read_u16 v39, v124 offset:400
	;; [unrolled: 1-line block ×4, first 2 shown]
	v_mfma_f32_16x16x16_f16 v[30:33], v[32:33], v[196:197], v[192:195]
	s_waitcnt lgkmcnt(2)
	v_perm_b32 v44, v39, v1, s81
	s_waitcnt lgkmcnt(0)
	v_perm_b32 v45, v45, v41, s81
	v_cvt_f32_f16_e32 v192, v35
	v_cvt_f32_f16_sdwa v193, v35 dst_sel:DWORD dst_unused:UNUSED_PAD src0_sel:WORD_1
	v_cvt_f32_f16_e32 v194, v34
	v_cvt_f32_f16_sdwa v195, v34 dst_sel:DWORD dst_unused:UNUSED_PAD src0_sel:WORD_1
	v_cvt_pk_f16_f32 v31, v30, v31
	v_cvt_pk_f16_f32 v30, v32, v33
	v_mfma_f32_16x16x16_f16 v[34:37], v[36:37], v[196:197], v[192:195]
	v_cvt_pk_f16_f32 v33, v26, v27
	v_cvt_pk_f16_f32 v32, v28, v29
	s_nop 0
	v_cvt_f32_f16_e32 v192, v40
	v_cvt_f32_f16_sdwa v193, v40 dst_sel:DWORD dst_unused:UNUSED_PAD src0_sel:WORD_1
	v_cvt_f32_f16_e32 v194, v38
	v_cvt_f32_f16_sdwa v195, v38 dst_sel:DWORD dst_unused:UNUSED_PAD src0_sel:WORD_1
	s_nop 0
	v_cvt_pk_f16_f32 v35, v34, v35
	v_cvt_pk_f16_f32 v34, v36, v37
	v_mfma_f32_16x16x16_f16 v[38:41], v[44:45], v[196:197], v[192:195]
	ds_read_u16 v1, v124 offset:160
	ds_read_u16 v44, v124 offset:432
	ds_read_u16 v45, v124 offset:704
	ds_read_u16 v48, v51 offset:160
	v_cvt_f32_f16_e32 v192, v43
	v_cvt_f32_f16_sdwa v193, v43 dst_sel:DWORD dst_unused:UNUSED_PAD src0_sel:WORD_1
	s_waitcnt lgkmcnt(2)
	v_perm_b32 v44, v44, v1, s81
	v_cvt_f32_f16_e32 v194, v42
	s_waitcnt lgkmcnt(0)
	v_perm_b32 v45, v48, v45, s81
	ds_read_u16 v1, v124 offset:192
	ds_read_u16 v48, v124 offset:464
	;; [unrolled: 1-line block ×4, first 2 shown]
	v_cvt_f32_f16_sdwa v195, v42 dst_sel:DWORD dst_unused:UNUSED_PAD src0_sel:WORD_1
	v_cvt_pk_f16_f32 v37, v22, v23
	s_waitcnt lgkmcnt(2)
	v_perm_b32 v48, v48, v1, s81
	v_mfma_f32_16x16x16_f16 v[42:45], v[44:45], v[196:197], v[192:195]
	s_waitcnt lgkmcnt(0)
	v_perm_b32 v49, v53, v49, s81
	ds_read_u16 v1, v124 offset:224
	ds_read_u16 v53, v124 offset:496
	;; [unrolled: 1-line block ×4, first 2 shown]
	v_cvt_f32_f16_e32 v192, v47
	v_cvt_f32_f16_sdwa v193, v47 dst_sel:DWORD dst_unused:UNUSED_PAD src0_sel:WORD_1
	v_cvt_f32_f16_e32 v194, v46
	v_cvt_f32_f16_sdwa v195, v46 dst_sel:DWORD dst_unused:UNUSED_PAD src0_sel:WORD_1
	s_waitcnt lgkmcnt(2)
	v_perm_b32 v198, v53, v1, s81
	s_waitcnt lgkmcnt(0)
	v_perm_b32 v199, v51, v56, s81
	v_mfma_f32_16x16x16_f16 v[46:49], v[48:49], v[196:197], v[192:195]
	v_cvt_pk_f16_f32 v43, v42, v43
	v_cvt_pk_f16_f32 v42, v44, v45
	s_nop 0
	v_cvt_f32_f16_e32 v192, v52
	v_cvt_f32_f16_sdwa v193, v52 dst_sel:DWORD dst_unused:UNUSED_PAD src0_sel:WORD_1
	v_cvt_f32_f16_e32 v194, v50
	v_cvt_f32_f16_sdwa v195, v50 dst_sel:DWORD dst_unused:UNUSED_PAD src0_sel:WORD_1
	s_nop 0
	v_cvt_pk_f16_f32 v47, v46, v47
	v_cvt_pk_f16_f32 v46, v48, v49
	v_mfma_f32_16x16x16_f16 v[50:53], v[198:199], v[196:197], v[192:195]
	v_cvt_pk_f16_f32 v44, v38, v39
	v_cvt_pk_f16_f32 v39, v40, v41
	;; [unrolled: 1-line block ×3, first 2 shown]
	s_nop 4
	v_cvt_pk_f16_f32 v50, v50, v51
	v_cvt_pk_f16_f32 v51, v52, v53
	s_barrier
	s_cbranch_scc0 .LBB25_66
; %bb.62:                               ;   in Loop: Header=BB25_42 Depth=2
	v_mov_b32_e32 v38, v99
	v_mov_b32_e32 v40, v184
	s_andn2_b64 vcc, exec, s[24:25]
	s_ashr_i32 s27, s26, 31
	s_cbranch_vccz .LBB25_39
	s_branch .LBB25_42
.LBB25_63:                              ;   in Loop: Header=BB25_42 Depth=2
                                        ; implicit-def: $vgpr22_vgpr23_vgpr24_vgpr25
	s_branch .LBB25_60
.LBB25_64:                              ;   in Loop: Header=BB25_14 Depth=1
	s_cbranch_execz .LBB25_13
	s_branch .LBB25_180
.LBB25_65:                              ;   in Loop: Header=BB25_14 Depth=1
	v_mov_b32_e32 v184, 0xfeffffff
	v_mov_b32_e32 v99, 0
	;; [unrolled: 1-line block ×18, first 2 shown]
.LBB25_66:                              ;   in Loop: Header=BB25_14 Depth=1
	s_lshl_b32 s4, s28, 6
	v_readlane_b32 s24, v218, 4
	s_sub_i32 s66, s24, s4
	s_cmp_lg_u64 s[84:85], 0
	s_cselect_b64 s[60:61], -1, 0
	s_ashr_i32 s5, s4, 31
	s_cmp_eq_u64 s[84:85], 0
	v_readlane_b32 s25, v218, 5
	s_cbranch_scc1 .LBB25_72
; %bb.67:                               ;   in Loop: Header=BB25_14 Depth=1
	v_cmp_le_i32_e32 vcc, s66, v54
	s_and_saveexec_b64 s[24:25], vcc
	s_xor_b64 s[24:25], exec, s[24:25]
	s_cbranch_execz .LBB25_69
; %bb.68:                               ;   in Loop: Header=BB25_14 Depth=1
	ds_write_b16 v141, v57 offset:17408
	ds_write_b16 v164, v57 offset:17408
                                        ; implicit-def: $vgpr185
                                        ; implicit-def: $vgpr186
                                        ; implicit-def: $vgpr187
                                        ; implicit-def: $vgpr188
.LBB25_69:                              ;   in Loop: Header=BB25_14 Depth=1
	s_or_saveexec_b64 s[24:25], s[24:25]
	v_mov_b32_e32 v1, 0
	v_mov_b32_e32 v22, 0
	s_xor_b64 exec, exec, s[24:25]
	s_cbranch_execz .LBB25_71
; %bb.70:                               ;   in Loop: Header=BB25_14 Depth=1
	s_lshl_b64 s[26:27], s[4:5], 1
	v_mul_hi_u32 v1, s70, v185
	s_add_u32 s26, s84, s26
	v_add_u32_e32 v1, v185, v1
	s_addc_u32 s27, s85, s27
	v_lshlrev_b32_e32 v56, 1, v54
	v_lshrrev_b32_e32 v1, s71, v1
	v_lshl_add_u64 v[22:23], s[26:27], 0, v[56:57]
	v_mul_lo_u32 v1, v1, s52
	v_readlane_b32 s26, v218, 55
	v_sub_u32_e32 v1, v185, v1
	v_readlane_b32 s27, v218, 56
	s_mov_b32 s28, s26
	v_mad_i64_i32 v[24:25], s[26:27], v1, s28, 0
	v_lshl_add_u64 v[24:25], v[24:25], 1, v[22:23]
	global_load_ushort v1, v[24:25], off
	v_mul_hi_u32 v24, s70, v186
	v_add_u32_e32 v24, v186, v24
	v_lshrrev_b32_e32 v24, s71, v24
	v_mul_lo_u32 v24, v24, s52
	v_sub_u32_e32 v24, v186, v24
	v_mad_i64_i32 v[24:25], s[26:27], v24, s28, 0
	v_lshl_add_u64 v[24:25], v[24:25], 1, v[22:23]
	global_load_ushort v24, v[24:25], off
	s_waitcnt vmcnt(1)
	ds_write_b16 v141, v1 offset:17408
	s_waitcnt vmcnt(0)
	ds_write_b16 v164, v24 offset:17408
	v_mul_hi_u32 v1, s70, v187
	v_add_u32_e32 v1, v187, v1
	v_lshrrev_b32_e32 v1, s71, v1
	v_mul_lo_u32 v1, v1, s52
	v_sub_u32_e32 v1, v187, v1
	v_mad_i64_i32 v[24:25], s[26:27], v1, s28, 0
	v_lshl_add_u64 v[24:25], v[24:25], 1, v[22:23]
	global_load_ushort v1, v[24:25], off
	v_mul_hi_u32 v24, s70, v188
	v_add_u32_e32 v24, v188, v24
	v_lshrrev_b32_e32 v24, s71, v24
	v_mul_lo_u32 v24, v24, s52
	v_sub_u32_e32 v24, v188, v24
	v_mad_i64_i32 v[24:25], s[26:27], v24, s28, 0
	v_lshl_add_u64 v[22:23], v[24:25], 1, v[22:23]
	global_load_ushort v22, v[22:23], off
.LBB25_71:                              ;   in Loop: Header=BB25_14 Depth=1
	s_or_b64 exec, exec, s[24:25]
	s_waitcnt vmcnt(1)
	ds_write_b16 v165, v1 offset:17408
	s_waitcnt vmcnt(0)
	ds_write_b16 v166, v22 offset:17408
.LBB25_72:                              ;   in Loop: Header=BB25_14 Depth=1
	s_mul_hi_i32 s25, s4, s68
	s_mul_i32 s24, s4, s68
	s_lshl_b64 s[24:25], s[24:25], 2
	s_add_u32 s24, s35, s24
	s_addc_u32 s25, s72, s25
	v_lshl_add_u64 v[22:23], v[62:63], 2, s[24:25]
	v_lshlrev_b32_e32 v56, 2, v58
	v_lshl_add_u64 v[22:23], v[22:23], 0, v[56:57]
	v_mov_b32_e32 v1, s91
	v_cmp_gt_i32_e64 s[28:29], s66, v120
	scratch_store_dwordx4 off, v[2:5], off
	v_lshl_add_u64 v[26:27], v[64:65], 2, s[24:25]
	v_cndmask_b32_e64 v23, v1, v23, s[28:29]
	v_cndmask_b32_e64 v22, v183, v22, s[28:29]
	flat_load_dwordx4 v[22:25], v[22:23]
	v_lshl_add_u64 v[26:27], v[26:27], 0, v[56:57]
	v_cmp_gt_i32_e64 s[30:31], s66, v167
	v_cmp_gt_i32_e64 s[26:27], s66, v169
	s_waitcnt vmcnt(0) lgkmcnt(0)
	ds_write_b128 v121, v[22:25]
	v_cndmask_b32_e64 v27, v1, v27, s[30:31]
	v_cndmask_b32_e64 v26, v183, v26, s[30:31]
	flat_load_dwordx4 v[22:25], v[26:27]
	v_lshl_add_u64 v[26:27], v[66:67], 2, s[24:25]
	v_lshl_add_u64 v[26:27], v[26:27], 0, v[56:57]
	v_cndmask_b32_e64 v27, v1, v27, s[26:27]
	v_cndmask_b32_e64 v26, v183, v26, s[26:27]
	s_waitcnt vmcnt(0) lgkmcnt(0)
	ds_write_b128 v168, v[22:25]
	flat_load_dwordx4 v[22:25], v[26:27]
	v_lshl_add_u64 v[26:27], v[68:69], 2, s[24:25]
	v_lshl_add_u64 v[26:27], v[26:27], 0, v[56:57]
	v_cmp_gt_i32_e64 s[24:25], s66, v171
	s_waitcnt vmcnt(0) lgkmcnt(0)
	ds_write_b128 v170, v[22:25]
	v_cndmask_b32_e64 v27, v1, v27, s[24:25]
	v_cndmask_b32_e64 v26, v183, v26, s[24:25]
	flat_load_dwordx4 v[22:25], v[26:27]
                                        ; implicit-def: $vgpr1
	s_waitcnt vmcnt(0) lgkmcnt(0)
	ds_write_b128 v172, v[22:25]
	s_waitcnt lgkmcnt(0)
	s_barrier
	ds_read2_b64 v[22:25], v143 offset1:4
	s_waitcnt lgkmcnt(0)
	v_mfma_f32_16x16x16_f16 v[26:29], v[22:23], v[18:19], 0
	v_mfma_f32_16x16x16_f16 v[18:21], v[24:25], v[20:21], v[26:29]
	ds_read2_b64 v[22:25], v143 offset0:8 offset1:12
	s_waitcnt lgkmcnt(0)
	v_mfma_f32_16x16x16_f16 v[18:21], v[22:23], v[14:15], v[18:21]
	v_mfma_f32_16x16x16_f16 v[14:17], v[24:25], v[16:17], v[18:21]
	s_nop 6
	ds_read2_b64 v[18:21], v143 offset0:16 offset1:20
	s_waitcnt lgkmcnt(0)
	v_mfma_f32_16x16x16_f16 v[14:17], v[18:19], v[10:11], v[14:17]
	v_mfma_f32_16x16x16_f16 v[10:13], v[20:21], v[12:13], v[14:17]
	s_nop 6
	ds_read2_b64 v[14:17], v143 offset0:24 offset1:28
	s_waitcnt lgkmcnt(0)
	v_mfma_f32_16x16x16_f16 v[10:13], v[14:15], v[6:7], v[10:13]
	s_barrier
	v_mfma_f32_16x16x16_f16 v[6:9], v[16:17], v[8:9], v[10:13]
	s_nop 7
	v_cmp_nlt_f32_e64 s[62:63], |v6|, s58
	s_and_saveexec_b64 vcc, s[62:63]
	s_xor_b64 s[62:63], exec, vcc
	s_cbranch_execz .LBB25_74
; %bb.73:                               ;   in Loop: Header=BB25_14 Depth=1
	v_add_f32_e64 v1, |v6|, |v6|
	v_mul_f32_e32 v10, 0x3fb8aa3b, v1
	v_rndne_f32_e32 v11, v10
	v_sub_f32_e32 v12, v10, v11
	v_fma_f32 v10, v1, s23, -v10
	v_fmac_f32_e32 v10, 0x32a5705f, v1
	v_add_f32_e32 v10, v12, v10
	v_cvt_i32_f32_e32 v11, v11
	v_exp_f32_e32 v10, v10
	v_cmp_ngt_f32_e32 vcc, s74, v1
	v_ldexp_f32 v10, v10, v11
	s_nop 0
	v_cndmask_b32_e32 v10, 0, v10, vcc
	v_cmp_nlt_f32_e32 vcc, s53, v1
	s_nop 1
	v_cndmask_b32_e32 v1, v180, v10, vcc
	v_add_f32_e32 v1, 1.0, v1
	v_rcp_f32_e32 v1, v1
	s_nop 0
	v_fma_f32 v1, v1, -2.0, 1.0
.LBB25_74:                              ;   in Loop: Header=BB25_14 Depth=1
	s_andn2_saveexec_b64 s[62:63], s[62:63]
; %bb.75:                               ;   in Loop: Header=BB25_14 Depth=1
	v_mul_f32_e32 v1, v6, v6
	v_fmamk_f32 v10, v1, 0xbbbac73d, v178
	v_fmaak_f32 v10, v1, v10, 0xbd5c1c4e
	v_fmaak_f32 v10, v1, v10, 0x3e088382
	;; [unrolled: 1-line block ×3, first 2 shown]
	v_mul_f32_e64 v10, |v6|, v10
	v_fma_f32 v1, v1, v10, |v6|
; %bb.76:                               ;   in Loop: Header=BB25_14 Depth=1
	s_or_b64 exec, exec, s[62:63]
	v_cmp_nlt_f32_e64 s[62:63], |v7|, s58
                                        ; implicit-def: $vgpr11
	s_and_saveexec_b64 s[96:97], s[62:63]
	s_xor_b64 s[62:63], exec, s[96:97]
	s_cbranch_execz .LBB25_78
; %bb.77:                               ;   in Loop: Header=BB25_14 Depth=1
	v_add_f32_e64 v10, |v7|, |v7|
	v_mul_f32_e32 v11, 0x3fb8aa3b, v10
	v_rndne_f32_e32 v12, v11
	v_sub_f32_e32 v13, v11, v12
	v_fma_f32 v11, v10, s23, -v11
	v_fmac_f32_e32 v11, 0x32a5705f, v10
	v_add_f32_e32 v11, v13, v11
	v_cvt_i32_f32_e32 v12, v12
	v_exp_f32_e32 v11, v11
	v_cmp_ngt_f32_e32 vcc, s74, v10
	v_ldexp_f32 v11, v11, v12
	s_nop 0
	v_cndmask_b32_e32 v11, 0, v11, vcc
	v_cmp_nlt_f32_e32 vcc, s53, v10
	s_nop 1
	v_cndmask_b32_e32 v10, v180, v11, vcc
	v_add_f32_e32 v10, 1.0, v10
	v_rcp_f32_e32 v10, v10
	s_nop 0
	v_fma_f32 v11, v10, -2.0, 1.0
.LBB25_78:                              ;   in Loop: Header=BB25_14 Depth=1
	s_andn2_saveexec_b64 s[62:63], s[62:63]
; %bb.79:                               ;   in Loop: Header=BB25_14 Depth=1
	v_mul_f32_e32 v10, v7, v7
	v_fmamk_f32 v11, v10, 0xbbbac73d, v178
	v_fmaak_f32 v11, v10, v11, 0xbd5c1c4e
	v_fmaak_f32 v11, v10, v11, 0x3e088382
	;; [unrolled: 1-line block ×3, first 2 shown]
	v_mul_f32_e64 v11, |v7|, v11
	v_fma_f32 v11, v10, v11, |v7|
; %bb.80:                               ;   in Loop: Header=BB25_14 Depth=1
	s_or_b64 exec, exec, s[62:63]
	v_cmp_nlt_f32_e64 s[62:63], |v8|, s58
                                        ; implicit-def: $vgpr12
	s_and_saveexec_b64 s[96:97], s[62:63]
	s_xor_b64 s[62:63], exec, s[96:97]
	s_cbranch_execz .LBB25_82
; %bb.81:                               ;   in Loop: Header=BB25_14 Depth=1
	v_add_f32_e64 v10, |v8|, |v8|
	v_mul_f32_e32 v12, 0x3fb8aa3b, v10
	v_rndne_f32_e32 v13, v12
	v_sub_f32_e32 v14, v12, v13
	v_fma_f32 v12, v10, s23, -v12
	v_fmac_f32_e32 v12, 0x32a5705f, v10
	v_add_f32_e32 v12, v14, v12
	v_cvt_i32_f32_e32 v13, v13
	v_exp_f32_e32 v12, v12
	v_cmp_ngt_f32_e32 vcc, s74, v10
	v_ldexp_f32 v12, v12, v13
	s_nop 0
	v_cndmask_b32_e32 v12, 0, v12, vcc
	v_cmp_nlt_f32_e32 vcc, s53, v10
	s_nop 1
	v_cndmask_b32_e32 v10, v180, v12, vcc
	v_add_f32_e32 v10, 1.0, v10
	v_rcp_f32_e32 v10, v10
	s_nop 0
	v_fma_f32 v12, v10, -2.0, 1.0
.LBB25_82:                              ;   in Loop: Header=BB25_14 Depth=1
	s_andn2_saveexec_b64 s[62:63], s[62:63]
; %bb.83:                               ;   in Loop: Header=BB25_14 Depth=1
	v_mul_f32_e32 v10, v8, v8
	v_fmamk_f32 v12, v10, 0xbbbac73d, v178
	v_fmaak_f32 v12, v10, v12, 0xbd5c1c4e
	v_fmaak_f32 v12, v10, v12, 0x3e088382
	;; [unrolled: 1-line block ×3, first 2 shown]
	v_mul_f32_e64 v12, |v8|, v12
	v_fma_f32 v12, v10, v12, |v8|
; %bb.84:                               ;   in Loop: Header=BB25_14 Depth=1
	s_or_b64 exec, exec, s[62:63]
	v_cmp_nlt_f32_e64 s[62:63], |v9|, s58
                                        ; implicit-def: $vgpr13
	s_and_saveexec_b64 s[96:97], s[62:63]
	s_xor_b64 s[62:63], exec, s[96:97]
	s_cbranch_execz .LBB25_86
; %bb.85:                               ;   in Loop: Header=BB25_14 Depth=1
	v_add_f32_e64 v10, |v9|, |v9|
	v_mul_f32_e32 v13, 0x3fb8aa3b, v10
	v_rndne_f32_e32 v14, v13
	v_sub_f32_e32 v15, v13, v14
	v_fma_f32 v13, v10, s23, -v13
	v_fmac_f32_e32 v13, 0x32a5705f, v10
	v_add_f32_e32 v13, v15, v13
	v_cvt_i32_f32_e32 v14, v14
	v_exp_f32_e32 v13, v13
	v_cmp_ngt_f32_e32 vcc, s74, v10
	v_ldexp_f32 v13, v13, v14
	s_nop 0
	v_cndmask_b32_e32 v13, 0, v13, vcc
	v_cmp_nlt_f32_e32 vcc, s53, v10
	s_nop 1
	v_cndmask_b32_e32 v10, v180, v13, vcc
	v_add_f32_e32 v10, 1.0, v10
	v_rcp_f32_e32 v10, v10
	s_nop 0
	v_fma_f32 v13, v10, -2.0, 1.0
.LBB25_86:                              ;   in Loop: Header=BB25_14 Depth=1
	s_andn2_saveexec_b64 s[62:63], s[62:63]
; %bb.87:                               ;   in Loop: Header=BB25_14 Depth=1
	v_mul_f32_e32 v10, v9, v9
	v_fmamk_f32 v13, v10, 0xbbbac73d, v178
	v_fmaak_f32 v13, v10, v13, 0xbd5c1c4e
	v_fmaak_f32 v13, v10, v13, 0x3e088382
	;; [unrolled: 1-line block ×3, first 2 shown]
	v_mul_f32_e64 v13, |v9|, v13
	v_fma_f32 v13, v10, v13, |v9|
; %bb.88:                               ;   in Loop: Header=BB25_14 Depth=1
	s_or_b64 exec, exec, s[62:63]
	v_bfi_b32 v1, s75, v1, v6
	v_mul_f32_e32 v10, s65, v1
	v_bfi_b32 v1, s75, v11, v7
	v_mul_f32_e32 v11, s65, v1
	;; [unrolled: 2-line block ×4, first 2 shown]
	s_and_b64 vcc, exec, s[60:61]
	s_cbranch_vccz .LBB25_336
; %bb.89:                               ;   in Loop: Header=BB25_14 Depth=1
	v_add_u32_e32 v1, 0x4400, v123
	ds_read2_b32 v[6:7], v1 offset1:1
	s_waitcnt lgkmcnt(0)
	v_cvt_f32_f16_e32 v14, v6
	v_cvt_f32_f16_e32 v8, v7
	v_cvt_f32_f16_sdwa v9, v7 dst_sel:DWORD dst_unused:UNUSED_PAD src0_sel:WORD_1
	v_cvt_f32_f16_sdwa v15, v6 dst_sel:DWORD dst_unused:UNUSED_PAD src0_sel:WORD_1
	v_pk_fma_f32 v[8:9], v[98:99], v[8:9], v[12:13] op_sel_hi:[0,1,1]
	v_pk_fma_f32 v[6:7], v[98:99], v[14:15], v[10:11] op_sel_hi:[0,1,1]
	s_cbranch_execnz .LBB25_91
.LBB25_90:                              ;   in Loop: Header=BB25_14 Depth=1
	v_mov_b64_e32 v[6:7], v[10:11]
	v_mov_b64_e32 v[8:9], v[12:13]
.LBB25_91:                              ;   in Loop: Header=BB25_14 Depth=1
	s_mul_hi_i32 s5, s4, s54
	s_mul_i32 s4, s4, s54
	s_lshl_b64 s[4:5], s[4:5], 2
	s_add_u32 s4, s73, s4
	s_addc_u32 s5, s34, s5
	v_lshl_add_u64 v[10:11], v[70:71], 2, s[4:5]
	v_lshl_add_u64 v[10:11], v[10:11], 0, v[56:57]
	v_mov_b32_e32 v17, s91
	v_cndmask_b32_e64 v11, v17, v11, s[28:29]
	v_cndmask_b32_e64 v10, v183, v10, s[28:29]
	scratch_store_dwordx4 off, v[2:5], off
	flat_load_dwordx4 v[10:13], v[10:11]
	v_lshl_add_u64 v[14:15], v[72:73], 2, s[4:5]
	v_lshl_add_u64 v[14:15], v[14:15], 0, v[56:57]
	v_cndmask_b32_e64 v15, v17, v15, s[30:31]
	v_cndmask_b32_e64 v14, v183, v14, s[30:31]
	v_add_f32_e32 v18, 0x40051340, v6
	v_max_f32_e32 v19, v184, v184
	v_and_b32_e32 v23, 64, v182
	v_xor_b32_e32 v24, 32, v182
	v_max_f32_e32 v18, v19, v18
	v_add_u32_e32 v19, 64, v23
	v_xor_b32_e32 v25, 16, v182
	v_cmp_gt_u32_e64 s[30:31], s66, v122
	v_cmp_lt_i32_e32 vcc, v24, v19
	v_add_f32_e32 v20, 0x40051340, v7
	v_cndmask_b32_e64 v23, v184, v18, s[30:31]
	v_cndmask_b32_e32 v24, v182, v24, vcc
	v_cmp_lt_i32_e32 vcc, v25, v19
	v_lshl_add_u64 v[18:19], v[74:75], 2, s[4:5]
	v_lshl_add_u64 v[18:19], v[18:19], 0, v[56:57]
	v_cndmask_b32_e64 v19, v17, v19, s[26:27]
	v_cndmask_b32_e64 v18, v183, v18, s[26:27]
	v_max_f32_e32 v26, v23, v23
	v_cndmask_b32_e32 v25, v182, v25, vcc
	v_cmp_gt_u32_e32 vcc, s66, v174
	v_add_f32_e32 v21, 0x40051340, v8
	v_cmp_gt_u32_e64 s[26:27], s66, v175
	v_add_f32_e32 v22, 0x40051340, v9
	v_cmp_gt_u32_e64 s[28:29], s66, v176
	v_lshlrev_b32_e32 v41, 2, v24
	v_lshlrev_b32_e32 v40, 2, v25
	s_cmp_lg_u64 s[98:99], 0
	v_mov_b32_e32 v1, s89
	v_add_u32_e32 v16, v144, v145
	s_waitcnt vmcnt(0) lgkmcnt(0)
	ds_write_b128 v121, v[10:13]
	flat_load_dwordx4 v[12:15], v[14:15]
	v_mov_b32_e32 v10, s89
	v_mov_b32_e32 v11, s89
	s_waitcnt vmcnt(0) lgkmcnt(0)
	ds_write_b128 v168, v[12:15]
	flat_load_dwordx4 v[12:15], v[18:19]
	v_max_f32_e32 v18, v26, v20
	v_cndmask_b32_e32 v18, v23, v18, vcc
	v_max_f32_e32 v19, v18, v18
	v_max_f32_e32 v19, v19, v21
	v_cndmask_b32_e64 v18, v18, v19, s[26:27]
	v_max_f32_e32 v19, v18, v18
	v_max_f32_e32 v19, v19, v22
	v_cndmask_b32_e64 v20, v18, v19, s[28:29]
	ds_bpermute_b32 v21, v41, v20
	v_max_f32_e32 v20, v20, v20
	v_lshl_add_u64 v[18:19], v[76:77], 2, s[4:5]
	v_lshl_add_u64 v[18:19], v[18:19], 0, v[56:57]
	v_cndmask_b32_e64 v19, v17, v19, s[24:25]
	s_waitcnt lgkmcnt(0)
	v_max_f32_e32 v21, v21, v21
	v_max_f32_e32 v20, v20, v21
	ds_bpermute_b32 v21, v40, v20
	v_cndmask_b32_e64 v18, v183, v18, s[24:25]
	v_readlane_b32 s24, v218, 34
	s_cselect_b64 s[4:5], -1, 0
	v_readlane_b32 s25, v218, 35
	s_waitcnt lgkmcnt(0)
	v_max_f32_e32 v17, v21, v21
	v_max_f32_e32 v38, v20, v17
	v_sub_f32_e32 v17, v6, v38
	v_sub_f32_e32 v20, v7, v38
	;; [unrolled: 1-line block ×4, first 2 shown]
	v_mul_f32_e32 v6, 0x3fb8aa3b, v17
	v_mul_f32_e32 v7, 0x3fb8aa3b, v20
	;; [unrolled: 1-line block ×4, first 2 shown]
	v_fma_f32 v25, v17, s23, -v6
	v_rndne_f32_e32 v26, v6
	v_fma_f32 v27, v20, s23, -v7
	v_rndne_f32_e32 v28, v7
	;; [unrolled: 2-line block ×4, first 2 shown]
	v_fmac_f32_e32 v25, 0x32a5705f, v17
	v_sub_f32_e32 v6, v6, v26
	v_fmac_f32_e32 v27, 0x32a5705f, v20
	v_sub_f32_e32 v7, v7, v28
	;; [unrolled: 2-line block ×4, first 2 shown]
	v_add_f32_e32 v6, v6, v25
	v_cvt_i32_f32_e32 v26, v26
	v_add_f32_e32 v7, v7, v27
	v_add_f32_e32 v8, v8, v29
	;; [unrolled: 1-line block ×3, first 2 shown]
	v_exp_f32_e32 v6, v6
	v_cvt_i32_f32_e32 v28, v28
	v_cvt_i32_f32_e32 v45, v45
	;; [unrolled: 1-line block ×3, first 2 shown]
	v_exp_f32_e32 v7, v7
	v_exp_f32_e32 v8, v8
	;; [unrolled: 1-line block ×3, first 2 shown]
	s_and_b64 s[4:5], s[24:25], s[4:5]
	v_ldexp_f32 v6, v6, v26
	v_cmp_ngt_f32_e64 s[24:25], s74, v17
	v_ldexp_f32 v25, v7, v28
	v_ldexp_f32 v26, v8, v45
	;; [unrolled: 1-line block ×3, first 2 shown]
	v_cndmask_b32_e64 v28, 0, v6, s[24:25]
	v_sub_f32_e32 v23, v184, v38
	v_mul_f32_e32 v24, 0x3fb8aa3b, v23
	v_fma_f32 v52, v23, s23, -v24
	v_rndne_f32_e32 v53, v24
	v_fmac_f32_e32 v52, 0x32a5705f, v23
	v_sub_f32_e32 v24, v24, v53
	v_add_f32_e32 v24, v24, v52
	v_cvt_i32_f32_e32 v53, v53
	v_exp_f32_e32 v24, v24
	v_cmp_ngt_f32_e64 s[24:25], s74, v20
	v_ldexp_f32 v24, v24, v53
	s_waitcnt vmcnt(0)
	ds_write_b128 v170, v[12:15]
	flat_load_dwordx4 v[6:9], v[18:19]
	v_cndmask_b32_e64 v12, 0, v25, s[24:25]
	v_cmp_ngt_f32_e64 s[24:25], s74, v21
	s_waitcnt vmcnt(0) lgkmcnt(0)
	ds_write_b128 v172, v[6:9]
	v_cndmask_b32_e64 v13, 0, v26, s[24:25]
	v_cmp_ngt_f32_e64 s[24:25], s74, v22
	s_waitcnt lgkmcnt(0)
	s_barrier
	v_cndmask_b32_e64 v14, 0, v27, s[24:25]
	v_cmp_ngt_f32_e64 s[24:25], s74, v23
	s_nop 1
	v_cndmask_b32_e64 v15, 0, v24, s[24:25]
	v_cmp_nlt_f32_e64 s[24:25], s53, v17
	s_nop 1
	v_cndmask_b32_e64 v17, v180, v28, s[24:25]
	v_cmp_nlt_f32_e64 s[24:25], s53, v20
	;; [unrolled: 3-line block ×3, first 2 shown]
	v_cndmask_b32_e64 v12, 0, v17, s[30:31]
	v_cndmask_b32_e32 v1, v1, v18, vcc
	v_cndmask_b32_e64 v13, v180, v13, s[24:25]
	v_cmp_nlt_f32_e64 s[24:25], s53, v22
	v_add_f32_e32 v17, v18, v12
	v_cndmask_b32_e64 v10, v10, v13, s[26:27]
	v_cndmask_b32_e64 v14, v180, v14, s[24:25]
	v_cmp_nlt_f32_e64 s[24:25], s53, v23
	v_cndmask_b32_e64 v11, v11, v14, s[28:29]
	v_cvt_pk_f16_f32 v52, v12, v1
	v_cndmask_b32_e64 v15, v180, v15, s[24:25]
	v_cmp_le_f32_e64 s[24:25], s86, v23
	v_cndmask_b32_e32 v1, v12, v17, vcc
	v_cvt_pk_f16_f32 v53, v10, v11
	v_cndmask_b32_e64 v15, 0, v15, s[24:25]
	v_cvt_f16_f32_e32 v18, v15
	v_add_f32_e32 v10, v1, v13
	v_cndmask_b32_e64 v1, v1, v10, s[26:27]
	v_add_f32_e32 v10, v1, v14
	v_mul_u32_u24_e32 v11, 0x10001, v18
	v_cndmask_b32_e64 v1, v1, v10, s[28:29]
	v_pk_mul_f16 v14, v33, v11
	v_pk_mul_f16 v17, v32, v11
	;; [unrolled: 1-line block ×11, first 2 shown]
	v_fmac_f32_e32 v1, v99, v15
	v_cvt_f32_f16_e32 v18, v14
	v_cvt_f32_f16_sdwa v19, v14 dst_sel:DWORD dst_unused:UNUSED_PAD src0_sel:WORD_1
	v_cvt_f32_f16_e32 v20, v17
	v_cvt_f32_f16_sdwa v21, v17 dst_sel:DWORD dst_unused:UNUSED_PAD src0_sel:WORD_1
	;; [unrolled: 2-line block ×3, first 2 shown]
	ds_read_u16 v6, v124
	ds_read_u16 v8, v124 offset:32
	ds_read_u16 v17, v124 offset:64
	;; [unrolled: 1-line block ×23, first 2 shown]
	ds_read_u16 v46, v16
	ds_read_u16 v111, v16 offset:32
	ds_read_u16 v184, v16 offset:64
	;; [unrolled: 1-line block ×7, first 2 shown]
	v_pk_mul_f16 v13, v36, v11
	s_waitcnt lgkmcnt(14)
	v_perm_b32 v6, v7, v6, s81
	s_waitcnt lgkmcnt(7)
	v_perm_b32 v7, v46, v14, s81
	v_perm_b32 v14, v9, v8, s81
	s_waitcnt lgkmcnt(6)
	v_perm_b32 v15, v111, v15, s81
	v_pk_mul_f16 v23, v31, v11
	v_pk_mul_f16 v25, v30, v11
	;; [unrolled: 1-line block ×4, first 2 shown]
	v_cvt_f32_f16_e32 v10, v12
	v_cvt_f32_f16_sdwa v11, v12 dst_sel:DWORD dst_unused:UNUSED_PAD src0_sel:WORD_1
	v_cvt_f32_f16_e32 v12, v13
	v_cvt_f32_f16_sdwa v13, v13 dst_sel:DWORD dst_unused:UNUSED_PAD src0_sel:WORD_1
	v_perm_b32 v16, v48, v17, s81
	s_waitcnt lgkmcnt(5)
	v_perm_b32 v17, v184, v105, s81
	v_mfma_f32_16x16x16_f16 v[6:9], v[6:7], v[52:53], v[10:13]
	v_cvt_f32_f16_e32 v22, v23
	v_cvt_f32_f16_sdwa v23, v23 dst_sel:DWORD dst_unused:UNUSED_PAD src0_sel:WORD_1
	v_cvt_f32_f16_e32 v24, v25
	v_mfma_f32_16x16x16_f16 v[10:13], v[14:15], v[52:53], v[18:21]
	v_cvt_f32_f16_sdwa v25, v25 dst_sel:DWORD dst_unused:UNUSED_PAD src0_sel:WORD_1
	v_cvt_f32_f16_e32 v26, v27
	v_cvt_f32_f16_sdwa v27, v27 dst_sel:DWORD dst_unused:UNUSED_PAD src0_sel:WORD_1
	v_perm_b32 v18, v100, v39, s81
	s_waitcnt lgkmcnt(4)
	v_perm_b32 v19, v185, v106, s81
	v_cvt_f32_f16_e32 v28, v29
	v_cvt_f32_f16_sdwa v29, v29 dst_sel:DWORD dst_unused:UNUSED_PAD src0_sel:WORD_1
	v_mfma_f32_16x16x16_f16 v[14:17], v[16:17], v[52:53], v[22:25]
	v_cvt_f32_f16_e32 v30, v31
	v_cvt_f32_f16_sdwa v31, v31 dst_sel:DWORD dst_unused:UNUSED_PAD src0_sel:WORD_1
	v_cvt_f32_f16_e32 v32, v33
	v_perm_b32 v22, v101, v50, s81
	s_waitcnt lgkmcnt(3)
	v_perm_b32 v23, v186, v107, s81
	v_mfma_f32_16x16x16_f16 v[18:21], v[18:19], v[52:53], v[26:29]
	v_cvt_f32_f16_sdwa v33, v33 dst_sel:DWORD dst_unused:UNUSED_PAD src0_sel:WORD_1
	v_cvt_f32_f16_e32 v34, v35
	v_cvt_f32_f16_sdwa v35, v35 dst_sel:DWORD dst_unused:UNUSED_PAD src0_sel:WORD_1
	v_perm_b32 v26, v102, v51, s81
	s_waitcnt lgkmcnt(2)
	v_perm_b32 v27, v187, v108, s81
	v_cvt_f32_f16_e32 v36, v37
	v_cvt_f32_f16_sdwa v37, v37 dst_sel:DWORD dst_unused:UNUSED_PAD src0_sel:WORD_1
	ds_bpermute_b32 v111, v41, v1
	v_mfma_f32_16x16x16_f16 v[22:25], v[22:23], v[52:53], v[30:33]
	v_cvt_f32_f16_e32 v44, v45
	v_cvt_f32_f16_sdwa v45, v45 dst_sel:DWORD dst_unused:UNUSED_PAD src0_sel:WORD_1
	v_cvt_f32_f16_e32 v46, v47
	v_perm_b32 v30, v103, v56, s81
	s_waitcnt lgkmcnt(2)
	v_perm_b32 v31, v188, v109, s81
	v_mfma_f32_16x16x16_f16 v[26:29], v[26:27], v[52:53], v[34:37]
	v_cvt_f32_f16_sdwa v47, v47 dst_sel:DWORD dst_unused:UNUSED_PAD src0_sel:WORD_1
	v_cvt_f32_f16_e32 v48, v49
	v_cvt_f32_f16_sdwa v49, v49 dst_sel:DWORD dst_unused:UNUSED_PAD src0_sel:WORD_1
	v_perm_b32 v34, v104, v99, s81
	s_waitcnt lgkmcnt(1)
	v_perm_b32 v35, v189, v110, s81
	s_waitcnt lgkmcnt(0)
	v_add_f32_e32 v1, v1, v111
	ds_bpermute_b32 v39, v40, v1
	v_mfma_f32_16x16x16_f16 v[30:33], v[30:31], v[52:53], v[42:45]
	v_cvt_f16_f32_e32 v12, v12
	v_cvt_f16_f32_e32 v13, v13
	;; [unrolled: 1-line block ×3, first 2 shown]
	v_mfma_f32_16x16x16_f16 v[34:37], v[34:35], v[52:53], v[46:49]
	s_waitcnt lgkmcnt(0)
	v_add_f32_e32 v39, v1, v39
	v_cvt_f16_f32_e32 v42, v6
	v_cvt_f16_f32_e32 v43, v7
	;; [unrolled: 1-line block ×29, first 2 shown]
	v_perm_b32 v24, v8, v1, s81
	v_perm_b32 v21, v13, v12, s81
	;; [unrolled: 1-line block ×16, first 2 shown]
	s_barrier
	s_and_saveexec_b64 s[24:25], s[4:5]
	s_cbranch_execz .LBB25_93
; %bb.92:                               ;   in Loop: Header=BB25_14 Depth=1
	v_cvt_pk_f16_f32 v8, v10, v11
	v_cvt_pk_f16_f32 v10, v18, v19
	global_load_dword v19, v57, s[98:99]
	v_cvt_pk_f16_f32 v7, v6, v7
	v_cvt_pk_f16_f32 v11, v22, v23
	v_max_f32_e32 v22, v38, v38
	v_cvt_pk_f16_f32 v9, v14, v15
	v_cvt_pk_f16_f32 v14, v26, v27
	;; [unrolled: 1-line block ×4, first 2 shown]
	s_waitcnt vmcnt(0)
	v_max_f32_e32 v6, v19, v19
	v_max_f32_e32 v6, v22, v6
	v_sub_f32_e32 v22, v38, v6
	v_mul_f32_e32 v23, 0x3fb8aa3b, v22
	v_fma_f32 v25, v22, s23, -v23
	v_rndne_f32_e32 v26, v23
	v_fmac_f32_e32 v25, 0x32a5705f, v22
	v_sub_f32_e32 v23, v23, v26
	v_add_f32_e32 v23, v23, v25
	v_exp_f32_e32 v23, v23
	v_cvt_i32_f32_e32 v25, v26
	v_cmp_ngt_f32_e32 vcc, s74, v22
	v_sub_f32_e32 v19, v19, v6
	v_ldexp_f32 v23, v23, v25
	v_cndmask_b32_e32 v23, 0, v23, vcc
	v_cmp_nlt_f32_e32 vcc, s53, v22
	s_nop 1
	v_cndmask_b32_e32 v23, v180, v23, vcc
	v_cmp_le_f32_e32 vcc, s86, v22
	s_nop 1
	v_cndmask_b32_e32 v22, 0, v23, vcc
	v_cvt_f16_f32_e32 v23, v22
	v_cmp_ngt_f32_e32 vcc, s74, v19
	v_mul_u32_u24_e32 v23, 0x10001, v23
	v_pk_mul_f16 v42, v7, v23
	v_mul_f32_e32 v7, 0x3fb8aa3b, v19
	v_pk_mul_f16 v37, v8, v23
	v_pk_mul_f16 v36, v9, v23
	v_fma_f32 v8, v19, s23, -v7
	v_rndne_f32_e32 v9, v7
	v_fmac_f32_e32 v8, 0x32a5705f, v19
	v_sub_f32_e32 v7, v7, v9
	v_add_f32_e32 v7, v7, v8
	v_exp_f32_e32 v7, v7
	v_cvt_i32_f32_e32 v8, v9
	v_pk_mul_f16 v24, v24, v23
	v_pk_mul_f16 v21, v21, v23
	;; [unrolled: 1-line block ×3, first 2 shown]
	v_ldexp_f32 v7, v7, v8
	v_cndmask_b32_e32 v7, 0, v7, vcc
	v_cmp_nlt_f32_e32 vcc, s53, v19
	v_pk_mul_f16 v33, v10, v23
	v_pk_mul_f16 v17, v17, v23
	v_cndmask_b32_e32 v7, v180, v7, vcc
	v_fmac_f32_e32 v7, v39, v22
	v_pk_mul_f16 v32, v11, v23
	v_pk_mul_f16 v16, v16, v23
	;; [unrolled: 1-line block ×8, first 2 shown]
	v_mov_b64_e32 v[38:39], v[6:7]
.LBB25_93:                              ;   in Loop: Header=BB25_14 Depth=1
	s_or_b64 exec, exec, s[24:25]
	s_mov_b64 s[4:5], exec
	v_readlane_b32 s24, v218, 53
	v_readlane_b32 s25, v218, 54
	s_and_b64 s[24:25], s[4:5], s[24:25]
	s_mov_b64 exec, s[24:25]
; %bb.94:                               ;   in Loop: Header=BB25_14 Depth=1
	v_add_u32_e32 v6, 0, v146
	ds_write2_b32 v6, v38, v39 offset0:64 offset1:65
; %bb.95:                               ;   in Loop: Header=BB25_14 Depth=1
	s_or_b64 exec, exec, s[4:5]
	s_waitcnt lgkmcnt(0)
	s_barrier
	s_mov_b64 s[4:5], exec
	v_readlane_b32 s24, v218, 36
	v_readlane_b32 s25, v218, 37
	s_and_b64 s[24:25], s[4:5], s[24:25]
	s_xor_b64 s[4:5], s[24:25], s[4:5]
	s_mov_b64 exec, s[24:25]
	s_cbranch_execz .LBB25_97
; %bb.96:                               ;   in Loop: Header=BB25_14 Depth=1
	s_barrier
                                        ; implicit-def: $vgpr41
                                        ; implicit-def: $vgpr40
.LBB25_97:                              ;   in Loop: Header=BB25_14 Depth=1
	s_andn2_saveexec_b64 s[4:5], s[4:5]
	s_cbranch_execz .LBB25_101
; %bb.98:                               ;   in Loop: Header=BB25_14 Depth=1
	v_add_u32_e32 v7, 0, v146
	ds_read_b64 v[8:9], v7 offset:256
	s_waitcnt lgkmcnt(0)
	s_barrier
	ds_bpermute_b32 v6, v41, v8
	v_max_f32_e32 v10, v8, v8
	s_waitcnt lgkmcnt(0)
	v_max_f32_e32 v6, v6, v6
	v_max_f32_e32 v6, v10, v6
	ds_bpermute_b32 v10, v40, v6
	s_waitcnt lgkmcnt(0)
	v_max_f32_e32 v10, v10, v10
	v_max_f32_e32 v6, v6, v10
	v_sub_f32_e32 v8, v8, v6
	v_mul_f32_e32 v10, 0x3fb8aa3b, v8
	v_fma_f32 v11, v8, s23, -v10
	v_rndne_f32_e32 v14, v10
	v_fmac_f32_e32 v11, 0x32a5705f, v8
	v_sub_f32_e32 v10, v10, v14
	v_add_f32_e32 v10, v10, v11
	v_cvt_i32_f32_e32 v14, v14
	v_exp_f32_e32 v10, v10
	v_cmp_ngt_f32_e32 vcc, s74, v8
	v_ldexp_f32 v10, v10, v14
	s_nop 0
	v_cndmask_b32_e32 v10, 0, v10, vcc
	v_cmp_nlt_f32_e32 vcc, s53, v8
	s_nop 1
	v_cndmask_b32_e32 v8, v180, v10, vcc
	v_mul_f32_e32 v10, v9, v8
	ds_bpermute_b32 v10, v41, v10
	s_waitcnt lgkmcnt(0)
	v_fmac_f32_e32 v10, v9, v8
	ds_bpermute_b32 v9, v40, v10
	s_waitcnt lgkmcnt(0)
	v_add_f32_e32 v9, v10, v9
	ds_write_b64 v7, v[8:9] offset:256
	s_mov_b64 s[24:25], exec
	v_readlane_b32 s26, v218, 53
	v_readlane_b32 s27, v218, 54
	s_and_b64 s[26:27], s[24:25], s[26:27]
	s_mov_b64 exec, s[26:27]
	s_cbranch_execz .LBB25_100
; %bb.99:                               ;   in Loop: Header=BB25_14 Depth=1
	v_mov_b32_e32 v7, v9
	global_store_dwordx2 v[80:81], v[6:7], off
.LBB25_100:                             ;   in Loop: Header=BB25_14 Depth=1
	s_or_b64 exec, exec, s[24:25]
.LBB25_101:                             ;   in Loop: Header=BB25_14 Depth=1
	s_or_b64 exec, exec, s[4:5]
	ds_write2_b32 v142, v42, v24 offset1:1
	ds_write2_b32 v142, v37, v21 offset0:8 offset1:9
	ds_write2_b32 v142, v36, v20 offset0:16 offset1:17
	;; [unrolled: 1-line block ×7, first 2 shown]
	s_waitcnt lgkmcnt(0)
	s_barrier
	s_mov_b64 s[24:25], exec
	v_readlane_b32 s4, v218, 34
	v_readlane_b32 s5, v218, 35
	s_and_b64 s[4:5], s[24:25], s[4:5]
	s_mov_b64 exec, s[4:5]
	s_cbranch_execz .LBB25_179
; %bb.102:                              ;   in Loop: Header=BB25_14 Depth=1
	v_add_u32_e32 v1, s67, v125
	v_cmp_gt_i32_e32 vcc, s52, v1
	v_mov_b32_e32 v6, 0x47
	s_and_saveexec_b64 s[4:5], vcc
	s_cbranch_execz .LBB25_104
; %bb.103:                              ;   in Loop: Header=BB25_14 Depth=1
	v_add_u32_e32 v10, 0, v147
	v_add_u32_e32 v12, v118, v147
	ds_read2st64_b32 v[6:7], v10 offset0:1 offset1:18
	ds_read2st64_b32 v[8:9], v12 offset1:17
	ds_read2st64_b32 v[10:11], v10 offset0:35 offset1:52
	ds_read2st64_b32 v[12:13], v12 offset0:34 offset1:51
	v_readlane_b32 s26, v218, 41
	s_waitcnt lgkmcnt(2)
	v_cvt_f32_f16_e32 v16, v8
	v_cvt_f32_f16_sdwa v17, v8 dst_sel:DWORD dst_unused:UNUSED_PAD src0_sel:WORD_1
	v_cvt_f32_f16_e32 v8, v9
	v_cvt_f32_f16_sdwa v9, v9 dst_sel:DWORD dst_unused:UNUSED_PAD src0_sel:WORD_1
	v_mad_u64_u32 v[14:15], s[26:27], s26, v1, v[54:55]
	v_pk_fma_f32 v[16:17], v[6:7], v[16:17], 0 op_sel_hi:[0,1,0]
	v_mov_b32_e32 v6, v7
	v_pk_fma_f32 v[6:7], v[6:7], v[8:9], v[16:17] op_sel_hi:[0,1,1]
	s_waitcnt lgkmcnt(0)
	v_cvt_f32_f16_e32 v8, v12
	v_cvt_f32_f16_sdwa v9, v12 dst_sel:DWORD dst_unused:UNUSED_PAD src0_sel:WORD_1
	v_readlane_b32 s26, v218, 60
	v_ashrrev_i32_e32 v15, 31, v14
	v_readlane_b32 s27, v218, 61
	v_pk_fma_f32 v[6:7], v[10:11], v[8:9], v[6:7] op_sel_hi:[0,1,1]
	v_cvt_f32_f16_e32 v8, v13
	v_cvt_f32_f16_sdwa v9, v13 dst_sel:DWORD dst_unused:UNUSED_PAD src0_sel:WORD_1
	v_mov_b32_e32 v10, v11
	v_lshl_add_u64 v[14:15], v[14:15], 3, s[26:27]
	v_pk_fma_f32 v[6:7], v[10:11], v[8:9], v[6:7] op_sel_hi:[0,1,1]
	global_store_dwordx2 v[14:15], v[6:7], off
	v_mov_b32_e32 v6, 0
.LBB25_104:                             ;   in Loop: Header=BB25_14 Depth=1
	s_or_b64 exec, exec, s[4:5]
	s_movk_i32 s4, 0x47
	v_cmp_gt_i32_e32 vcc, s4, v6
	s_mov_b64 s[4:5], -1
	s_and_saveexec_b64 s[26:27], vcc
; %bb.105:                              ;   in Loop: Header=BB25_14 Depth=1
	v_cmp_eq_u32_e32 vcc, 0, v6
	s_orn2_b64 s[4:5], vcc, exec
; %bb.106:                              ;   in Loop: Header=BB25_14 Depth=1
	s_or_b64 exec, exec, s[26:27]
	s_and_b64 exec, exec, s[4:5]
	s_cbranch_execz .LBB25_179
; %bb.107:                              ;   in Loop: Header=BB25_14 Depth=1
	v_add_u32_e32 v1, s67, v126
	v_cmp_gt_i32_e32 vcc, s52, v1
	v_mov_b32_e32 v6, 0x47
	s_and_saveexec_b64 s[4:5], vcc
	s_cbranch_execz .LBB25_109
; %bb.108:                              ;   in Loop: Header=BB25_14 Depth=1
	v_add_u32_e32 v10, 0, v148
	v_add_u32_e32 v12, v118, v148
	ds_read2st64_b32 v[6:7], v10 offset0:1 offset1:18
	ds_read2st64_b32 v[8:9], v12 offset1:17
	ds_read2st64_b32 v[10:11], v10 offset0:35 offset1:52
	ds_read2st64_b32 v[12:13], v12 offset0:34 offset1:51
	v_readlane_b32 s26, v218, 41
	s_waitcnt lgkmcnt(2)
	v_cvt_f32_f16_e32 v16, v8
	v_cvt_f32_f16_sdwa v17, v8 dst_sel:DWORD dst_unused:UNUSED_PAD src0_sel:WORD_1
	v_cvt_f32_f16_e32 v8, v9
	v_cvt_f32_f16_sdwa v9, v9 dst_sel:DWORD dst_unused:UNUSED_PAD src0_sel:WORD_1
	v_mad_u64_u32 v[14:15], s[26:27], s26, v1, v[54:55]
	v_pk_fma_f32 v[16:17], v[6:7], v[16:17], 0 op_sel_hi:[0,1,0]
	v_mov_b32_e32 v6, v7
	v_pk_fma_f32 v[6:7], v[6:7], v[8:9], v[16:17] op_sel_hi:[0,1,1]
	s_waitcnt lgkmcnt(0)
	v_cvt_f32_f16_e32 v8, v12
	v_cvt_f32_f16_sdwa v9, v12 dst_sel:DWORD dst_unused:UNUSED_PAD src0_sel:WORD_1
	v_readlane_b32 s26, v218, 60
	v_ashrrev_i32_e32 v15, 31, v14
	v_readlane_b32 s27, v218, 61
	v_pk_fma_f32 v[6:7], v[10:11], v[8:9], v[6:7] op_sel_hi:[0,1,1]
	v_cvt_f32_f16_e32 v8, v13
	v_cvt_f32_f16_sdwa v9, v13 dst_sel:DWORD dst_unused:UNUSED_PAD src0_sel:WORD_1
	v_mov_b32_e32 v10, v11
	v_lshl_add_u64 v[14:15], v[14:15], 3, s[26:27]
	v_pk_fma_f32 v[6:7], v[10:11], v[8:9], v[6:7] op_sel_hi:[0,1,1]
	global_store_dwordx2 v[14:15], v[6:7], off
	v_mov_b32_e32 v6, 0
.LBB25_109:                             ;   in Loop: Header=BB25_14 Depth=1
	s_or_b64 exec, exec, s[4:5]
	s_movk_i32 s4, 0x47
	v_cmp_gt_i32_e32 vcc, s4, v6
	s_mov_b64 s[4:5], -1
	s_and_saveexec_b64 s[26:27], vcc
; %bb.110:                              ;   in Loop: Header=BB25_14 Depth=1
	v_cmp_eq_u32_e32 vcc, 0, v6
	s_orn2_b64 s[4:5], vcc, exec
; %bb.111:                              ;   in Loop: Header=BB25_14 Depth=1
	s_or_b64 exec, exec, s[26:27]
	s_and_b64 exec, exec, s[4:5]
	;; [unrolled: 50-line block ×15, first 2 shown]
	s_cbranch_execz .LBB25_179
; %bb.177:                              ;   in Loop: Header=BB25_14 Depth=1
	v_add_u32_e32 v1, s67, v140
	v_cmp_gt_i32_e32 vcc, s52, v1
	s_and_b64 exec, exec, vcc
	s_cbranch_execz .LBB25_179
; %bb.178:                              ;   in Loop: Header=BB25_14 Depth=1
	v_add_u32_e32 v10, 0, v162
	v_add_u32_e32 v12, v118, v162
	ds_read2st64_b32 v[6:7], v10 offset0:1 offset1:18
	ds_read2st64_b32 v[8:9], v12 offset1:17
	ds_read2st64_b32 v[10:11], v10 offset0:35 offset1:52
	ds_read2st64_b32 v[12:13], v12 offset0:34 offset1:51
	v_readlane_b32 s4, v218, 41
	s_waitcnt lgkmcnt(2)
	v_cvt_f32_f16_e32 v16, v8
	v_cvt_f32_f16_sdwa v17, v8 dst_sel:DWORD dst_unused:UNUSED_PAD src0_sel:WORD_1
	v_cvt_f32_f16_e32 v8, v9
	v_cvt_f32_f16_sdwa v9, v9 dst_sel:DWORD dst_unused:UNUSED_PAD src0_sel:WORD_1
	v_mad_u64_u32 v[14:15], s[4:5], s4, v1, v[54:55]
	v_pk_fma_f32 v[16:17], v[6:7], v[16:17], 0 op_sel_hi:[0,1,0]
	v_mov_b32_e32 v6, v7
	v_pk_fma_f32 v[6:7], v[6:7], v[8:9], v[16:17] op_sel_hi:[0,1,1]
	s_waitcnt lgkmcnt(0)
	v_cvt_f32_f16_e32 v8, v12
	v_cvt_f32_f16_sdwa v9, v12 dst_sel:DWORD dst_unused:UNUSED_PAD src0_sel:WORD_1
	v_readlane_b32 s4, v218, 60
	v_ashrrev_i32_e32 v15, 31, v14
	v_readlane_b32 s5, v218, 61
	v_pk_fma_f32 v[6:7], v[10:11], v[8:9], v[6:7] op_sel_hi:[0,1,1]
	v_cvt_f32_f16_e32 v8, v13
	v_cvt_f32_f16_sdwa v9, v13 dst_sel:DWORD dst_unused:UNUSED_PAD src0_sel:WORD_1
	v_mov_b32_e32 v10, v11
	v_lshl_add_u64 v[14:15], v[14:15], 3, s[4:5]
	v_pk_fma_f32 v[6:7], v[10:11], v[8:9], v[6:7] op_sel_hi:[0,1,1]
	global_store_dwordx2 v[14:15], v[6:7], off
.LBB25_179:                             ;   in Loop: Header=BB25_14 Depth=1
	s_or_b64 exec, exec, s[24:25]
	s_barrier
	s_branch .LBB25_13
.LBB25_180:                             ;   in Loop: Header=BB25_14 Depth=1
	s_lshl_b32 s62, s90, 4
	v_add_u32_e32 v190, s62, v113
	v_cmp_le_i32_e32 vcc, s52, v190
	s_and_saveexec_b64 s[4:5], vcc
	s_xor_b64 s[4:5], exec, s[4:5]
; %bb.181:                              ;   in Loop: Header=BB25_14 Depth=1
	v_add_u32_e32 v1, v118, v173
	ds_write_b32 v1, v57
; %bb.182:                              ;   in Loop: Header=BB25_14 Depth=1
	s_andn2_saveexec_b64 s[4:5], s[4:5]
	s_cbranch_execz .LBB25_184
; %bb.183:                              ;   in Loop: Header=BB25_14 Depth=1
	v_readlane_b32 s24, v218, 16
	s_nop 1
	v_mad_u64_u32 v[6:7], s[24:25], v190, s24, v[54:55]
	v_ashrrev_i32_e32 v7, 31, v6
	v_lshl_add_u64 v[6:7], v[6:7], 3, s[76:77]
	global_load_dwordx2 v[6:7], v[6:7], off
	s_waitcnt vmcnt(0)
	v_cvt_pk_f16_f32 v1, v6, v7
	v_pk_mul_f16 v1, v1, v163
	v_add_u32_e32 v6, v118, v173
	ds_write_b32 v6, v1
.LBB25_184:                             ;   in Loop: Header=BB25_14 Depth=1
	s_or_b64 exec, exec, s[4:5]
	v_add_u32_e32 v191, s62, v116
	v_cmp_le_i32_e32 vcc, s52, v191
	s_and_saveexec_b64 s[4:5], vcc
	s_xor_b64 s[4:5], exec, s[4:5]
; %bb.185:                              ;   in Loop: Header=BB25_14 Depth=1
	v_add_u32_e32 v1, v118, v173
	ds_write_b32 v1, v57 offset:1088
; %bb.186:                              ;   in Loop: Header=BB25_14 Depth=1
	s_andn2_saveexec_b64 s[4:5], s[4:5]
	s_cbranch_execz .LBB25_188
; %bb.187:                              ;   in Loop: Header=BB25_14 Depth=1
	v_readlane_b32 s24, v218, 16
	s_nop 1
	v_mad_u64_u32 v[6:7], s[24:25], v191, s24, v[54:55]
	v_ashrrev_i32_e32 v7, 31, v6
	v_lshl_add_u64 v[6:7], v[6:7], 3, s[76:77]
	global_load_dwordx2 v[6:7], v[6:7], off
	s_waitcnt vmcnt(0)
	v_cvt_pk_f16_f32 v1, v6, v7
	v_pk_mul_f16 v1, v1, v163
	v_add_u32_e32 v6, v118, v173
	ds_write_b32 v6, v1 offset:1088
.LBB25_188:                             ;   in Loop: Header=BB25_14 Depth=1
	s_or_b64 exec, exec, s[4:5]
	v_add_u32_e32 v192, s62, v59
	v_cmp_le_i32_e32 vcc, s52, v192
	s_and_saveexec_b64 s[4:5], vcc
	s_xor_b64 s[4:5], exec, s[4:5]
; %bb.189:                              ;   in Loop: Header=BB25_14 Depth=1
	v_add_u32_e32 v1, v118, v173
	ds_write_b32 v1, v57 offset:2176
; %bb.190:                              ;   in Loop: Header=BB25_14 Depth=1
	s_andn2_saveexec_b64 s[4:5], s[4:5]
	s_cbranch_execz .LBB25_192
; %bb.191:                              ;   in Loop: Header=BB25_14 Depth=1
	v_readlane_b32 s24, v218, 16
	s_nop 1
	v_mad_u64_u32 v[6:7], s[24:25], v192, s24, v[54:55]
	v_ashrrev_i32_e32 v7, 31, v6
	v_lshl_add_u64 v[6:7], v[6:7], 3, s[76:77]
	global_load_dwordx2 v[6:7], v[6:7], off
	s_waitcnt vmcnt(0)
	v_cvt_pk_f16_f32 v1, v6, v7
	v_pk_mul_f16 v1, v1, v163
	v_add_u32_e32 v6, v118, v173
	ds_write_b32 v6, v1 offset:2176
.LBB25_192:                             ;   in Loop: Header=BB25_14 Depth=1
	;; [unrolled: 24-line block ×3, first 2 shown]
	s_or_b64 exec, exec, s[4:5]
	s_waitcnt lgkmcnt(0)
	s_barrier
	ds_read2_b64 v[18:21], v119 offset1:4
	ds_read2_b64 v[14:17], v119 offset0:8 offset1:12
	ds_read2_b64 v[10:13], v119 offset0:16 offset1:20
	;; [unrolled: 1-line block ×3, first 2 shown]
	s_cmp_lt_i32 s82, 2
	s_waitcnt lgkmcnt(0)
	s_barrier
	s_cbranch_scc1 .LBB25_223
; %bb.197:                              ;   in Loop: Header=BB25_14 Depth=1
	v_mul_hi_u32 v22, s70, v191
	v_add_u32_e32 v22, v191, v22
	v_lshrrev_b32_e32 v22, s71, v22
	v_mul_lo_u32 v22, v22, s52
	v_sub_u32_e32 v24, v191, v22
	v_mul_hi_u32 v22, s70, v192
	v_add_u32_e32 v22, v192, v22
	v_lshrrev_b32_e32 v22, s71, v22
	v_mul_lo_u32 v22, v22, s52
	v_sub_u32_e32 v25, v192, v22
	v_mul_hi_u32 v22, s70, v193
	v_add_u32_e32 v22, v193, v22
	v_lshrrev_b32_e32 v22, s71, v22
	v_mul_lo_u32 v22, v22, s52
	v_sub_u32_e32 v26, v193, v22
	v_and_b32_e32 v22, 64, v182
	v_add_u32_e32 v22, 64, v22
	v_xor_b32_e32 v23, 32, v182
	v_cmp_lt_i32_e32 vcc, v23, v22
	v_mul_hi_u32 v1, s70, v190
	v_add_u32_e32 v1, v190, v1
	v_cndmask_b32_e32 v23, v182, v23, vcc
	v_lshlrev_b32_e32 v56, 2, v23
	v_xor_b32_e32 v23, 16, v182
	v_lshrrev_b32_e32 v1, s71, v1
	v_cmp_lt_i32_e32 vcc, v23, v22
	v_mul_lo_u32 v1, v1, s52
	v_readlane_b32 s4, v218, 57
	v_cndmask_b32_e32 v22, v182, v23, vcc
	v_sub_u32_e32 v1, v190, v1
	v_lshlrev_b32_e32 v194, 2, v22
	v_lshl_add_u64 v[22:23], s[84:85], 0, v[60:61]
	v_readlane_b32 s5, v218, 58
	s_mov_b32 s28, s4
	s_add_i32 s26, s82, -1
	v_mad_i64_i32 v[32:33], s[4:5], s28, v1, v[22:23]
	v_mad_i64_i32 v[34:35], s[4:5], s28, v24, v[22:23]
	;; [unrolled: 1-line block ×4, first 2 shown]
	s_cmp_lg_u64 s[84:85], 0
	v_readlane_b32 s4, v218, 62
	s_cselect_b64 s[24:25], -1, 0
	s_add_u32 s4, s4, s22
	v_readlane_b32 s5, v218, 63
	s_addc_u32 s5, s5, s33
	v_mov_b32_e32 v30, v98
	v_lshl_add_u64 v[40:41], v[82:83], 0, s[4:5]
	v_lshl_add_u64 v[42:43], v[84:85], 0, s[4:5]
	;; [unrolled: 1-line block ×4, first 2 shown]
	s_add_u32 s4, s88, s78
	s_addc_u32 s5, s83, s79
	v_mov_b32_e32 v31, v98
	v_lshl_add_u64 v[48:49], v[90:91], 0, s[4:5]
	v_lshl_add_u64 v[50:51], v[92:93], 0, s[4:5]
	;; [unrolled: 1-line block ×4, first 2 shown]
	v_mov_b32_e32 v102, 0
	v_mov_b32_e32 v197, 0xfeffffff
	;; [unrolled: 1-line block ×3, first 2 shown]
	s_mov_b32 s22, s26
	v_mov_b32_e32 v103, 0
	v_mov_b32_e32 v105, 0
	;; [unrolled: 1-line block ×15, first 2 shown]
	s_andn2_b64 vcc, exec, s[24:25]
	s_cbranch_vccnz .LBB25_201
.LBB25_198:                             ;   in Loop: Header=BB25_14 Depth=1
	v_mov_b32_e32 v1, 0
	v_mov_b32_e32 v22, 0
	v_mov_b32_e32 v23, 0
	v_mov_b32_e32 v24, 0
	s_and_saveexec_b64 s[4:5], s[0:1]
	s_cbranch_execz .LBB25_200
; %bb.199:                              ;   in Loop: Header=BB25_14 Depth=1
	global_load_ushort v1, v[32:33], off
	global_load_ushort v22, v[34:35], off
	;; [unrolled: 1-line block ×4, first 2 shown]
.LBB25_200:                             ;   in Loop: Header=BB25_14 Depth=1
	s_or_b64 exec, exec, s[4:5]
	s_waitcnt vmcnt(3)
	ds_write_b16 v141, v1 offset:17408
	s_waitcnt vmcnt(2)
	ds_write_b16 v164, v22 offset:17408
	;; [unrolled: 2-line block ×4, first 2 shown]
.LBB25_201:                             ;   Parent Loop BB25_14 Depth=1
                                        ; =>  This Inner Loop Header: Depth=2
	v_lshl_add_u64 v[22:23], v[48:49], 0, v[78:79]
	v_mov_b32_e32 v1, s91
	v_cndmask_b32_e64 v23, v1, v23, s[6:7]
	v_cndmask_b32_e64 v22, v183, v22, s[6:7]
	scratch_store_dwordx4 off, v[2:5], off
	flat_load_dwordx4 v[22:25], v[22:23]
	v_lshl_add_u64 v[26:27], v[50:51], 0, v[78:79]
	v_cndmask_b32_e64 v27, v1, v27, s[8:9]
	v_cndmask_b32_e64 v26, v183, v26, s[8:9]
	s_waitcnt vmcnt(0) lgkmcnt(0)
	ds_write_b128 v121, v[22:25]
	flat_load_dwordx4 v[22:25], v[26:27]
	v_lshl_add_u64 v[26:27], v[52:53], 0, v[78:79]
	v_cndmask_b32_e64 v27, v1, v27, s[10:11]
	v_cndmask_b32_e64 v26, v183, v26, s[10:11]
	s_waitcnt vmcnt(0) lgkmcnt(0)
	ds_write_b128 v168, v[22:25]
	flat_load_dwordx4 v[22:25], v[26:27]
	v_lshl_add_u64 v[26:27], v[100:101], 0, v[78:79]
	v_cndmask_b32_e64 v27, v1, v27, s[12:13]
	v_cndmask_b32_e64 v26, v183, v26, s[12:13]
                                        ; implicit-def: $vgpr1
	s_waitcnt vmcnt(0) lgkmcnt(0)
	ds_write_b128 v170, v[22:25]
	flat_load_dwordx4 v[22:25], v[26:27]
	s_waitcnt vmcnt(0) lgkmcnt(0)
	ds_write_b128 v172, v[22:25]
	s_waitcnt lgkmcnt(0)
	s_barrier
	ds_read2_b64 v[22:25], v143 offset1:4
	s_waitcnt lgkmcnt(0)
	v_mfma_f32_16x16x16_f16 v[26:29], v[22:23], v[18:19], 0
	v_mfma_f32_16x16x16_f16 v[22:25], v[24:25], v[20:21], v[26:29]
	s_nop 6
	ds_read2_b64 v[26:29], v143 offset0:8 offset1:12
	s_waitcnt lgkmcnt(0)
	v_mfma_f32_16x16x16_f16 v[22:25], v[26:27], v[14:15], v[22:25]
	v_mfma_f32_16x16x16_f16 v[22:25], v[28:29], v[16:17], v[22:25]
	ds_read2_b64 v[26:29], v143 offset0:16 offset1:20
	s_waitcnt lgkmcnt(0)
	v_mfma_f32_16x16x16_f16 v[22:25], v[26:27], v[10:11], v[22:25]
	v_mfma_f32_16x16x16_f16 v[22:25], v[28:29], v[12:13], v[22:25]
	ds_read2_b64 v[26:29], v143 offset0:24 offset1:28
	s_waitcnt lgkmcnt(0)
	s_barrier
	v_mfma_f32_16x16x16_f16 v[22:25], v[26:27], v[6:7], v[22:25]
	v_mfma_f32_16x16x16_f16 v[22:25], v[28:29], v[8:9], v[22:25]
	s_nop 7
	v_cmp_nlt_f32_e64 s[4:5], |v22|, s58
	s_and_saveexec_b64 s[28:29], s[4:5]
	s_xor_b64 s[4:5], exec, s[28:29]
	s_cbranch_execz .LBB25_203
; %bb.202:                              ;   in Loop: Header=BB25_201 Depth=2
	v_add_f32_e64 v1, |v22|, |v22|
	v_mul_f32_e32 v26, 0x3fb8aa3b, v1
	v_rndne_f32_e32 v27, v26
	v_sub_f32_e32 v28, v26, v27
	v_fma_f32 v26, v1, s23, -v26
	v_fmac_f32_e32 v26, 0x32a5705f, v1
	v_add_f32_e32 v26, v28, v26
	v_cvt_i32_f32_e32 v27, v27
	v_exp_f32_e32 v26, v26
	v_cmp_ngt_f32_e32 vcc, s74, v1
	v_ldexp_f32 v26, v26, v27
	s_nop 0
	v_cndmask_b32_e32 v26, 0, v26, vcc
	v_cmp_nlt_f32_e32 vcc, s53, v1
	s_nop 1
	v_cndmask_b32_e32 v1, v180, v26, vcc
	v_add_f32_e32 v1, 1.0, v1
	v_rcp_f32_e32 v1, v1
	s_nop 0
	v_fma_f32 v1, v1, -2.0, 1.0
.LBB25_203:                             ;   in Loop: Header=BB25_201 Depth=2
	s_andn2_saveexec_b64 s[4:5], s[4:5]
; %bb.204:                              ;   in Loop: Header=BB25_201 Depth=2
	v_mul_f32_e32 v1, v22, v22
	v_fmamk_f32 v26, v1, 0xbbbac73d, v178
	v_fmaak_f32 v26, v1, v26, 0xbd5c1c4e
	v_fmaak_f32 v26, v1, v26, 0x3e088382
	;; [unrolled: 1-line block ×3, first 2 shown]
	v_mul_f32_e64 v26, |v22|, v26
	v_fma_f32 v1, v1, v26, |v22|
; %bb.205:                              ;   in Loop: Header=BB25_201 Depth=2
	s_or_b64 exec, exec, s[4:5]
	v_cmp_nlt_f32_e64 s[4:5], |v23|, s58
                                        ; implicit-def: $vgpr27
	s_and_saveexec_b64 s[28:29], s[4:5]
	s_xor_b64 s[4:5], exec, s[28:29]
	s_cbranch_execz .LBB25_207
; %bb.206:                              ;   in Loop: Header=BB25_201 Depth=2
	v_add_f32_e64 v26, |v23|, |v23|
	v_mul_f32_e32 v27, 0x3fb8aa3b, v26
	v_rndne_f32_e32 v28, v27
	v_sub_f32_e32 v29, v27, v28
	v_fma_f32 v27, v26, s23, -v27
	v_fmac_f32_e32 v27, 0x32a5705f, v26
	v_add_f32_e32 v27, v29, v27
	v_cvt_i32_f32_e32 v28, v28
	v_exp_f32_e32 v27, v27
	v_cmp_ngt_f32_e32 vcc, s74, v26
	v_ldexp_f32 v27, v27, v28
	s_nop 0
	v_cndmask_b32_e32 v27, 0, v27, vcc
	v_cmp_nlt_f32_e32 vcc, s53, v26
	s_nop 1
	v_cndmask_b32_e32 v26, v180, v27, vcc
	v_add_f32_e32 v26, 1.0, v26
	v_rcp_f32_e32 v26, v26
	s_nop 0
	v_fma_f32 v27, v26, -2.0, 1.0
.LBB25_207:                             ;   in Loop: Header=BB25_201 Depth=2
	s_andn2_saveexec_b64 s[4:5], s[4:5]
; %bb.208:                              ;   in Loop: Header=BB25_201 Depth=2
	v_mul_f32_e32 v26, v23, v23
	v_fmamk_f32 v27, v26, 0xbbbac73d, v178
	v_fmaak_f32 v27, v26, v27, 0xbd5c1c4e
	v_fmaak_f32 v27, v26, v27, 0x3e088382
	;; [unrolled: 1-line block ×3, first 2 shown]
	v_mul_f32_e64 v27, |v23|, v27
	v_fma_f32 v27, v26, v27, |v23|
; %bb.209:                              ;   in Loop: Header=BB25_201 Depth=2
	s_or_b64 exec, exec, s[4:5]
	v_cmp_nlt_f32_e64 s[4:5], |v24|, s58
                                        ; implicit-def: $vgpr28
	s_and_saveexec_b64 s[28:29], s[4:5]
	s_xor_b64 s[4:5], exec, s[28:29]
	s_cbranch_execz .LBB25_211
; %bb.210:                              ;   in Loop: Header=BB25_201 Depth=2
	v_add_f32_e64 v26, |v24|, |v24|
	v_mul_f32_e32 v28, 0x3fb8aa3b, v26
	v_rndne_f32_e32 v29, v28
	v_sub_f32_e32 v99, v28, v29
	v_fma_f32 v28, v26, s23, -v28
	v_fmac_f32_e32 v28, 0x32a5705f, v26
	v_add_f32_e32 v28, v99, v28
	v_cvt_i32_f32_e32 v29, v29
	v_exp_f32_e32 v28, v28
	v_cmp_ngt_f32_e32 vcc, s74, v26
	v_ldexp_f32 v28, v28, v29
	s_nop 0
	v_cndmask_b32_e32 v28, 0, v28, vcc
	v_cmp_nlt_f32_e32 vcc, s53, v26
	s_nop 1
	v_cndmask_b32_e32 v26, v180, v28, vcc
	v_add_f32_e32 v26, 1.0, v26
	v_rcp_f32_e32 v26, v26
	s_nop 0
	v_fma_f32 v28, v26, -2.0, 1.0
.LBB25_211:                             ;   in Loop: Header=BB25_201 Depth=2
	s_andn2_saveexec_b64 s[4:5], s[4:5]
; %bb.212:                              ;   in Loop: Header=BB25_201 Depth=2
	v_mul_f32_e32 v26, v24, v24
	v_fmamk_f32 v28, v26, 0xbbbac73d, v178
	v_fmaak_f32 v28, v26, v28, 0xbd5c1c4e
	v_fmaak_f32 v28, v26, v28, 0x3e088382
	;; [unrolled: 1-line block ×3, first 2 shown]
	v_mul_f32_e64 v28, |v24|, v28
	v_fma_f32 v28, v26, v28, |v24|
; %bb.213:                              ;   in Loop: Header=BB25_201 Depth=2
	s_or_b64 exec, exec, s[4:5]
	v_cmp_nlt_f32_e64 s[4:5], |v25|, s58
                                        ; implicit-def: $vgpr29
	s_and_saveexec_b64 s[28:29], s[4:5]
	s_xor_b64 s[4:5], exec, s[28:29]
	s_cbranch_execz .LBB25_215
; %bb.214:                              ;   in Loop: Header=BB25_201 Depth=2
	v_add_f32_e64 v26, |v25|, |v25|
	v_mul_f32_e32 v29, 0x3fb8aa3b, v26
	v_rndne_f32_e32 v99, v29
	v_sub_f32_e32 v195, v29, v99
	v_fma_f32 v29, v26, s23, -v29
	v_fmac_f32_e32 v29, 0x32a5705f, v26
	v_add_f32_e32 v29, v195, v29
	v_cvt_i32_f32_e32 v99, v99
	v_exp_f32_e32 v29, v29
	v_cmp_ngt_f32_e32 vcc, s74, v26
	v_ldexp_f32 v29, v29, v99
	s_nop 0
	v_cndmask_b32_e32 v29, 0, v29, vcc
	v_cmp_nlt_f32_e32 vcc, s53, v26
	s_nop 1
	v_cndmask_b32_e32 v26, v180, v29, vcc
	v_add_f32_e32 v26, 1.0, v26
	v_rcp_f32_e32 v26, v26
	s_nop 0
	v_fma_f32 v29, v26, -2.0, 1.0
.LBB25_215:                             ;   in Loop: Header=BB25_201 Depth=2
	s_andn2_saveexec_b64 s[4:5], s[4:5]
; %bb.216:                              ;   in Loop: Header=BB25_201 Depth=2
	v_mul_f32_e32 v26, v25, v25
	v_fmamk_f32 v29, v26, 0xbbbac73d, v178
	v_fmaak_f32 v29, v26, v29, 0xbd5c1c4e
	v_fmaak_f32 v29, v26, v29, 0x3e088382
	;; [unrolled: 1-line block ×3, first 2 shown]
	v_mul_f32_e64 v29, |v25|, v29
	v_fma_f32 v29, v26, v29, |v25|
; %bb.217:                              ;   in Loop: Header=BB25_201 Depth=2
	s_or_b64 exec, exec, s[4:5]
	v_bfi_b32 v1, s75, v1, v22
	v_mul_f32_e32 v26, s65, v1
	v_bfi_b32 v1, s75, v27, v23
	v_mul_f32_e32 v27, s65, v1
	;; [unrolled: 2-line block ×4, first 2 shown]
	s_and_b64 vcc, exec, s[24:25]
	s_cbranch_vccz .LBB25_222
; %bb.218:                              ;   in Loop: Header=BB25_201 Depth=2
	v_add_u32_e32 v1, 0x4400, v123
	ds_read2_b32 v[22:23], v1 offset1:1
	v_mov_b32_e32 v99, v98
	s_waitcnt lgkmcnt(0)
	v_cvt_f32_f16_e32 v198, v22
	v_cvt_f32_f16_e32 v24, v23
	v_cvt_f32_f16_sdwa v25, v23 dst_sel:DWORD dst_unused:UNUSED_PAD src0_sel:WORD_1
	v_cvt_f32_f16_sdwa v199, v22 dst_sel:DWORD dst_unused:UNUSED_PAD src0_sel:WORD_1
	v_pk_fma_f32 v[24:25], v[98:99], v[24:25], v[28:29]
	v_pk_fma_f32 v[22:23], v[30:31], v[198:199], v[26:27]
	s_cbranch_execnz .LBB25_220
.LBB25_219:                             ;   in Loop: Header=BB25_201 Depth=2
	v_mov_b64_e32 v[22:23], v[26:27]
	v_mov_b64_e32 v[24:25], v[28:29]
.LBB25_220:                             ;   in Loop: Header=BB25_201 Depth=2
	v_add_f32_e32 v1, 0x40051340, v22
	v_max_f32_e32 v26, v197, v197
	v_max_f32_e32 v1, v26, v1
	v_cndmask_b32_e64 v1, v197, v1, s[14:15]
	v_add_f32_e32 v26, 0x40051340, v23
	v_max_f32_e32 v27, v1, v1
	v_max_f32_e32 v26, v27, v26
	v_cndmask_b32_e64 v1, v1, v26, s[16:17]
	;; [unrolled: 4-line block ×4, first 2 shown]
	ds_bpermute_b32 v26, v56, v1
	v_max_f32_e32 v1, v1, v1
	scratch_store_dwordx4 off, v[2:5], off
	s_add_i32 s22, s22, -1
	v_lshl_add_u64 v[32:33], v[32:33], 0, s[94:95]
	s_waitcnt lgkmcnt(0)
	v_max_f32_e32 v26, v26, v26
	v_max_f32_e32 v1, v1, v26
	ds_bpermute_b32 v26, v194, v1
	v_lshl_add_u64 v[34:35], v[34:35], 0, s[94:95]
	v_lshl_add_u64 v[36:37], v[36:37], 0, s[94:95]
	;; [unrolled: 1-line block ×4, first 2 shown]
	s_waitcnt lgkmcnt(0)
	v_max_f32_e32 v26, v26, v26
	v_max_f32_e32 v26, v1, v26
	v_sub_f32_e32 v1, v22, v26
	v_mul_f32_e32 v22, 0x3fb8aa3b, v1
	v_fma_f32 v27, v1, s23, -v22
	v_rndne_f32_e32 v28, v22
	v_fmac_f32_e32 v27, 0x32a5705f, v1
	v_sub_f32_e32 v22, v22, v28
	v_add_f32_e32 v22, v22, v27
	v_exp_f32_e32 v22, v22
	v_cvt_i32_f32_e32 v27, v28
	v_cmp_ngt_f32_e32 vcc, s74, v1
	v_sub_f32_e32 v24, v24, v26
	v_lshl_add_u64 v[50:51], v[50:51], 0, s[2:3]
	v_ldexp_f32 v22, v22, v27
	v_cndmask_b32_e32 v22, 0, v22, vcc
	v_cmp_nlt_f32_e32 vcc, s53, v1
	v_lshl_add_u64 v[52:53], v[52:53], 0, s[2:3]
	v_lshl_add_u64 v[100:101], v[100:101], 0, s[2:3]
	v_cndmask_b32_e32 v1, v180, v22, vcc
	v_cndmask_b32_e64 v22, 0, v1, s[14:15]
	v_sub_f32_e32 v1, v23, v26
	v_mul_f32_e32 v23, 0x3fb8aa3b, v1
	v_fma_f32 v27, v1, s23, -v23
	v_rndne_f32_e32 v28, v23
	v_fmac_f32_e32 v27, 0x32a5705f, v1
	v_sub_f32_e32 v23, v23, v28
	v_add_f32_e32 v23, v23, v27
	v_exp_f32_e32 v23, v23
	v_cvt_i32_f32_e32 v27, v28
	v_cmp_ngt_f32_e32 vcc, s74, v1
	s_cmp_lg_u32 s22, 0
	v_ldexp_f32 v23, v23, v27
	v_cndmask_b32_e32 v23, 0, v23, vcc
	v_cmp_nlt_f32_e32 vcc, s53, v1
	v_mov_b32_e32 v1, s89
	s_nop 0
	v_cndmask_b32_e32 v23, v180, v23, vcc
	v_add_f32_e32 v27, v23, v22
	v_cndmask_b32_e64 v1, v1, v23, s[16:17]
	v_cndmask_b32_e64 v23, v22, v27, s[16:17]
	v_mul_f32_e32 v27, 0x3fb8aa3b, v24
	v_fma_f32 v28, v24, s23, -v27
	v_rndne_f32_e32 v29, v27
	v_fmac_f32_e32 v28, 0x32a5705f, v24
	v_sub_f32_e32 v27, v27, v29
	v_add_f32_e32 v27, v27, v28
	v_exp_f32_e32 v27, v27
	v_cvt_i32_f32_e32 v28, v29
	v_cmp_ngt_f32_e32 vcc, s74, v24
	v_cvt_pk_f16_f32 v216, v22, v1
	v_ldexp_f32 v27, v27, v28
	v_cndmask_b32_e32 v27, 0, v27, vcc
	v_cmp_nlt_f32_e32 vcc, s53, v24
	v_mov_b32_e32 v24, s89
	s_nop 0
	v_cndmask_b32_e32 v27, v180, v27, vcc
	v_add_f32_e32 v28, v23, v27
	v_cndmask_b32_e64 v24, v24, v27, s[18:19]
	v_cndmask_b32_e64 v27, v23, v28, s[18:19]
	v_sub_f32_e32 v23, v25, v26
	v_mul_f32_e32 v25, 0x3fb8aa3b, v23
	v_fma_f32 v28, v23, s23, -v25
	v_rndne_f32_e32 v29, v25
	v_fmac_f32_e32 v28, 0x32a5705f, v23
	v_sub_f32_e32 v25, v25, v29
	v_add_f32_e32 v25, v25, v28
	v_exp_f32_e32 v25, v25
	v_cvt_i32_f32_e32 v28, v29
	v_cmp_ngt_f32_e32 vcc, s74, v23
	v_ldexp_f32 v25, v25, v28
	s_nop 0
	v_cndmask_b32_e32 v25, 0, v25, vcc
	v_cmp_nlt_f32_e32 vcc, s53, v23
	v_mov_b32_e32 v23, s89
	s_nop 0
	v_cndmask_b32_e32 v25, v180, v25, vcc
	v_add_f32_e32 v28, v27, v25
	v_cndmask_b32_e64 v195, v23, v25, s[20:21]
	v_sub_f32_e32 v25, v197, v26
	v_cndmask_b32_e64 v23, v27, v28, s[20:21]
	v_mul_f32_e32 v27, 0x3fb8aa3b, v25
	v_fma_f32 v28, v25, s23, -v27
	v_rndne_f32_e32 v29, v27
	v_fmac_f32_e32 v28, 0x32a5705f, v25
	v_sub_f32_e32 v27, v27, v29
	v_add_f32_e32 v27, v27, v28
	v_exp_f32_e32 v27, v27
	v_cvt_i32_f32_e32 v28, v29
	v_cmp_ngt_f32_e32 vcc, s74, v25
	v_cvt_pk_f16_f32 v217, v24, v195
	v_add_u32_e32 v24, v144, v145
	v_ldexp_f32 v27, v27, v28
	v_cndmask_b32_e32 v27, 0, v27, vcc
	v_cmp_nlt_f32_e32 vcc, s53, v25
	s_nop 1
	v_cndmask_b32_e32 v27, v180, v27, vcc
	v_cmp_le_f32_e32 vcc, s86, v25
	s_nop 1
	v_cndmask_b32_e32 v25, 0, v27, vcc
	v_fmac_f32_e32 v23, v196, v25
	v_cvt_f16_f32_e32 v25, v25
	v_mul_u32_u24_e32 v25, 0x10001, v25
	v_pk_mul_f16 v99, v106, v25
	v_pk_mul_f16 v29, v105, v25
	;; [unrolled: 1-line block ×3, first 2 shown]
	v_mov_b32_e32 v106, s91
	v_lshl_add_u64 v[104:105], v[42:43], 0, v[78:79]
	v_pk_mul_f16 v189, v189, v25
	v_pk_mul_f16 v188, v188, v25
	;; [unrolled: 1-line block ×13, first 2 shown]
	v_lshl_add_u64 v[102:103], v[40:41], 0, v[78:79]
	v_cndmask_b32_e64 v197, v106, v105, s[8:9]
	v_cndmask_b32_e64 v196, v183, v104, s[8:9]
	v_lshl_add_u64 v[104:105], v[44:45], 0, v[78:79]
	v_cndmask_b32_e64 v103, v106, v103, s[6:7]
	v_cndmask_b32_e64 v102, v183, v102, s[6:7]
	v_cndmask_b32_e64 v199, v106, v105, s[10:11]
	v_cndmask_b32_e64 v198, v183, v104, s[10:11]
	v_lshl_add_u64 v[104:105], v[46:47], 0, v[78:79]
	v_cndmask_b32_e64 v201, v106, v105, s[12:13]
	v_cndmask_b32_e64 v200, v183, v104, s[12:13]
	flat_load_dwordx4 v[102:105], v[102:103]
	v_cvt_f32_f16_e32 v212, v27
	v_cvt_f32_f16_sdwa v213, v27 dst_sel:DWORD dst_unused:UNUSED_PAD src0_sel:WORD_1
	v_cvt_f32_f16_e32 v214, v25
	v_cvt_f32_f16_sdwa v215, v25 dst_sel:DWORD dst_unused:UNUSED_PAD src0_sel:WORD_1
	v_lshl_add_u64 v[40:41], v[40:41], 0, s[92:93]
	v_lshl_add_u64 v[42:43], v[42:43], 0, s[92:93]
	;; [unrolled: 1-line block ×4, first 2 shown]
	s_waitcnt vmcnt(0) lgkmcnt(0)
	ds_write_b128 v121, v[102:105]
	flat_load_dwordx4 v[102:105], v[196:197]
	s_waitcnt vmcnt(0) lgkmcnt(0)
	ds_write_b128 v168, v[102:105]
	flat_load_dwordx4 v[102:105], v[198:199]
	;; [unrolled: 3-line block ×3, first 2 shown]
	s_waitcnt vmcnt(0) lgkmcnt(0)
	ds_write_b128 v172, v[102:105]
	s_waitcnt lgkmcnt(0)
	s_barrier
	ds_read_u16 v1, v124 offset:272
	ds_read_u16 v22, v124 offset:544
	ds_read_u16 v102, v124
	ds_read_u16 v106, v124 offset:32
	v_cvt_f32_f16_sdwa v103, v189 dst_sel:DWORD dst_unused:UNUSED_PAD src0_sel:WORD_1
	v_cvt_f32_f16_e32 v104, v188
	v_cvt_f32_f16_sdwa v105, v188 dst_sel:DWORD dst_unused:UNUSED_PAD src0_sel:WORD_1
	s_waitcnt lgkmcnt(1)
	v_perm_b32 v196, v1, v102, s81
	ds_read_u16 v1, v24
	ds_read_u16 v195, v24 offset:32
	v_cvt_f32_f16_e32 v102, v189
	s_waitcnt lgkmcnt(1)
	v_perm_b32 v197, v1, v22, s81
	ds_read_u16 v1, v124 offset:304
	ds_read_u16 v22, v124 offset:576
	v_mfma_f32_16x16x16_f16 v[196:199], v[196:197], v[216:217], v[102:105]
	s_waitcnt lgkmcnt(1)
	v_perm_b32 v188, v1, v106, s81
	s_waitcnt lgkmcnt(0)
	v_perm_b32 v189, v195, v22, s81
	v_cvt_f32_f16_e32 v102, v187
	v_cvt_f32_f16_sdwa v103, v187 dst_sel:DWORD dst_unused:UNUSED_PAD src0_sel:WORD_1
	v_cvt_f32_f16_e32 v104, v186
	v_cvt_f32_f16_sdwa v105, v186 dst_sel:DWORD dst_unused:UNUSED_PAD src0_sel:WORD_1
	s_nop 1
	v_mfma_f32_16x16x16_f16 v[186:189], v[188:189], v[216:217], v[102:105]
	ds_read_u16 v1, v124 offset:64
	ds_read_u16 v22, v124 offset:336
	s_nop 0
	ds_read_u16 v102, v124 offset:608
	ds_read_u16 v103, v24 offset:64
	v_cvt_f32_f16_e32 v104, v184
	v_cvt_f32_f16_sdwa v105, v184 dst_sel:DWORD dst_unused:UNUSED_PAD src0_sel:WORD_1
	s_waitcnt lgkmcnt(2)
	v_perm_b32 v200, v22, v1, s81
	v_cvt_pk_f16_f32 v187, v186, v187
	s_waitcnt lgkmcnt(0)
	v_perm_b32 v201, v103, v102, s81
	v_cvt_f32_f16_e32 v102, v185
	v_cvt_f32_f16_sdwa v103, v185 dst_sel:DWORD dst_unused:UNUSED_PAD src0_sel:WORD_1
	v_cvt_pk_f16_f32 v186, v188, v189
	v_cvt_pk_f16_f32 v189, v196, v197
	v_mfma_f32_16x16x16_f16 v[200:203], v[200:201], v[216:217], v[102:105]
	ds_read_u16 v1, v124 offset:96
	ds_read_u16 v22, v124 offset:368
	s_nop 0
	ds_read_u16 v102, v124 offset:640
	ds_read_u16 v103, v24 offset:96
	v_cvt_f32_f16_e32 v104, v110
	v_cvt_f32_f16_sdwa v105, v110 dst_sel:DWORD dst_unused:UNUSED_PAD src0_sel:WORD_1
	s_waitcnt lgkmcnt(2)
	v_perm_b32 v184, v22, v1, s81
	v_cvt_pk_f16_f32 v188, v198, v199
	s_waitcnt lgkmcnt(0)
	v_perm_b32 v185, v103, v102, s81
	v_cvt_f32_f16_e32 v102, v111
	v_cvt_f32_f16_sdwa v103, v111 dst_sel:DWORD dst_unused:UNUSED_PAD src0_sel:WORD_1
	s_nop 1
	v_mfma_f32_16x16x16_f16 v[204:207], v[184:185], v[216:217], v[102:105]
	ds_read_u16 v1, v124 offset:128
	ds_read_u16 v22, v124 offset:400
	s_nop 0
	ds_read_u16 v102, v124 offset:672
	ds_read_u16 v103, v24 offset:128
	v_cvt_f32_f16_e32 v104, v108
	v_cvt_f32_f16_sdwa v105, v108 dst_sel:DWORD dst_unused:UNUSED_PAD src0_sel:WORD_1
	s_waitcnt lgkmcnt(2)
	v_perm_b32 v110, v22, v1, s81
	s_waitcnt lgkmcnt(0)
	v_perm_b32 v111, v103, v102, s81
	v_cvt_f32_f16_e32 v102, v109
	v_cvt_f32_f16_sdwa v103, v109 dst_sel:DWORD dst_unused:UNUSED_PAD src0_sel:WORD_1
	s_nop 1
	v_mfma_f32_16x16x16_f16 v[108:111], v[110:111], v[216:217], v[102:105]
	ds_read_u16 v1, v124 offset:160
	ds_read_u16 v22, v124 offset:432
	s_nop 0
	ds_read_u16 v102, v124 offset:704
	ds_read_u16 v103, v24 offset:160
	v_cvt_f32_f16_e32 v104, v99
	v_cvt_f32_f16_sdwa v105, v99 dst_sel:DWORD dst_unused:UNUSED_PAD src0_sel:WORD_1
	s_waitcnt lgkmcnt(2)
	v_perm_b32 v184, v22, v1, s81
	v_cvt_pk_f16_f32 v109, v108, v109
	s_waitcnt lgkmcnt(0)
	v_perm_b32 v185, v103, v102, s81
	v_cvt_f32_f16_e32 v102, v107
	v_cvt_f32_f16_sdwa v103, v107 dst_sel:DWORD dst_unused:UNUSED_PAD src0_sel:WORD_1
	v_cvt_pk_f16_f32 v108, v110, v111
	v_cvt_pk_f16_f32 v111, v204, v205
	v_mfma_f32_16x16x16_f16 v[208:211], v[184:185], v[216:217], v[102:105]
	ds_read_u16 v1, v124 offset:192
	ds_read_u16 v22, v124 offset:464
	;; [unrolled: 1-line block ×4, first 2 shown]
	v_cvt_f32_f16_sdwa v103, v29 dst_sel:DWORD dst_unused:UNUSED_PAD src0_sel:WORD_1
	v_cvt_f32_f16_e32 v104, v28
	s_waitcnt lgkmcnt(2)
	v_perm_b32 v106, v22, v1, s81
	v_cvt_f32_f16_sdwa v105, v28 dst_sel:DWORD dst_unused:UNUSED_PAD src0_sel:WORD_1
	s_waitcnt lgkmcnt(0)
	v_perm_b32 v107, v102, v99, s81
	v_cvt_f32_f16_e32 v102, v29
	ds_read_u16 v1, v124 offset:224
	ds_read_u16 v22, v124 offset:496
	;; [unrolled: 1-line block ×4, first 2 shown]
	v_mfma_f32_16x16x16_f16 v[104:107], v[106:107], v[216:217], v[102:105]
	s_waitcnt lgkmcnt(2)
	v_perm_b32 v28, v22, v1, s81
	s_waitcnt lgkmcnt(0)
	v_perm_b32 v29, v24, v29, s81
	v_cvt_pk_f16_f32 v110, v206, v207
	s_nop 2
	v_cvt_pk_f16_f32 v105, v104, v105
	v_mfma_f32_16x16x16_f16 v[212:215], v[28:29], v[216:217], v[212:215]
	v_cvt_pk_f16_f32 v104, v106, v107
	v_cvt_pk_f16_f32 v107, v208, v209
	;; [unrolled: 1-line block ×3, first 2 shown]
	s_nop 4
	v_cvt_pk_f16_f32 v102, v212, v213
	v_cvt_pk_f16_f32 v103, v214, v215
	;; [unrolled: 1-line block ×4, first 2 shown]
	s_barrier
	s_cbranch_scc0 .LBB25_224
; %bb.221:                              ;   in Loop: Header=BB25_201 Depth=2
	v_mov_b32_e32 v196, v23
	v_mov_b32_e32 v197, v26
	s_andn2_b64 vcc, exec, s[24:25]
	s_cbranch_vccz .LBB25_198
	s_branch .LBB25_201
.LBB25_222:                             ;   in Loop: Header=BB25_201 Depth=2
                                        ; implicit-def: $vgpr22_vgpr23_vgpr24_vgpr25
	s_branch .LBB25_219
.LBB25_223:                             ;   in Loop: Header=BB25_14 Depth=1
	v_mov_b32_e32 v26, 0xfeffffff
	s_mov_b32 s88, 0
	v_mov_b32_e32 v23, 0
	v_mov_b32_e32 v188, 0
	v_mov_b32_e32 v189, 0
	v_mov_b32_e32 v186, 0
	v_mov_b32_e32 v187, 0
	v_mov_b32_e32 v184, 0
	v_mov_b32_e32 v185, 0
	v_mov_b32_e32 v110, 0
	v_mov_b32_e32 v111, 0
	v_mov_b32_e32 v108, 0
	v_mov_b32_e32 v109, 0
	v_mov_b32_e32 v106, 0
	v_mov_b32_e32 v107, 0
	v_mov_b32_e32 v104, 0
	v_mov_b32_e32 v105, 0
	v_mov_b32_e32 v103, 0
	v_mov_b32_e32 v102, 0
	s_branch .LBB25_225
.LBB25_224:                             ;   in Loop: Header=BB25_14 Depth=1
	s_lshl_b32 s88, s26, 6
.LBB25_225:                             ;   in Loop: Header=BB25_14 Depth=1
	v_readlane_b32 s4, v218, 4
	s_sub_i32 s22, s4, s88
	v_readlane_b32 s5, v218, 5
	s_cmp_lg_u64 s[84:85], 0
	s_cselect_b64 s[4:5], -1, 0
	s_cmp_eq_u64 s[84:85], 0
	s_cbranch_scc1 .LBB25_231
; %bb.226:                              ;   in Loop: Header=BB25_14 Depth=1
	v_cmp_le_i32_e32 vcc, s22, v54
	s_and_saveexec_b64 s[24:25], vcc
	s_xor_b64 s[24:25], exec, s[24:25]
	s_cbranch_execz .LBB25_228
; %bb.227:                              ;   in Loop: Header=BB25_14 Depth=1
	ds_write_b16 v141, v57 offset:17408
	ds_write_b16 v164, v57 offset:17408
                                        ; implicit-def: $vgpr190
                                        ; implicit-def: $vgpr191
                                        ; implicit-def: $vgpr192
                                        ; implicit-def: $vgpr193
.LBB25_228:                             ;   in Loop: Header=BB25_14 Depth=1
	s_or_saveexec_b64 s[24:25], s[24:25]
	v_mov_b32_e32 v1, 0
	v_mov_b32_e32 v22, 0
	s_xor_b64 exec, exec, s[24:25]
	s_cbranch_execz .LBB25_230
; %bb.229:                              ;   in Loop: Header=BB25_14 Depth=1
	s_lshl_b64 s[26:27], s[88:89], 1
	v_mul_hi_u32 v1, s70, v190
	s_add_u32 s26, s84, s26
	v_add_u32_e32 v1, v190, v1
	s_addc_u32 s27, s85, s27
	v_lshlrev_b32_e32 v56, 1, v54
	v_lshrrev_b32_e32 v1, s71, v1
	v_mul_hi_u32 v22, s70, v191
	v_lshl_add_u64 v[24:25], s[26:27], 0, v[56:57]
	v_mul_lo_u32 v1, v1, s52
	v_readlane_b32 s26, v218, 55
	v_add_u32_e32 v22, v191, v22
	v_sub_u32_e32 v1, v190, v1
	v_readlane_b32 s27, v218, 56
	s_mov_b32 s28, s26
	v_lshrrev_b32_e32 v22, s71, v22
	v_mad_i64_i32 v[28:29], s[26:27], v1, s28, 0
	v_mul_lo_u32 v22, v22, s52
	v_lshl_add_u64 v[28:29], v[28:29], 1, v[24:25]
	v_sub_u32_e32 v22, v191, v22
	global_load_ushort v1, v[28:29], off
	v_mad_i64_i32 v[28:29], s[26:27], v22, s28, 0
	v_lshl_add_u64 v[28:29], v[28:29], 1, v[24:25]
	global_load_ushort v22, v[28:29], off
	s_waitcnt vmcnt(1)
	ds_write_b16 v141, v1 offset:17408
	s_waitcnt vmcnt(0)
	ds_write_b16 v164, v22 offset:17408
	v_mul_hi_u32 v1, s70, v192
	v_add_u32_e32 v1, v192, v1
	v_lshrrev_b32_e32 v1, s71, v1
	v_mul_hi_u32 v22, s70, v193
	v_mul_lo_u32 v1, v1, s52
	v_add_u32_e32 v22, v193, v22
	v_sub_u32_e32 v1, v192, v1
	v_lshrrev_b32_e32 v22, s71, v22
	v_mad_i64_i32 v[28:29], s[26:27], v1, s28, 0
	v_mul_lo_u32 v22, v22, s52
	v_lshl_add_u64 v[28:29], v[28:29], 1, v[24:25]
	v_sub_u32_e32 v22, v193, v22
	global_load_ushort v1, v[28:29], off
	v_mad_i64_i32 v[28:29], s[26:27], v22, s28, 0
	v_lshl_add_u64 v[24:25], v[28:29], 1, v[24:25]
	global_load_ushort v22, v[24:25], off
.LBB25_230:                             ;   in Loop: Header=BB25_14 Depth=1
	s_or_b64 exec, exec, s[24:25]
	s_waitcnt vmcnt(1)
	ds_write_b16 v165, v1 offset:17408
	s_waitcnt vmcnt(0)
	ds_write_b16 v166, v22 offset:17408
.LBB25_231:                             ;   in Loop: Header=BB25_14 Depth=1
	s_mul_i32 s24, s88, s69
	s_mul_hi_u32 s25, s88, s68
	s_add_i32 s25, s25, s24
	s_mul_i32 s24, s88, s68
	s_lshl_b64 s[24:25], s[24:25], 2
	s_add_u32 s24, s35, s24
	s_addc_u32 s25, s72, s25
	v_lshl_add_u64 v[24:25], v[62:63], 2, s[24:25]
	v_lshlrev_b32_e32 v56, 2, v58
	v_lshl_add_u64 v[24:25], v[24:25], 0, v[56:57]
	v_mov_b32_e32 v1, s91
	v_cmp_gt_i32_e64 s[28:29], s22, v120
	scratch_store_dwordx4 off, v[2:5], off
	v_cmp_gt_i32_e64 s[30:31], s22, v167
	v_cndmask_b32_e64 v25, v1, v25, s[28:29]
	v_cndmask_b32_e64 v24, v183, v24, s[28:29]
	flat_load_dwordx4 v[28:31], v[24:25]
	v_lshl_add_u64 v[24:25], v[64:65], 2, s[24:25]
	v_lshl_add_u64 v[24:25], v[24:25], 0, v[56:57]
	v_cndmask_b32_e64 v25, v1, v25, s[30:31]
	v_cndmask_b32_e64 v24, v183, v24, s[30:31]
	v_cmp_gt_i32_e64 s[26:27], s22, v169
	s_waitcnt vmcnt(0) lgkmcnt(0)
	ds_write_b128 v121, v[28:31]
	flat_load_dwordx4 v[28:31], v[24:25]
	v_lshl_add_u64 v[24:25], v[66:67], 2, s[24:25]
	v_lshl_add_u64 v[24:25], v[24:25], 0, v[56:57]
	v_cndmask_b32_e64 v25, v1, v25, s[26:27]
	v_cndmask_b32_e64 v24, v183, v24, s[26:27]
	s_waitcnt vmcnt(0) lgkmcnt(0)
	ds_write_b128 v168, v[28:31]
	flat_load_dwordx4 v[28:31], v[24:25]
	v_lshl_add_u64 v[24:25], v[68:69], 2, s[24:25]
	v_lshl_add_u64 v[24:25], v[24:25], 0, v[56:57]
	v_cmp_gt_i32_e64 s[24:25], s22, v171
	s_waitcnt vmcnt(0) lgkmcnt(0)
	ds_write_b128 v170, v[28:31]
	v_cndmask_b32_e64 v25, v1, v25, s[24:25]
	v_cndmask_b32_e64 v24, v183, v24, s[24:25]
	flat_load_dwordx4 v[28:31], v[24:25]
                                        ; implicit-def: $vgpr1
	s_waitcnt vmcnt(0) lgkmcnt(0)
	ds_write_b128 v172, v[28:31]
	s_waitcnt lgkmcnt(0)
	s_barrier
	ds_read2_b64 v[28:31], v143 offset1:4
	s_waitcnt lgkmcnt(0)
	v_mfma_f32_16x16x16_f16 v[32:35], v[28:29], v[18:19], 0
	v_mfma_f32_16x16x16_f16 v[18:21], v[30:31], v[20:21], v[32:35]
	ds_read2_b64 v[28:31], v143 offset0:8 offset1:12
	s_waitcnt lgkmcnt(0)
	v_mfma_f32_16x16x16_f16 v[18:21], v[28:29], v[14:15], v[18:21]
	v_mfma_f32_16x16x16_f16 v[14:17], v[30:31], v[16:17], v[18:21]
	s_nop 6
	ds_read2_b64 v[18:21], v143 offset0:16 offset1:20
	s_waitcnt lgkmcnt(0)
	v_mfma_f32_16x16x16_f16 v[14:17], v[18:19], v[10:11], v[14:17]
	v_mfma_f32_16x16x16_f16 v[10:13], v[20:21], v[12:13], v[14:17]
	s_nop 6
	ds_read2_b64 v[14:17], v143 offset0:24 offset1:28
	s_waitcnt lgkmcnt(0)
	v_mfma_f32_16x16x16_f16 v[10:13], v[14:15], v[6:7], v[10:13]
	s_barrier
	v_mfma_f32_16x16x16_f16 v[6:9], v[16:17], v[8:9], v[10:13]
	s_nop 7
	v_cmp_nlt_f32_e64 s[60:61], |v6|, s58
	s_and_saveexec_b64 s[66:67], s[60:61]
	s_xor_b64 s[60:61], exec, s[66:67]
	s_cbranch_execz .LBB25_233
; %bb.232:                              ;   in Loop: Header=BB25_14 Depth=1
	v_add_f32_e64 v1, |v6|, |v6|
	v_mul_f32_e32 v10, 0x3fb8aa3b, v1
	v_rndne_f32_e32 v11, v10
	v_sub_f32_e32 v12, v10, v11
	v_fma_f32 v10, v1, s23, -v10
	v_fmac_f32_e32 v10, 0x32a5705f, v1
	v_add_f32_e32 v10, v12, v10
	v_cvt_i32_f32_e32 v11, v11
	v_exp_f32_e32 v10, v10
	v_cmp_ngt_f32_e32 vcc, s74, v1
	v_ldexp_f32 v10, v10, v11
	s_nop 0
	v_cndmask_b32_e32 v10, 0, v10, vcc
	v_cmp_nlt_f32_e32 vcc, s53, v1
	s_nop 1
	v_cndmask_b32_e32 v1, v180, v10, vcc
	v_add_f32_e32 v1, 1.0, v1
	v_rcp_f32_e32 v1, v1
	s_nop 0
	v_fma_f32 v1, v1, -2.0, 1.0
.LBB25_233:                             ;   in Loop: Header=BB25_14 Depth=1
	s_andn2_saveexec_b64 s[60:61], s[60:61]
; %bb.234:                              ;   in Loop: Header=BB25_14 Depth=1
	v_mul_f32_e32 v1, v6, v6
	v_fmamk_f32 v10, v1, 0xbbbac73d, v178
	v_fmaak_f32 v10, v1, v10, 0xbd5c1c4e
	v_fmaak_f32 v10, v1, v10, 0x3e088382
	;; [unrolled: 1-line block ×3, first 2 shown]
	v_mul_f32_e64 v10, |v6|, v10
	v_fma_f32 v1, v1, v10, |v6|
; %bb.235:                              ;   in Loop: Header=BB25_14 Depth=1
	s_or_b64 exec, exec, s[60:61]
	v_cmp_nlt_f32_e64 s[60:61], |v7|, s58
                                        ; implicit-def: $vgpr11
	s_and_saveexec_b64 s[66:67], s[60:61]
	s_xor_b64 s[60:61], exec, s[66:67]
	s_cbranch_execz .LBB25_237
; %bb.236:                              ;   in Loop: Header=BB25_14 Depth=1
	v_add_f32_e64 v10, |v7|, |v7|
	v_mul_f32_e32 v11, 0x3fb8aa3b, v10
	v_rndne_f32_e32 v12, v11
	v_sub_f32_e32 v13, v11, v12
	v_fma_f32 v11, v10, s23, -v11
	v_fmac_f32_e32 v11, 0x32a5705f, v10
	v_add_f32_e32 v11, v13, v11
	v_cvt_i32_f32_e32 v12, v12
	v_exp_f32_e32 v11, v11
	v_cmp_ngt_f32_e32 vcc, s74, v10
	v_ldexp_f32 v11, v11, v12
	s_nop 0
	v_cndmask_b32_e32 v11, 0, v11, vcc
	v_cmp_nlt_f32_e32 vcc, s53, v10
	s_nop 1
	v_cndmask_b32_e32 v10, v180, v11, vcc
	v_add_f32_e32 v10, 1.0, v10
	v_rcp_f32_e32 v10, v10
	s_nop 0
	v_fma_f32 v11, v10, -2.0, 1.0
.LBB25_237:                             ;   in Loop: Header=BB25_14 Depth=1
	s_andn2_saveexec_b64 s[60:61], s[60:61]
; %bb.238:                              ;   in Loop: Header=BB25_14 Depth=1
	v_mul_f32_e32 v10, v7, v7
	v_fmamk_f32 v11, v10, 0xbbbac73d, v178
	v_fmaak_f32 v11, v10, v11, 0xbd5c1c4e
	v_fmaak_f32 v11, v10, v11, 0x3e088382
	;; [unrolled: 1-line block ×3, first 2 shown]
	v_mul_f32_e64 v11, |v7|, v11
	v_fma_f32 v11, v10, v11, |v7|
; %bb.239:                              ;   in Loop: Header=BB25_14 Depth=1
	s_or_b64 exec, exec, s[60:61]
	v_cmp_nlt_f32_e64 s[60:61], |v8|, s58
                                        ; implicit-def: $vgpr12
	s_and_saveexec_b64 s[66:67], s[60:61]
	s_xor_b64 s[60:61], exec, s[66:67]
	s_cbranch_execz .LBB25_241
; %bb.240:                              ;   in Loop: Header=BB25_14 Depth=1
	v_add_f32_e64 v10, |v8|, |v8|
	v_mul_f32_e32 v12, 0x3fb8aa3b, v10
	v_rndne_f32_e32 v13, v12
	v_sub_f32_e32 v14, v12, v13
	v_fma_f32 v12, v10, s23, -v12
	v_fmac_f32_e32 v12, 0x32a5705f, v10
	v_add_f32_e32 v12, v14, v12
	v_cvt_i32_f32_e32 v13, v13
	v_exp_f32_e32 v12, v12
	v_cmp_ngt_f32_e32 vcc, s74, v10
	v_ldexp_f32 v12, v12, v13
	s_nop 0
	v_cndmask_b32_e32 v12, 0, v12, vcc
	v_cmp_nlt_f32_e32 vcc, s53, v10
	s_nop 1
	v_cndmask_b32_e32 v10, v180, v12, vcc
	v_add_f32_e32 v10, 1.0, v10
	v_rcp_f32_e32 v10, v10
	s_nop 0
	v_fma_f32 v12, v10, -2.0, 1.0
.LBB25_241:                             ;   in Loop: Header=BB25_14 Depth=1
	s_andn2_saveexec_b64 s[60:61], s[60:61]
; %bb.242:                              ;   in Loop: Header=BB25_14 Depth=1
	v_mul_f32_e32 v10, v8, v8
	v_fmamk_f32 v12, v10, 0xbbbac73d, v178
	v_fmaak_f32 v12, v10, v12, 0xbd5c1c4e
	v_fmaak_f32 v12, v10, v12, 0x3e088382
	;; [unrolled: 1-line block ×3, first 2 shown]
	v_mul_f32_e64 v12, |v8|, v12
	v_fma_f32 v12, v10, v12, |v8|
; %bb.243:                              ;   in Loop: Header=BB25_14 Depth=1
	s_or_b64 exec, exec, s[60:61]
	v_cmp_nlt_f32_e64 s[60:61], |v9|, s58
                                        ; implicit-def: $vgpr13
	s_and_saveexec_b64 s[66:67], s[60:61]
	s_xor_b64 s[60:61], exec, s[66:67]
	s_cbranch_execz .LBB25_245
; %bb.244:                              ;   in Loop: Header=BB25_14 Depth=1
	v_add_f32_e64 v10, |v9|, |v9|
	v_mul_f32_e32 v13, 0x3fb8aa3b, v10
	v_rndne_f32_e32 v14, v13
	v_sub_f32_e32 v15, v13, v14
	v_fma_f32 v13, v10, s23, -v13
	v_fmac_f32_e32 v13, 0x32a5705f, v10
	v_add_f32_e32 v13, v15, v13
	v_cvt_i32_f32_e32 v14, v14
	v_exp_f32_e32 v13, v13
	v_cmp_ngt_f32_e32 vcc, s74, v10
	v_ldexp_f32 v13, v13, v14
	s_nop 0
	v_cndmask_b32_e32 v13, 0, v13, vcc
	v_cmp_nlt_f32_e32 vcc, s53, v10
	s_nop 1
	v_cndmask_b32_e32 v10, v180, v13, vcc
	v_add_f32_e32 v10, 1.0, v10
	v_rcp_f32_e32 v10, v10
	s_nop 0
	v_fma_f32 v13, v10, -2.0, 1.0
.LBB25_245:                             ;   in Loop: Header=BB25_14 Depth=1
	s_andn2_saveexec_b64 s[60:61], s[60:61]
; %bb.246:                              ;   in Loop: Header=BB25_14 Depth=1
	v_mul_f32_e32 v10, v9, v9
	v_fmamk_f32 v13, v10, 0xbbbac73d, v178
	v_fmaak_f32 v13, v10, v13, 0xbd5c1c4e
	v_fmaak_f32 v13, v10, v13, 0x3e088382
	v_fmaak_f32 v13, v10, v13, 0xbeaaaa99
	v_mul_f32_e64 v13, |v9|, v13
	v_fma_f32 v13, v10, v13, |v9|
; %bb.247:                              ;   in Loop: Header=BB25_14 Depth=1
	s_or_b64 exec, exec, s[60:61]
	v_bfi_b32 v1, s75, v1, v6
	v_mul_f32_e32 v10, s65, v1
	v_bfi_b32 v1, s75, v11, v7
	v_mul_f32_e32 v11, s65, v1
	;; [unrolled: 2-line block ×4, first 2 shown]
	s_and_b64 vcc, exec, s[4:5]
	s_cbranch_vccz .LBB25_337
; %bb.248:                              ;   in Loop: Header=BB25_14 Depth=1
	v_add_u32_e32 v1, 0x4400, v123
	ds_read2_b32 v[6:7], v1 offset1:1
	s_waitcnt lgkmcnt(0)
	v_cvt_f32_f16_e32 v14, v6
	v_cvt_f32_f16_e32 v8, v7
	v_cvt_f32_f16_sdwa v9, v7 dst_sel:DWORD dst_unused:UNUSED_PAD src0_sel:WORD_1
	v_cvt_f32_f16_sdwa v15, v6 dst_sel:DWORD dst_unused:UNUSED_PAD src0_sel:WORD_1
	v_pk_fma_f32 v[8:9], v[98:99], v[8:9], v[12:13] op_sel_hi:[0,1,1]
	v_pk_fma_f32 v[6:7], v[98:99], v[14:15], v[10:11] op_sel_hi:[0,1,1]
	s_cbranch_execnz .LBB25_250
.LBB25_249:                             ;   in Loop: Header=BB25_14 Depth=1
	v_mov_b64_e32 v[6:7], v[10:11]
	v_mov_b64_e32 v[8:9], v[12:13]
.LBB25_250:                             ;   in Loop: Header=BB25_14 Depth=1
	s_mul_i32 s4, s88, s55
	s_mul_hi_u32 s5, s88, s54
	s_add_i32 s5, s5, s4
	s_mul_i32 s4, s88, s54
	s_lshl_b64 s[4:5], s[4:5], 2
	s_add_u32 s4, s73, s4
	s_addc_u32 s5, s34, s5
	v_lshl_add_u64 v[10:11], v[70:71], 2, s[4:5]
	v_lshl_add_u64 v[10:11], v[10:11], 0, v[56:57]
	v_mov_b32_e32 v17, s91
	v_cndmask_b32_e64 v11, v17, v11, s[28:29]
	v_cndmask_b32_e64 v10, v183, v10, s[28:29]
	scratch_store_dwordx4 off, v[2:5], off
	flat_load_dwordx4 v[10:13], v[10:11]
	v_lshl_add_u64 v[14:15], v[72:73], 2, s[4:5]
	v_lshl_add_u64 v[14:15], v[14:15], 0, v[56:57]
	v_cndmask_b32_e64 v15, v17, v15, s[30:31]
	v_cndmask_b32_e64 v14, v183, v14, s[30:31]
	v_add_f32_e32 v18, 0x40051340, v6
	v_max_f32_e32 v19, v26, v26
	v_and_b32_e32 v24, 64, v182
	v_xor_b32_e32 v25, 32, v182
	v_max_f32_e32 v18, v19, v18
	v_add_u32_e32 v19, 64, v24
	v_xor_b32_e32 v27, 16, v182
	v_cmp_gt_u32_e64 s[30:31], s22, v122
	v_cmp_lt_i32_e32 vcc, v25, v19
	v_add_f32_e32 v20, 0x40051340, v7
	v_cndmask_b32_e64 v24, v26, v18, s[30:31]
	v_cndmask_b32_e32 v25, v182, v25, vcc
	v_cmp_lt_i32_e32 vcc, v27, v19
	v_lshl_add_u64 v[18:19], v[74:75], 2, s[4:5]
	v_lshl_add_u64 v[18:19], v[18:19], 0, v[56:57]
	v_cndmask_b32_e64 v19, v17, v19, s[26:27]
	v_cndmask_b32_e64 v18, v183, v18, s[26:27]
	v_max_f32_e32 v28, v24, v24
	v_cndmask_b32_e32 v27, v182, v27, vcc
	v_cmp_gt_u32_e32 vcc, s22, v174
	v_add_f32_e32 v21, 0x40051340, v8
	v_cmp_gt_u32_e64 s[26:27], s22, v175
	v_add_f32_e32 v22, 0x40051340, v9
	v_cmp_gt_u32_e64 s[28:29], s22, v176
	v_lshlrev_b32_e32 v41, 2, v25
	v_lshlrev_b32_e32 v40, 2, v27
	s_cmp_lg_u64 s[98:99], 0
	v_mov_b32_e32 v1, s89
	v_add_u32_e32 v16, v144, v145
	s_waitcnt vmcnt(0) lgkmcnt(0)
	ds_write_b128 v121, v[10:13]
	flat_load_dwordx4 v[12:15], v[14:15]
	v_mov_b32_e32 v10, s89
	v_mov_b32_e32 v11, s89
	s_waitcnt vmcnt(0) lgkmcnt(0)
	ds_write_b128 v168, v[12:15]
	flat_load_dwordx4 v[12:15], v[18:19]
	v_max_f32_e32 v18, v28, v20
	v_cndmask_b32_e32 v18, v24, v18, vcc
	v_max_f32_e32 v19, v18, v18
	v_max_f32_e32 v19, v19, v21
	v_cndmask_b32_e64 v18, v18, v19, s[26:27]
	v_max_f32_e32 v19, v18, v18
	v_max_f32_e32 v19, v19, v22
	v_cndmask_b32_e64 v20, v18, v19, s[28:29]
	ds_bpermute_b32 v21, v41, v20
	v_max_f32_e32 v20, v20, v20
	v_lshl_add_u64 v[18:19], v[76:77], 2, s[4:5]
	v_lshl_add_u64 v[18:19], v[18:19], 0, v[56:57]
	v_cndmask_b32_e64 v19, v17, v19, s[24:25]
	s_waitcnt lgkmcnt(0)
	v_max_f32_e32 v21, v21, v21
	v_max_f32_e32 v20, v20, v21
	ds_bpermute_b32 v21, v40, v20
	v_cndmask_b32_e64 v18, v183, v18, s[24:25]
	v_readlane_b32 s24, v218, 34
	s_cselect_b64 s[4:5], -1, 0
	v_readlane_b32 s25, v218, 35
	s_waitcnt lgkmcnt(0)
	v_max_f32_e32 v17, v21, v21
	v_max_f32_e32 v38, v20, v17
	v_sub_f32_e32 v17, v6, v38
	v_sub_f32_e32 v20, v7, v38
	;; [unrolled: 1-line block ×4, first 2 shown]
	v_mul_f32_e32 v6, 0x3fb8aa3b, v17
	v_sub_f32_e32 v24, v26, v38
	v_mul_f32_e32 v7, 0x3fb8aa3b, v20
	v_mul_f32_e32 v8, 0x3fb8aa3b, v21
	v_mul_f32_e32 v9, 0x3fb8aa3b, v22
	v_fma_f32 v26, v17, s23, -v6
	v_rndne_f32_e32 v27, v6
	v_fma_f32 v28, v20, s23, -v7
	v_rndne_f32_e32 v29, v7
	;; [unrolled: 2-line block ×4, first 2 shown]
	v_fmac_f32_e32 v26, 0x32a5705f, v17
	v_sub_f32_e32 v6, v6, v27
	v_fmac_f32_e32 v28, 0x32a5705f, v20
	v_sub_f32_e32 v7, v7, v29
	;; [unrolled: 2-line block ×4, first 2 shown]
	v_add_f32_e32 v6, v6, v26
	v_cvt_i32_f32_e32 v27, v27
	v_add_f32_e32 v7, v7, v28
	v_add_f32_e32 v8, v8, v30
	;; [unrolled: 1-line block ×3, first 2 shown]
	v_exp_f32_e32 v6, v6
	v_cvt_i32_f32_e32 v29, v29
	v_cvt_i32_f32_e32 v31, v31
	;; [unrolled: 1-line block ×3, first 2 shown]
	v_exp_f32_e32 v7, v7
	v_exp_f32_e32 v8, v8
	;; [unrolled: 1-line block ×3, first 2 shown]
	s_and_b64 s[4:5], s[24:25], s[4:5]
	v_ldexp_f32 v6, v6, v27
	v_cmp_ngt_f32_e64 s[24:25], s74, v17
	v_ldexp_f32 v26, v7, v29
	v_ldexp_f32 v27, v8, v31
	;; [unrolled: 1-line block ×3, first 2 shown]
	v_cndmask_b32_e64 v29, 0, v6, s[24:25]
	v_mul_f32_e32 v25, 0x3fb8aa3b, v24
	v_fma_f32 v34, v24, s23, -v25
	v_rndne_f32_e32 v35, v25
	v_fmac_f32_e32 v34, 0x32a5705f, v24
	v_sub_f32_e32 v25, v25, v35
	v_add_f32_e32 v25, v25, v34
	v_cvt_i32_f32_e32 v35, v35
	v_exp_f32_e32 v25, v25
	v_cmp_ngt_f32_e64 s[24:25], s74, v20
	v_ldexp_f32 v25, v25, v35
	s_waitcnt vmcnt(0)
	ds_write_b128 v170, v[12:15]
	flat_load_dwordx4 v[6:9], v[18:19]
	v_cndmask_b32_e64 v12, 0, v26, s[24:25]
	v_cmp_ngt_f32_e64 s[24:25], s74, v21
	s_waitcnt vmcnt(0) lgkmcnt(0)
	ds_write_b128 v172, v[6:9]
	v_cndmask_b32_e64 v13, 0, v27, s[24:25]
	v_cmp_ngt_f32_e64 s[24:25], s74, v22
	s_waitcnt lgkmcnt(0)
	s_barrier
	v_cndmask_b32_e64 v14, 0, v28, s[24:25]
	v_cmp_ngt_f32_e64 s[24:25], s74, v24
	s_nop 1
	v_cndmask_b32_e64 v15, 0, v25, s[24:25]
	v_cmp_nlt_f32_e64 s[24:25], s53, v17
	s_nop 1
	v_cndmask_b32_e64 v17, v180, v29, s[24:25]
	v_cmp_nlt_f32_e64 s[24:25], s53, v20
	;; [unrolled: 3-line block ×3, first 2 shown]
	v_cndmask_b32_e64 v12, 0, v17, s[30:31]
	v_cndmask_b32_e32 v1, v1, v18, vcc
	v_cndmask_b32_e64 v13, v180, v13, s[24:25]
	v_cmp_nlt_f32_e64 s[24:25], s53, v22
	v_add_f32_e32 v17, v18, v12
	v_cndmask_b32_e64 v10, v10, v13, s[26:27]
	v_cndmask_b32_e64 v14, v180, v14, s[24:25]
	v_cmp_nlt_f32_e64 s[24:25], s53, v24
	v_cndmask_b32_e64 v11, v11, v14, s[28:29]
	v_cvt_pk_f16_f32 v50, v12, v1
	v_cndmask_b32_e64 v15, v180, v15, s[24:25]
	v_cmp_le_f32_e64 s[24:25], s86, v24
	v_cndmask_b32_e32 v1, v12, v17, vcc
	v_cvt_pk_f16_f32 v51, v10, v11
	v_cndmask_b32_e64 v15, 0, v15, s[24:25]
	v_cvt_f16_f32_e32 v18, v15
	v_add_f32_e32 v10, v1, v13
	v_cndmask_b32_e64 v1, v1, v10, s[26:27]
	v_add_f32_e32 v10, v1, v14
	v_mul_u32_u24_e32 v11, 0x10001, v18
	v_cndmask_b32_e64 v1, v1, v10, s[28:29]
	v_pk_mul_f16 v14, v187, v11
	v_pk_mul_f16 v17, v186, v11
	;; [unrolled: 1-line block ×15, first 2 shown]
	v_fmac_f32_e32 v1, v23, v15
	v_cvt_f32_f16_e32 v18, v14
	v_cvt_f32_f16_sdwa v19, v14 dst_sel:DWORD dst_unused:UNUSED_PAD src0_sel:WORD_1
	v_cvt_f32_f16_e32 v20, v17
	v_cvt_f32_f16_sdwa v21, v17 dst_sel:DWORD dst_unused:UNUSED_PAD src0_sel:WORD_1
	;; [unrolled: 2-line block ×3, first 2 shown]
	ds_read_u16 v6, v124
	ds_read_u16 v8, v124 offset:32
	ds_read_u16 v17, v124 offset:64
	;; [unrolled: 1-line block ×23, first 2 shown]
	ds_read_u16 v46, v16
	ds_read_u16 v110, v16 offset:32
	ds_read_u16 v111, v16 offset:64
	;; [unrolled: 1-line block ×7, first 2 shown]
	v_pk_mul_f16 v12, v189, v11
	s_waitcnt lgkmcnt(14)
	v_perm_b32 v6, v7, v6, s81
	s_waitcnt lgkmcnt(7)
	v_perm_b32 v7, v46, v14, s81
	v_perm_b32 v14, v9, v8, s81
	s_waitcnt lgkmcnt(6)
	v_perm_b32 v15, v110, v15, s81
	v_cvt_f32_f16_e32 v10, v12
	v_cvt_f32_f16_sdwa v11, v12 dst_sel:DWORD dst_unused:UNUSED_PAD src0_sel:WORD_1
	v_cvt_f32_f16_e32 v12, v13
	v_cvt_f32_f16_sdwa v13, v13 dst_sel:DWORD dst_unused:UNUSED_PAD src0_sel:WORD_1
	v_perm_b32 v16, v48, v17, s81
	s_waitcnt lgkmcnt(5)
	v_perm_b32 v17, v111, v104, s81
	v_mfma_f32_16x16x16_f16 v[6:9], v[6:7], v[50:51], v[10:13]
	v_cvt_f32_f16_e32 v22, v24
	v_cvt_f32_f16_sdwa v23, v24 dst_sel:DWORD dst_unused:UNUSED_PAD src0_sel:WORD_1
	v_cvt_f32_f16_e32 v24, v25
	v_mfma_f32_16x16x16_f16 v[10:13], v[14:15], v[50:51], v[18:21]
	v_cvt_f32_f16_sdwa v25, v25 dst_sel:DWORD dst_unused:UNUSED_PAD src0_sel:WORD_1
	v_cvt_f32_f16_e32 v26, v27
	v_cvt_f32_f16_sdwa v27, v27 dst_sel:DWORD dst_unused:UNUSED_PAD src0_sel:WORD_1
	v_perm_b32 v18, v99, v39, s81
	s_waitcnt lgkmcnt(4)
	v_perm_b32 v19, v184, v105, s81
	v_cvt_f32_f16_e32 v28, v29
	v_cvt_f32_f16_sdwa v29, v29 dst_sel:DWORD dst_unused:UNUSED_PAD src0_sel:WORD_1
	v_mfma_f32_16x16x16_f16 v[14:17], v[16:17], v[50:51], v[22:25]
	v_cvt_f32_f16_e32 v30, v31
	v_cvt_f32_f16_sdwa v31, v31 dst_sel:DWORD dst_unused:UNUSED_PAD src0_sel:WORD_1
	v_cvt_f32_f16_e32 v32, v33
	v_perm_b32 v22, v100, v52, s81
	s_waitcnt lgkmcnt(3)
	v_perm_b32 v23, v185, v106, s81
	v_mfma_f32_16x16x16_f16 v[18:21], v[18:19], v[50:51], v[26:29]
	v_cvt_f32_f16_sdwa v33, v33 dst_sel:DWORD dst_unused:UNUSED_PAD src0_sel:WORD_1
	v_cvt_f32_f16_e32 v34, v35
	v_cvt_f32_f16_sdwa v35, v35 dst_sel:DWORD dst_unused:UNUSED_PAD src0_sel:WORD_1
	v_perm_b32 v26, v101, v53, s81
	s_waitcnt lgkmcnt(2)
	v_perm_b32 v27, v186, v107, s81
	v_cvt_f32_f16_e32 v36, v37
	v_cvt_f32_f16_sdwa v37, v37 dst_sel:DWORD dst_unused:UNUSED_PAD src0_sel:WORD_1
	ds_bpermute_b32 v110, v41, v1
	v_mfma_f32_16x16x16_f16 v[22:25], v[22:23], v[50:51], v[30:33]
	v_cvt_f32_f16_e32 v44, v45
	v_cvt_f32_f16_sdwa v45, v45 dst_sel:DWORD dst_unused:UNUSED_PAD src0_sel:WORD_1
	v_cvt_f32_f16_e32 v46, v47
	v_perm_b32 v30, v102, v56, s81
	s_waitcnt lgkmcnt(2)
	v_perm_b32 v31, v187, v108, s81
	v_mfma_f32_16x16x16_f16 v[26:29], v[26:27], v[50:51], v[34:37]
	v_cvt_f32_f16_sdwa v47, v47 dst_sel:DWORD dst_unused:UNUSED_PAD src0_sel:WORD_1
	v_cvt_f32_f16_e32 v48, v49
	v_cvt_f32_f16_sdwa v49, v49 dst_sel:DWORD dst_unused:UNUSED_PAD src0_sel:WORD_1
	v_perm_b32 v34, v103, v98, s81
	s_waitcnt lgkmcnt(1)
	v_perm_b32 v35, v188, v109, s81
	s_waitcnt lgkmcnt(0)
	v_add_f32_e32 v1, v1, v110
	ds_bpermute_b32 v39, v40, v1
	v_mfma_f32_16x16x16_f16 v[30:33], v[30:31], v[50:51], v[42:45]
	v_cvt_f16_f32_e32 v21, v21
	v_cvt_f16_f32_e32 v52, v23
	;; [unrolled: 1-line block ×3, first 2 shown]
	v_mfma_f32_16x16x16_f16 v[34:37], v[34:35], v[50:51], v[46:49]
	s_waitcnt lgkmcnt(0)
	v_add_f32_e32 v39, v1, v39
	v_cvt_f16_f32_e32 v42, v6
	v_cvt_f16_f32_e32 v43, v7
	;; [unrolled: 1-line block ×29, first 2 shown]
	v_perm_b32 v20, v8, v1, s81
	v_perm_b32 v17, v12, v9, s81
	;; [unrolled: 1-line block ×16, first 2 shown]
	s_barrier
	s_and_saveexec_b64 s[24:25], s[4:5]
	s_cbranch_execz .LBB25_252
; %bb.251:                              ;   in Loop: Header=BB25_14 Depth=1
	v_cvt_pk_f16_f32 v10, v10, v11
	v_cvt_pk_f16_f32 v11, v14, v15
	;; [unrolled: 1-line block ×3, first 2 shown]
	global_load_dword v22, v57, s[98:99]
	v_cvt_pk_f16_f32 v7, v6, v7
	v_max_f32_e32 v23, v38, v38
	v_cvt_pk_f16_f32 v14, v18, v19
	v_cvt_pk_f16_f32 v18, v26, v27
	;; [unrolled: 1-line block ×4, first 2 shown]
	s_waitcnt vmcnt(0)
	v_max_f32_e32 v6, v22, v22
	v_max_f32_e32 v6, v23, v6
	v_sub_f32_e32 v23, v38, v6
	v_mul_f32_e32 v24, 0x3fb8aa3b, v23
	v_fma_f32 v25, v23, s23, -v24
	v_rndne_f32_e32 v26, v24
	v_fmac_f32_e32 v25, 0x32a5705f, v23
	v_sub_f32_e32 v24, v24, v26
	v_add_f32_e32 v24, v24, v25
	v_exp_f32_e32 v24, v24
	v_cvt_i32_f32_e32 v25, v26
	v_cmp_ngt_f32_e32 vcc, s74, v23
	v_sub_f32_e32 v22, v22, v6
	v_ldexp_f32 v24, v24, v25
	v_cndmask_b32_e32 v24, 0, v24, vcc
	v_cmp_nlt_f32_e32 vcc, s53, v23
	s_nop 1
	v_cndmask_b32_e32 v24, v180, v24, vcc
	v_cmp_le_f32_e32 vcc, s86, v23
	s_nop 1
	v_cndmask_b32_e32 v23, 0, v24, vcc
	v_cvt_f16_f32_e32 v24, v23
	v_cmp_ngt_f32_e32 vcc, s74, v22
	v_mul_u32_u24_e32 v26, 0x10001, v24
	v_pk_mul_f16 v36, v7, v26
	v_mul_f32_e32 v7, 0x3fb8aa3b, v22
	v_pk_mul_f16 v33, v10, v26
	v_pk_mul_f16 v32, v11, v26
	v_fma_f32 v10, v22, s23, -v7
	v_rndne_f32_e32 v11, v7
	v_fmac_f32_e32 v10, 0x32a5705f, v22
	v_sub_f32_e32 v7, v7, v11
	v_add_f32_e32 v7, v7, v10
	v_exp_f32_e32 v7, v7
	v_cvt_i32_f32_e32 v10, v11
	v_pk_mul_f16 v20, v20, v26
	v_pk_mul_f16 v17, v17, v26
	;; [unrolled: 1-line block ×3, first 2 shown]
	v_ldexp_f32 v7, v7, v10
	v_cndmask_b32_e32 v7, 0, v7, vcc
	v_cmp_nlt_f32_e32 vcc, s53, v22
	v_pk_mul_f16 v29, v14, v26
	v_pk_mul_f16 v13, v13, v26
	v_cndmask_b32_e32 v7, v180, v7, vcc
	v_fmac_f32_e32 v7, v39, v23
	v_pk_mul_f16 v28, v15, v26
	v_pk_mul_f16 v12, v12, v26
	;; [unrolled: 1-line block ×8, first 2 shown]
	v_mov_b64_e32 v[38:39], v[6:7]
.LBB25_252:                             ;   in Loop: Header=BB25_14 Depth=1
	s_or_b64 exec, exec, s[24:25]
	s_mov_b64 s[4:5], exec
	v_readlane_b32 s24, v218, 53
	v_readlane_b32 s25, v218, 54
	s_and_b64 s[24:25], s[4:5], s[24:25]
	s_mov_b64 exec, s[24:25]
; %bb.253:                              ;   in Loop: Header=BB25_14 Depth=1
	v_add_u32_e32 v6, 0, v146
	ds_write2_b32 v6, v38, v39 offset0:64 offset1:65
; %bb.254:                              ;   in Loop: Header=BB25_14 Depth=1
	s_or_b64 exec, exec, s[4:5]
	s_waitcnt lgkmcnt(0)
	s_barrier
	s_mov_b64 s[4:5], exec
	v_readlane_b32 s24, v218, 36
	v_readlane_b32 s25, v218, 37
	s_and_b64 s[24:25], s[4:5], s[24:25]
	s_xor_b64 s[4:5], s[24:25], s[4:5]
	s_mov_b64 exec, s[24:25]
	s_cbranch_execz .LBB25_256
; %bb.255:                              ;   in Loop: Header=BB25_14 Depth=1
	s_barrier
                                        ; implicit-def: $vgpr41
                                        ; implicit-def: $vgpr40
.LBB25_256:                             ;   in Loop: Header=BB25_14 Depth=1
	s_andn2_saveexec_b64 s[4:5], s[4:5]
	s_cbranch_execz .LBB25_258
; %bb.257:                              ;   in Loop: Header=BB25_14 Depth=1
	v_add_u32_e32 v10, 0, v146
	ds_read_b64 v[6:7], v10 offset:256
	s_waitcnt lgkmcnt(0)
	s_barrier
	ds_bpermute_b32 v11, v41, v6
	v_max_f32_e32 v14, v6, v6
	s_waitcnt lgkmcnt(0)
	v_max_f32_e32 v11, v11, v11
	v_max_f32_e32 v11, v14, v11
	ds_bpermute_b32 v14, v40, v11
	s_waitcnt lgkmcnt(0)
	v_max_f32_e32 v14, v14, v14
	v_max_f32_e32 v11, v11, v14
	v_sub_f32_e32 v6, v6, v11
	v_mul_f32_e32 v11, 0x3fb8aa3b, v6
	v_fma_f32 v14, v6, s23, -v11
	v_rndne_f32_e32 v15, v11
	v_fmac_f32_e32 v14, 0x32a5705f, v6
	v_sub_f32_e32 v11, v11, v15
	v_add_f32_e32 v11, v11, v14
	v_cvt_i32_f32_e32 v15, v15
	v_exp_f32_e32 v11, v11
	v_cmp_ngt_f32_e32 vcc, s74, v6
	v_ldexp_f32 v11, v11, v15
	s_nop 0
	v_cndmask_b32_e32 v11, 0, v11, vcc
	v_cmp_nlt_f32_e32 vcc, s53, v6
	s_nop 1
	v_cndmask_b32_e32 v6, v180, v11, vcc
	v_mul_f32_e32 v11, v7, v6
	ds_bpermute_b32 v11, v41, v11
	s_waitcnt lgkmcnt(0)
	v_fmac_f32_e32 v11, v7, v6
	ds_bpermute_b32 v7, v40, v11
	s_waitcnt lgkmcnt(0)
	v_add_f32_e32 v7, v11, v7
	ds_write_b64 v10, v[6:7] offset:256
.LBB25_258:                             ;   in Loop: Header=BB25_14 Depth=1
	s_or_b64 exec, exec, s[4:5]
	ds_write2_b32 v142, v36, v20 offset1:1
	ds_write2_b32 v142, v33, v17 offset0:8 offset1:9
	ds_write2_b32 v142, v32, v16 offset0:16 offset1:17
	;; [unrolled: 1-line block ×7, first 2 shown]
	s_waitcnt lgkmcnt(0)
	s_barrier
	s_mov_b64 s[24:25], exec
	v_readlane_b32 s4, v218, 34
	v_readlane_b32 s5, v218, 35
	s_and_b64 s[4:5], s[24:25], s[4:5]
	s_mov_b64 exec, s[4:5]
	s_cbranch_execz .LBB25_12
; %bb.259:                              ;   in Loop: Header=BB25_14 Depth=1
	v_add_u32_e32 v1, s62, v125
	v_cmp_gt_i32_e32 vcc, s52, v1
	v_mov_b32_e32 v6, 0x47
	s_and_saveexec_b64 s[4:5], vcc
	s_cbranch_execz .LBB25_261
; %bb.260:                              ;   in Loop: Header=BB25_14 Depth=1
	v_add_u32_e32 v14, 0, v147
	v_add_u32_e32 v12, v118, v147
	ds_read2_b32 v[6:7], v14 offset0:64 offset1:65
	ds_read2st64_b32 v[8:9], v12 offset1:17
	ds_read2st64_b32 v[10:11], v14 offset0:18 offset1:35
	ds_read2st64_b32 v[12:13], v12 offset0:34 offset1:51
	ds_read_b32 v14, v14 offset:13312
	v_readlane_b32 s22, v218, 41
	s_waitcnt lgkmcnt(3)
	v_cvt_f32_f16_e32 v18, v8
	v_cvt_f32_f16_sdwa v19, v8 dst_sel:DWORD dst_unused:UNUSED_PAD src0_sel:WORD_1
	v_cvt_f32_f16_e32 v8, v9
	v_cvt_f32_f16_sdwa v9, v9 dst_sel:DWORD dst_unused:UNUSED_PAD src0_sel:WORD_1
	v_mad_u64_u32 v[16:17], s[26:27], s22, v1, v[54:55]
	v_pk_fma_f32 v[18:19], v[6:7], v[18:19], 0 op_sel_hi:[0,1,0]
	s_waitcnt lgkmcnt(2)
	v_pk_fma_f32 v[8:9], v[10:11], v[8:9], v[18:19] op_sel_hi:[0,1,1]
	s_waitcnt lgkmcnt(1)
	v_cvt_f32_f16_e32 v18, v12
	v_cvt_f32_f16_sdwa v19, v12 dst_sel:DWORD dst_unused:UNUSED_PAD src0_sel:WORD_1
	v_mov_b32_e32 v6, v11
	v_cvt_f32_f16_e32 v10, v13
	v_cvt_f32_f16_sdwa v11, v13 dst_sel:DWORD dst_unused:UNUSED_PAD src0_sel:WORD_1
	v_readlane_b32 s26, v218, 60
	v_pk_fma_f32 v[8:9], v[6:7], v[18:19], v[8:9] op_sel_hi:[0,1,1]
	v_ashrrev_i32_e32 v17, 31, v16
	v_readlane_b32 s27, v218, 61
	s_waitcnt lgkmcnt(0)
	v_pk_fma_f32 v[8:9], v[14:15], v[10:11], v[8:9] op_sel_hi:[0,1,1]
	v_lshl_add_u64 v[16:17], v[16:17], 3, s[26:27]
	v_div_scale_f32 v1, s[26:27], v7, v7, v9
	v_rcp_f32_e32 v6, v1
	s_nop 0
	v_fma_f32 v10, -v1, v6, 1.0
	v_fmac_f32_e32 v6, v10, v6
	v_div_scale_f32 v10, vcc, v9, v7, v9
	v_mul_f32_e32 v11, v10, v6
	v_fma_f32 v12, -v1, v11, v10
	v_fmac_f32_e32 v11, v12, v6
	v_fma_f32 v1, -v1, v11, v10
	v_div_fmas_f32 v1, v1, v6, v11
	v_div_fixup_f32 v9, v1, v7, v9
	v_div_scale_f32 v1, s[26:27], v7, v7, v8
	v_rcp_f32_e32 v6, v1
	s_nop 0
	v_fma_f32 v10, -v1, v6, 1.0
	v_fmac_f32_e32 v6, v10, v6
	v_div_scale_f32 v10, vcc, v8, v7, v8
	v_mul_f32_e32 v11, v10, v6
	v_fma_f32 v12, -v1, v11, v10
	v_fmac_f32_e32 v11, v12, v6
	v_fma_f32 v1, -v1, v11, v10
	v_div_fmas_f32 v1, v1, v6, v11
	v_div_fixup_f32 v8, v1, v7, v8
	v_mov_b32_e32 v6, 0
	global_store_dwordx2 v[16:17], v[8:9], off
.LBB25_261:                             ;   in Loop: Header=BB25_14 Depth=1
	s_or_b64 exec, exec, s[4:5]
	s_movk_i32 s4, 0x47
	v_cmp_gt_i32_e32 vcc, s4, v6
	s_mov_b64 s[4:5], -1
	s_and_saveexec_b64 s[26:27], vcc
; %bb.262:                              ;   in Loop: Header=BB25_14 Depth=1
	v_cmp_eq_u32_e32 vcc, 0, v6
	s_orn2_b64 s[4:5], vcc, exec
; %bb.263:                              ;   in Loop: Header=BB25_14 Depth=1
	s_or_b64 exec, exec, s[26:27]
	s_and_b64 exec, exec, s[4:5]
	s_cbranch_execz .LBB25_12
; %bb.264:                              ;   in Loop: Header=BB25_14 Depth=1
	v_add_u32_e32 v1, s62, v126
	v_cmp_gt_i32_e32 vcc, s52, v1
	v_mov_b32_e32 v6, 0x47
	s_and_saveexec_b64 s[4:5], vcc
	s_cbranch_execz .LBB25_266
; %bb.265:                              ;   in Loop: Header=BB25_14 Depth=1
	v_add_u32_e32 v14, 0, v148
	v_add_u32_e32 v12, v118, v148
	ds_read2_b32 v[6:7], v14 offset0:64 offset1:65
	ds_read2st64_b32 v[8:9], v12 offset1:17
	ds_read2st64_b32 v[10:11], v14 offset0:18 offset1:35
	ds_read2st64_b32 v[12:13], v12 offset0:34 offset1:51
	ds_read_b32 v14, v14 offset:13312
	v_readlane_b32 s22, v218, 41
	s_waitcnt lgkmcnt(3)
	v_cvt_f32_f16_e32 v18, v8
	v_cvt_f32_f16_sdwa v19, v8 dst_sel:DWORD dst_unused:UNUSED_PAD src0_sel:WORD_1
	v_cvt_f32_f16_e32 v8, v9
	v_cvt_f32_f16_sdwa v9, v9 dst_sel:DWORD dst_unused:UNUSED_PAD src0_sel:WORD_1
	v_mad_u64_u32 v[16:17], s[26:27], s22, v1, v[54:55]
	v_pk_fma_f32 v[18:19], v[6:7], v[18:19], 0 op_sel_hi:[0,1,0]
	s_waitcnt lgkmcnt(2)
	v_pk_fma_f32 v[8:9], v[10:11], v[8:9], v[18:19] op_sel_hi:[0,1,1]
	s_waitcnt lgkmcnt(1)
	v_cvt_f32_f16_e32 v18, v12
	v_cvt_f32_f16_sdwa v19, v12 dst_sel:DWORD dst_unused:UNUSED_PAD src0_sel:WORD_1
	v_mov_b32_e32 v6, v11
	v_cvt_f32_f16_e32 v10, v13
	v_cvt_f32_f16_sdwa v11, v13 dst_sel:DWORD dst_unused:UNUSED_PAD src0_sel:WORD_1
	v_readlane_b32 s26, v218, 60
	v_pk_fma_f32 v[8:9], v[6:7], v[18:19], v[8:9] op_sel_hi:[0,1,1]
	v_ashrrev_i32_e32 v17, 31, v16
	v_readlane_b32 s27, v218, 61
	s_waitcnt lgkmcnt(0)
	v_pk_fma_f32 v[8:9], v[14:15], v[10:11], v[8:9] op_sel_hi:[0,1,1]
	v_lshl_add_u64 v[16:17], v[16:17], 3, s[26:27]
	v_div_scale_f32 v1, s[26:27], v7, v7, v9
	v_rcp_f32_e32 v6, v1
	s_nop 0
	v_fma_f32 v10, -v1, v6, 1.0
	v_fmac_f32_e32 v6, v10, v6
	v_div_scale_f32 v10, vcc, v9, v7, v9
	v_mul_f32_e32 v11, v10, v6
	v_fma_f32 v12, -v1, v11, v10
	v_fmac_f32_e32 v11, v12, v6
	v_fma_f32 v1, -v1, v11, v10
	v_div_fmas_f32 v1, v1, v6, v11
	v_div_fixup_f32 v9, v1, v7, v9
	v_div_scale_f32 v1, s[26:27], v7, v7, v8
	v_rcp_f32_e32 v6, v1
	s_nop 0
	v_fma_f32 v10, -v1, v6, 1.0
	v_fmac_f32_e32 v6, v10, v6
	v_div_scale_f32 v10, vcc, v8, v7, v8
	v_mul_f32_e32 v11, v10, v6
	v_fma_f32 v12, -v1, v11, v10
	v_fmac_f32_e32 v11, v12, v6
	v_fma_f32 v1, -v1, v11, v10
	v_div_fmas_f32 v1, v1, v6, v11
	v_div_fixup_f32 v8, v1, v7, v8
	v_mov_b32_e32 v6, 0
	global_store_dwordx2 v[16:17], v[8:9], off
.LBB25_266:                             ;   in Loop: Header=BB25_14 Depth=1
	s_or_b64 exec, exec, s[4:5]
	s_movk_i32 s4, 0x47
	v_cmp_gt_i32_e32 vcc, s4, v6
	s_mov_b64 s[4:5], -1
	s_and_saveexec_b64 s[26:27], vcc
; %bb.267:                              ;   in Loop: Header=BB25_14 Depth=1
	v_cmp_eq_u32_e32 vcc, 0, v6
	s_orn2_b64 s[4:5], vcc, exec
; %bb.268:                              ;   in Loop: Header=BB25_14 Depth=1
	s_or_b64 exec, exec, s[26:27]
	s_and_b64 exec, exec, s[4:5]
	s_cbranch_execz .LBB25_12
; %bb.269:                              ;   in Loop: Header=BB25_14 Depth=1
	v_add_u32_e32 v1, s62, v127
	v_cmp_gt_i32_e32 vcc, s52, v1
	v_mov_b32_e32 v6, 0x47
	s_and_saveexec_b64 s[4:5], vcc
	s_cbranch_execz .LBB25_271
; %bb.270:                              ;   in Loop: Header=BB25_14 Depth=1
	v_add_u32_e32 v14, 0, v149
	v_add_u32_e32 v12, v118, v149
	ds_read2_b32 v[6:7], v14 offset0:64 offset1:65
	ds_read2st64_b32 v[8:9], v12 offset1:17
	ds_read2st64_b32 v[10:11], v14 offset0:18 offset1:35
	ds_read2st64_b32 v[12:13], v12 offset0:34 offset1:51
	ds_read_b32 v14, v14 offset:13312
	v_readlane_b32 s22, v218, 41
	s_waitcnt lgkmcnt(3)
	v_cvt_f32_f16_e32 v18, v8
	v_cvt_f32_f16_sdwa v19, v8 dst_sel:DWORD dst_unused:UNUSED_PAD src0_sel:WORD_1
	v_cvt_f32_f16_e32 v8, v9
	v_cvt_f32_f16_sdwa v9, v9 dst_sel:DWORD dst_unused:UNUSED_PAD src0_sel:WORD_1
	v_mad_u64_u32 v[16:17], s[26:27], s22, v1, v[54:55]
	v_pk_fma_f32 v[18:19], v[6:7], v[18:19], 0 op_sel_hi:[0,1,0]
	s_waitcnt lgkmcnt(2)
	v_pk_fma_f32 v[8:9], v[10:11], v[8:9], v[18:19] op_sel_hi:[0,1,1]
	s_waitcnt lgkmcnt(1)
	v_cvt_f32_f16_e32 v18, v12
	v_cvt_f32_f16_sdwa v19, v12 dst_sel:DWORD dst_unused:UNUSED_PAD src0_sel:WORD_1
	v_mov_b32_e32 v6, v11
	v_cvt_f32_f16_e32 v10, v13
	v_cvt_f32_f16_sdwa v11, v13 dst_sel:DWORD dst_unused:UNUSED_PAD src0_sel:WORD_1
	v_readlane_b32 s26, v218, 60
	v_pk_fma_f32 v[8:9], v[6:7], v[18:19], v[8:9] op_sel_hi:[0,1,1]
	v_ashrrev_i32_e32 v17, 31, v16
	v_readlane_b32 s27, v218, 61
	s_waitcnt lgkmcnt(0)
	v_pk_fma_f32 v[8:9], v[14:15], v[10:11], v[8:9] op_sel_hi:[0,1,1]
	v_lshl_add_u64 v[16:17], v[16:17], 3, s[26:27]
	v_div_scale_f32 v1, s[26:27], v7, v7, v9
	v_rcp_f32_e32 v6, v1
	s_nop 0
	v_fma_f32 v10, -v1, v6, 1.0
	v_fmac_f32_e32 v6, v10, v6
	v_div_scale_f32 v10, vcc, v9, v7, v9
	v_mul_f32_e32 v11, v10, v6
	v_fma_f32 v12, -v1, v11, v10
	v_fmac_f32_e32 v11, v12, v6
	v_fma_f32 v1, -v1, v11, v10
	v_div_fmas_f32 v1, v1, v6, v11
	v_div_fixup_f32 v9, v1, v7, v9
	v_div_scale_f32 v1, s[26:27], v7, v7, v8
	v_rcp_f32_e32 v6, v1
	s_nop 0
	v_fma_f32 v10, -v1, v6, 1.0
	v_fmac_f32_e32 v6, v10, v6
	v_div_scale_f32 v10, vcc, v8, v7, v8
	v_mul_f32_e32 v11, v10, v6
	v_fma_f32 v12, -v1, v11, v10
	v_fmac_f32_e32 v11, v12, v6
	v_fma_f32 v1, -v1, v11, v10
	v_div_fmas_f32 v1, v1, v6, v11
	v_div_fixup_f32 v8, v1, v7, v8
	v_mov_b32_e32 v6, 0
	global_store_dwordx2 v[16:17], v[8:9], off
.LBB25_271:                             ;   in Loop: Header=BB25_14 Depth=1
	s_or_b64 exec, exec, s[4:5]
	s_movk_i32 s4, 0x47
	v_cmp_gt_i32_e32 vcc, s4, v6
	s_mov_b64 s[4:5], -1
	s_and_saveexec_b64 s[26:27], vcc
; %bb.272:                              ;   in Loop: Header=BB25_14 Depth=1
	v_cmp_eq_u32_e32 vcc, 0, v6
	s_orn2_b64 s[4:5], vcc, exec
; %bb.273:                              ;   in Loop: Header=BB25_14 Depth=1
	s_or_b64 exec, exec, s[26:27]
	s_and_b64 exec, exec, s[4:5]
	s_cbranch_execz .LBB25_12
; %bb.274:                              ;   in Loop: Header=BB25_14 Depth=1
	v_add_u32_e32 v1, s62, v128
	v_cmp_gt_i32_e32 vcc, s52, v1
	v_mov_b32_e32 v6, 0x47
	s_and_saveexec_b64 s[4:5], vcc
	s_cbranch_execz .LBB25_276
; %bb.275:                              ;   in Loop: Header=BB25_14 Depth=1
	v_add_u32_e32 v14, 0, v150
	v_add_u32_e32 v12, v118, v150
	ds_read2_b32 v[6:7], v14 offset0:64 offset1:65
	ds_read2st64_b32 v[8:9], v12 offset1:17
	ds_read2st64_b32 v[10:11], v14 offset0:18 offset1:35
	ds_read2st64_b32 v[12:13], v12 offset0:34 offset1:51
	ds_read_b32 v14, v14 offset:13312
	v_readlane_b32 s22, v218, 41
	s_waitcnt lgkmcnt(3)
	v_cvt_f32_f16_e32 v18, v8
	v_cvt_f32_f16_sdwa v19, v8 dst_sel:DWORD dst_unused:UNUSED_PAD src0_sel:WORD_1
	v_cvt_f32_f16_e32 v8, v9
	v_cvt_f32_f16_sdwa v9, v9 dst_sel:DWORD dst_unused:UNUSED_PAD src0_sel:WORD_1
	v_mad_u64_u32 v[16:17], s[26:27], s22, v1, v[54:55]
	v_pk_fma_f32 v[18:19], v[6:7], v[18:19], 0 op_sel_hi:[0,1,0]
	s_waitcnt lgkmcnt(2)
	v_pk_fma_f32 v[8:9], v[10:11], v[8:9], v[18:19] op_sel_hi:[0,1,1]
	s_waitcnt lgkmcnt(1)
	v_cvt_f32_f16_e32 v18, v12
	v_cvt_f32_f16_sdwa v19, v12 dst_sel:DWORD dst_unused:UNUSED_PAD src0_sel:WORD_1
	v_mov_b32_e32 v6, v11
	v_cvt_f32_f16_e32 v10, v13
	v_cvt_f32_f16_sdwa v11, v13 dst_sel:DWORD dst_unused:UNUSED_PAD src0_sel:WORD_1
	v_readlane_b32 s26, v218, 60
	v_pk_fma_f32 v[8:9], v[6:7], v[18:19], v[8:9] op_sel_hi:[0,1,1]
	v_ashrrev_i32_e32 v17, 31, v16
	v_readlane_b32 s27, v218, 61
	s_waitcnt lgkmcnt(0)
	v_pk_fma_f32 v[8:9], v[14:15], v[10:11], v[8:9] op_sel_hi:[0,1,1]
	v_lshl_add_u64 v[16:17], v[16:17], 3, s[26:27]
	v_div_scale_f32 v1, s[26:27], v7, v7, v9
	v_rcp_f32_e32 v6, v1
	s_nop 0
	v_fma_f32 v10, -v1, v6, 1.0
	v_fmac_f32_e32 v6, v10, v6
	v_div_scale_f32 v10, vcc, v9, v7, v9
	v_mul_f32_e32 v11, v10, v6
	v_fma_f32 v12, -v1, v11, v10
	v_fmac_f32_e32 v11, v12, v6
	v_fma_f32 v1, -v1, v11, v10
	v_div_fmas_f32 v1, v1, v6, v11
	v_div_fixup_f32 v9, v1, v7, v9
	v_div_scale_f32 v1, s[26:27], v7, v7, v8
	v_rcp_f32_e32 v6, v1
	s_nop 0
	v_fma_f32 v10, -v1, v6, 1.0
	v_fmac_f32_e32 v6, v10, v6
	v_div_scale_f32 v10, vcc, v8, v7, v8
	v_mul_f32_e32 v11, v10, v6
	v_fma_f32 v12, -v1, v11, v10
	v_fmac_f32_e32 v11, v12, v6
	v_fma_f32 v1, -v1, v11, v10
	v_div_fmas_f32 v1, v1, v6, v11
	v_div_fixup_f32 v8, v1, v7, v8
	v_mov_b32_e32 v6, 0
	global_store_dwordx2 v[16:17], v[8:9], off
.LBB25_276:                             ;   in Loop: Header=BB25_14 Depth=1
	s_or_b64 exec, exec, s[4:5]
	s_movk_i32 s4, 0x47
	v_cmp_gt_i32_e32 vcc, s4, v6
	s_mov_b64 s[4:5], -1
	s_and_saveexec_b64 s[26:27], vcc
; %bb.277:                              ;   in Loop: Header=BB25_14 Depth=1
	v_cmp_eq_u32_e32 vcc, 0, v6
	s_orn2_b64 s[4:5], vcc, exec
; %bb.278:                              ;   in Loop: Header=BB25_14 Depth=1
	s_or_b64 exec, exec, s[26:27]
	s_and_b64 exec, exec, s[4:5]
	s_cbranch_execz .LBB25_12
; %bb.279:                              ;   in Loop: Header=BB25_14 Depth=1
	v_add_u32_e32 v1, s62, v129
	v_cmp_gt_i32_e32 vcc, s52, v1
	v_mov_b32_e32 v6, 0x47
	s_and_saveexec_b64 s[4:5], vcc
	s_cbranch_execz .LBB25_281
; %bb.280:                              ;   in Loop: Header=BB25_14 Depth=1
	v_add_u32_e32 v14, 0, v151
	v_add_u32_e32 v12, v118, v151
	ds_read2_b32 v[6:7], v14 offset0:64 offset1:65
	ds_read2st64_b32 v[8:9], v12 offset1:17
	ds_read2st64_b32 v[10:11], v14 offset0:18 offset1:35
	ds_read2st64_b32 v[12:13], v12 offset0:34 offset1:51
	ds_read_b32 v14, v14 offset:13312
	v_readlane_b32 s22, v218, 41
	s_waitcnt lgkmcnt(3)
	v_cvt_f32_f16_e32 v18, v8
	v_cvt_f32_f16_sdwa v19, v8 dst_sel:DWORD dst_unused:UNUSED_PAD src0_sel:WORD_1
	v_cvt_f32_f16_e32 v8, v9
	v_cvt_f32_f16_sdwa v9, v9 dst_sel:DWORD dst_unused:UNUSED_PAD src0_sel:WORD_1
	v_mad_u64_u32 v[16:17], s[26:27], s22, v1, v[54:55]
	v_pk_fma_f32 v[18:19], v[6:7], v[18:19], 0 op_sel_hi:[0,1,0]
	s_waitcnt lgkmcnt(2)
	v_pk_fma_f32 v[8:9], v[10:11], v[8:9], v[18:19] op_sel_hi:[0,1,1]
	s_waitcnt lgkmcnt(1)
	v_cvt_f32_f16_e32 v18, v12
	v_cvt_f32_f16_sdwa v19, v12 dst_sel:DWORD dst_unused:UNUSED_PAD src0_sel:WORD_1
	v_mov_b32_e32 v6, v11
	v_cvt_f32_f16_e32 v10, v13
	v_cvt_f32_f16_sdwa v11, v13 dst_sel:DWORD dst_unused:UNUSED_PAD src0_sel:WORD_1
	v_readlane_b32 s26, v218, 60
	v_pk_fma_f32 v[8:9], v[6:7], v[18:19], v[8:9] op_sel_hi:[0,1,1]
	v_ashrrev_i32_e32 v17, 31, v16
	v_readlane_b32 s27, v218, 61
	s_waitcnt lgkmcnt(0)
	v_pk_fma_f32 v[8:9], v[14:15], v[10:11], v[8:9] op_sel_hi:[0,1,1]
	v_lshl_add_u64 v[16:17], v[16:17], 3, s[26:27]
	v_div_scale_f32 v1, s[26:27], v7, v7, v9
	v_rcp_f32_e32 v6, v1
	s_nop 0
	v_fma_f32 v10, -v1, v6, 1.0
	v_fmac_f32_e32 v6, v10, v6
	v_div_scale_f32 v10, vcc, v9, v7, v9
	v_mul_f32_e32 v11, v10, v6
	v_fma_f32 v12, -v1, v11, v10
	v_fmac_f32_e32 v11, v12, v6
	v_fma_f32 v1, -v1, v11, v10
	v_div_fmas_f32 v1, v1, v6, v11
	v_div_fixup_f32 v9, v1, v7, v9
	v_div_scale_f32 v1, s[26:27], v7, v7, v8
	v_rcp_f32_e32 v6, v1
	s_nop 0
	v_fma_f32 v10, -v1, v6, 1.0
	v_fmac_f32_e32 v6, v10, v6
	v_div_scale_f32 v10, vcc, v8, v7, v8
	v_mul_f32_e32 v11, v10, v6
	v_fma_f32 v12, -v1, v11, v10
	v_fmac_f32_e32 v11, v12, v6
	v_fma_f32 v1, -v1, v11, v10
	v_div_fmas_f32 v1, v1, v6, v11
	v_div_fixup_f32 v8, v1, v7, v8
	v_mov_b32_e32 v6, 0
	global_store_dwordx2 v[16:17], v[8:9], off
.LBB25_281:                             ;   in Loop: Header=BB25_14 Depth=1
	s_or_b64 exec, exec, s[4:5]
	s_movk_i32 s4, 0x47
	v_cmp_gt_i32_e32 vcc, s4, v6
	s_mov_b64 s[4:5], -1
	s_and_saveexec_b64 s[26:27], vcc
; %bb.282:                              ;   in Loop: Header=BB25_14 Depth=1
	v_cmp_eq_u32_e32 vcc, 0, v6
	s_orn2_b64 s[4:5], vcc, exec
; %bb.283:                              ;   in Loop: Header=BB25_14 Depth=1
	s_or_b64 exec, exec, s[26:27]
	s_and_b64 exec, exec, s[4:5]
	s_cbranch_execz .LBB25_12
; %bb.284:                              ;   in Loop: Header=BB25_14 Depth=1
	v_add_u32_e32 v1, s62, v130
	v_cmp_gt_i32_e32 vcc, s52, v1
	v_mov_b32_e32 v6, 0x47
	s_and_saveexec_b64 s[4:5], vcc
	s_cbranch_execz .LBB25_286
; %bb.285:                              ;   in Loop: Header=BB25_14 Depth=1
	v_add_u32_e32 v14, 0, v152
	v_add_u32_e32 v12, v118, v152
	ds_read2_b32 v[6:7], v14 offset0:64 offset1:65
	ds_read2st64_b32 v[8:9], v12 offset1:17
	ds_read2st64_b32 v[10:11], v14 offset0:18 offset1:35
	ds_read2st64_b32 v[12:13], v12 offset0:34 offset1:51
	ds_read_b32 v14, v14 offset:13312
	v_readlane_b32 s22, v218, 41
	s_waitcnt lgkmcnt(3)
	v_cvt_f32_f16_e32 v18, v8
	v_cvt_f32_f16_sdwa v19, v8 dst_sel:DWORD dst_unused:UNUSED_PAD src0_sel:WORD_1
	v_cvt_f32_f16_e32 v8, v9
	v_cvt_f32_f16_sdwa v9, v9 dst_sel:DWORD dst_unused:UNUSED_PAD src0_sel:WORD_1
	v_mad_u64_u32 v[16:17], s[26:27], s22, v1, v[54:55]
	v_pk_fma_f32 v[18:19], v[6:7], v[18:19], 0 op_sel_hi:[0,1,0]
	s_waitcnt lgkmcnt(2)
	v_pk_fma_f32 v[8:9], v[10:11], v[8:9], v[18:19] op_sel_hi:[0,1,1]
	s_waitcnt lgkmcnt(1)
	v_cvt_f32_f16_e32 v18, v12
	v_cvt_f32_f16_sdwa v19, v12 dst_sel:DWORD dst_unused:UNUSED_PAD src0_sel:WORD_1
	v_mov_b32_e32 v6, v11
	v_cvt_f32_f16_e32 v10, v13
	v_cvt_f32_f16_sdwa v11, v13 dst_sel:DWORD dst_unused:UNUSED_PAD src0_sel:WORD_1
	v_readlane_b32 s26, v218, 60
	v_pk_fma_f32 v[8:9], v[6:7], v[18:19], v[8:9] op_sel_hi:[0,1,1]
	v_ashrrev_i32_e32 v17, 31, v16
	v_readlane_b32 s27, v218, 61
	s_waitcnt lgkmcnt(0)
	v_pk_fma_f32 v[8:9], v[14:15], v[10:11], v[8:9] op_sel_hi:[0,1,1]
	v_lshl_add_u64 v[16:17], v[16:17], 3, s[26:27]
	v_div_scale_f32 v1, s[26:27], v7, v7, v9
	v_rcp_f32_e32 v6, v1
	s_nop 0
	v_fma_f32 v10, -v1, v6, 1.0
	v_fmac_f32_e32 v6, v10, v6
	v_div_scale_f32 v10, vcc, v9, v7, v9
	v_mul_f32_e32 v11, v10, v6
	v_fma_f32 v12, -v1, v11, v10
	v_fmac_f32_e32 v11, v12, v6
	v_fma_f32 v1, -v1, v11, v10
	v_div_fmas_f32 v1, v1, v6, v11
	v_div_fixup_f32 v9, v1, v7, v9
	v_div_scale_f32 v1, s[26:27], v7, v7, v8
	v_rcp_f32_e32 v6, v1
	s_nop 0
	v_fma_f32 v10, -v1, v6, 1.0
	v_fmac_f32_e32 v6, v10, v6
	v_div_scale_f32 v10, vcc, v8, v7, v8
	v_mul_f32_e32 v11, v10, v6
	v_fma_f32 v12, -v1, v11, v10
	v_fmac_f32_e32 v11, v12, v6
	v_fma_f32 v1, -v1, v11, v10
	v_div_fmas_f32 v1, v1, v6, v11
	v_div_fixup_f32 v8, v1, v7, v8
	v_mov_b32_e32 v6, 0
	global_store_dwordx2 v[16:17], v[8:9], off
.LBB25_286:                             ;   in Loop: Header=BB25_14 Depth=1
	s_or_b64 exec, exec, s[4:5]
	s_movk_i32 s4, 0x47
	v_cmp_gt_i32_e32 vcc, s4, v6
	s_mov_b64 s[4:5], -1
	s_and_saveexec_b64 s[26:27], vcc
; %bb.287:                              ;   in Loop: Header=BB25_14 Depth=1
	v_cmp_eq_u32_e32 vcc, 0, v6
	s_orn2_b64 s[4:5], vcc, exec
; %bb.288:                              ;   in Loop: Header=BB25_14 Depth=1
	s_or_b64 exec, exec, s[26:27]
	s_and_b64 exec, exec, s[4:5]
	s_cbranch_execz .LBB25_12
; %bb.289:                              ;   in Loop: Header=BB25_14 Depth=1
	v_add_u32_e32 v1, s62, v131
	v_cmp_gt_i32_e32 vcc, s52, v1
	v_mov_b32_e32 v6, 0x47
	s_and_saveexec_b64 s[4:5], vcc
	s_cbranch_execz .LBB25_291
; %bb.290:                              ;   in Loop: Header=BB25_14 Depth=1
	v_add_u32_e32 v14, 0, v153
	v_add_u32_e32 v12, v118, v153
	ds_read2_b32 v[6:7], v14 offset0:64 offset1:65
	ds_read2st64_b32 v[8:9], v12 offset1:17
	ds_read2st64_b32 v[10:11], v14 offset0:18 offset1:35
	ds_read2st64_b32 v[12:13], v12 offset0:34 offset1:51
	ds_read_b32 v14, v14 offset:13312
	v_readlane_b32 s22, v218, 41
	s_waitcnt lgkmcnt(3)
	v_cvt_f32_f16_e32 v18, v8
	v_cvt_f32_f16_sdwa v19, v8 dst_sel:DWORD dst_unused:UNUSED_PAD src0_sel:WORD_1
	v_cvt_f32_f16_e32 v8, v9
	v_cvt_f32_f16_sdwa v9, v9 dst_sel:DWORD dst_unused:UNUSED_PAD src0_sel:WORD_1
	v_mad_u64_u32 v[16:17], s[26:27], s22, v1, v[54:55]
	v_pk_fma_f32 v[18:19], v[6:7], v[18:19], 0 op_sel_hi:[0,1,0]
	s_waitcnt lgkmcnt(2)
	v_pk_fma_f32 v[8:9], v[10:11], v[8:9], v[18:19] op_sel_hi:[0,1,1]
	s_waitcnt lgkmcnt(1)
	v_cvt_f32_f16_e32 v18, v12
	v_cvt_f32_f16_sdwa v19, v12 dst_sel:DWORD dst_unused:UNUSED_PAD src0_sel:WORD_1
	v_mov_b32_e32 v6, v11
	v_cvt_f32_f16_e32 v10, v13
	v_cvt_f32_f16_sdwa v11, v13 dst_sel:DWORD dst_unused:UNUSED_PAD src0_sel:WORD_1
	v_readlane_b32 s26, v218, 60
	v_pk_fma_f32 v[8:9], v[6:7], v[18:19], v[8:9] op_sel_hi:[0,1,1]
	v_ashrrev_i32_e32 v17, 31, v16
	v_readlane_b32 s27, v218, 61
	s_waitcnt lgkmcnt(0)
	v_pk_fma_f32 v[8:9], v[14:15], v[10:11], v[8:9] op_sel_hi:[0,1,1]
	v_lshl_add_u64 v[16:17], v[16:17], 3, s[26:27]
	v_div_scale_f32 v1, s[26:27], v7, v7, v9
	v_rcp_f32_e32 v6, v1
	s_nop 0
	v_fma_f32 v10, -v1, v6, 1.0
	v_fmac_f32_e32 v6, v10, v6
	v_div_scale_f32 v10, vcc, v9, v7, v9
	v_mul_f32_e32 v11, v10, v6
	v_fma_f32 v12, -v1, v11, v10
	v_fmac_f32_e32 v11, v12, v6
	v_fma_f32 v1, -v1, v11, v10
	v_div_fmas_f32 v1, v1, v6, v11
	v_div_fixup_f32 v9, v1, v7, v9
	v_div_scale_f32 v1, s[26:27], v7, v7, v8
	v_rcp_f32_e32 v6, v1
	s_nop 0
	v_fma_f32 v10, -v1, v6, 1.0
	v_fmac_f32_e32 v6, v10, v6
	v_div_scale_f32 v10, vcc, v8, v7, v8
	v_mul_f32_e32 v11, v10, v6
	v_fma_f32 v12, -v1, v11, v10
	v_fmac_f32_e32 v11, v12, v6
	v_fma_f32 v1, -v1, v11, v10
	v_div_fmas_f32 v1, v1, v6, v11
	v_div_fixup_f32 v8, v1, v7, v8
	v_mov_b32_e32 v6, 0
	global_store_dwordx2 v[16:17], v[8:9], off
.LBB25_291:                             ;   in Loop: Header=BB25_14 Depth=1
	s_or_b64 exec, exec, s[4:5]
	s_movk_i32 s4, 0x47
	v_cmp_gt_i32_e32 vcc, s4, v6
	s_mov_b64 s[4:5], -1
	s_and_saveexec_b64 s[26:27], vcc
; %bb.292:                              ;   in Loop: Header=BB25_14 Depth=1
	v_cmp_eq_u32_e32 vcc, 0, v6
	s_orn2_b64 s[4:5], vcc, exec
; %bb.293:                              ;   in Loop: Header=BB25_14 Depth=1
	s_or_b64 exec, exec, s[26:27]
	s_and_b64 exec, exec, s[4:5]
	s_cbranch_execz .LBB25_12
; %bb.294:                              ;   in Loop: Header=BB25_14 Depth=1
	v_add_u32_e32 v1, s62, v132
	v_cmp_gt_i32_e32 vcc, s52, v1
	v_mov_b32_e32 v6, 0x47
	s_and_saveexec_b64 s[4:5], vcc
	s_cbranch_execz .LBB25_296
; %bb.295:                              ;   in Loop: Header=BB25_14 Depth=1
	v_add_u32_e32 v14, 0, v154
	v_add_u32_e32 v12, v118, v154
	ds_read2_b32 v[6:7], v14 offset0:64 offset1:65
	ds_read2st64_b32 v[8:9], v12 offset1:17
	ds_read2st64_b32 v[10:11], v14 offset0:18 offset1:35
	ds_read2st64_b32 v[12:13], v12 offset0:34 offset1:51
	ds_read_b32 v14, v14 offset:13312
	v_readlane_b32 s22, v218, 41
	s_waitcnt lgkmcnt(3)
	v_cvt_f32_f16_e32 v18, v8
	v_cvt_f32_f16_sdwa v19, v8 dst_sel:DWORD dst_unused:UNUSED_PAD src0_sel:WORD_1
	v_cvt_f32_f16_e32 v8, v9
	v_cvt_f32_f16_sdwa v9, v9 dst_sel:DWORD dst_unused:UNUSED_PAD src0_sel:WORD_1
	v_mad_u64_u32 v[16:17], s[26:27], s22, v1, v[54:55]
	v_pk_fma_f32 v[18:19], v[6:7], v[18:19], 0 op_sel_hi:[0,1,0]
	s_waitcnt lgkmcnt(2)
	v_pk_fma_f32 v[8:9], v[10:11], v[8:9], v[18:19] op_sel_hi:[0,1,1]
	s_waitcnt lgkmcnt(1)
	v_cvt_f32_f16_e32 v18, v12
	v_cvt_f32_f16_sdwa v19, v12 dst_sel:DWORD dst_unused:UNUSED_PAD src0_sel:WORD_1
	v_mov_b32_e32 v6, v11
	v_cvt_f32_f16_e32 v10, v13
	v_cvt_f32_f16_sdwa v11, v13 dst_sel:DWORD dst_unused:UNUSED_PAD src0_sel:WORD_1
	v_readlane_b32 s26, v218, 60
	v_pk_fma_f32 v[8:9], v[6:7], v[18:19], v[8:9] op_sel_hi:[0,1,1]
	v_ashrrev_i32_e32 v17, 31, v16
	v_readlane_b32 s27, v218, 61
	s_waitcnt lgkmcnt(0)
	v_pk_fma_f32 v[8:9], v[14:15], v[10:11], v[8:9] op_sel_hi:[0,1,1]
	v_lshl_add_u64 v[16:17], v[16:17], 3, s[26:27]
	v_div_scale_f32 v1, s[26:27], v7, v7, v9
	v_rcp_f32_e32 v6, v1
	s_nop 0
	v_fma_f32 v10, -v1, v6, 1.0
	v_fmac_f32_e32 v6, v10, v6
	v_div_scale_f32 v10, vcc, v9, v7, v9
	v_mul_f32_e32 v11, v10, v6
	v_fma_f32 v12, -v1, v11, v10
	v_fmac_f32_e32 v11, v12, v6
	v_fma_f32 v1, -v1, v11, v10
	v_div_fmas_f32 v1, v1, v6, v11
	v_div_fixup_f32 v9, v1, v7, v9
	v_div_scale_f32 v1, s[26:27], v7, v7, v8
	v_rcp_f32_e32 v6, v1
	s_nop 0
	v_fma_f32 v10, -v1, v6, 1.0
	v_fmac_f32_e32 v6, v10, v6
	v_div_scale_f32 v10, vcc, v8, v7, v8
	v_mul_f32_e32 v11, v10, v6
	v_fma_f32 v12, -v1, v11, v10
	v_fmac_f32_e32 v11, v12, v6
	v_fma_f32 v1, -v1, v11, v10
	v_div_fmas_f32 v1, v1, v6, v11
	v_div_fixup_f32 v8, v1, v7, v8
	v_mov_b32_e32 v6, 0
	global_store_dwordx2 v[16:17], v[8:9], off
.LBB25_296:                             ;   in Loop: Header=BB25_14 Depth=1
	s_or_b64 exec, exec, s[4:5]
	s_movk_i32 s4, 0x47
	v_cmp_gt_i32_e32 vcc, s4, v6
	s_mov_b64 s[4:5], -1
	s_and_saveexec_b64 s[26:27], vcc
; %bb.297:                              ;   in Loop: Header=BB25_14 Depth=1
	v_cmp_eq_u32_e32 vcc, 0, v6
	s_orn2_b64 s[4:5], vcc, exec
; %bb.298:                              ;   in Loop: Header=BB25_14 Depth=1
	s_or_b64 exec, exec, s[26:27]
	s_and_b64 exec, exec, s[4:5]
	s_cbranch_execz .LBB25_12
; %bb.299:                              ;   in Loop: Header=BB25_14 Depth=1
	v_add_u32_e32 v1, s62, v133
	v_cmp_gt_i32_e32 vcc, s52, v1
	v_mov_b32_e32 v6, 0x47
	s_and_saveexec_b64 s[4:5], vcc
	s_cbranch_execz .LBB25_301
; %bb.300:                              ;   in Loop: Header=BB25_14 Depth=1
	v_add_u32_e32 v14, 0, v155
	v_add_u32_e32 v12, v118, v155
	ds_read2_b32 v[6:7], v14 offset0:64 offset1:65
	ds_read2st64_b32 v[8:9], v12 offset1:17
	ds_read2st64_b32 v[10:11], v14 offset0:18 offset1:35
	ds_read2st64_b32 v[12:13], v12 offset0:34 offset1:51
	ds_read_b32 v14, v14 offset:13312
	v_readlane_b32 s22, v218, 41
	s_waitcnt lgkmcnt(3)
	v_cvt_f32_f16_e32 v18, v8
	v_cvt_f32_f16_sdwa v19, v8 dst_sel:DWORD dst_unused:UNUSED_PAD src0_sel:WORD_1
	v_cvt_f32_f16_e32 v8, v9
	v_cvt_f32_f16_sdwa v9, v9 dst_sel:DWORD dst_unused:UNUSED_PAD src0_sel:WORD_1
	v_mad_u64_u32 v[16:17], s[26:27], s22, v1, v[54:55]
	v_pk_fma_f32 v[18:19], v[6:7], v[18:19], 0 op_sel_hi:[0,1,0]
	s_waitcnt lgkmcnt(2)
	v_pk_fma_f32 v[8:9], v[10:11], v[8:9], v[18:19] op_sel_hi:[0,1,1]
	s_waitcnt lgkmcnt(1)
	v_cvt_f32_f16_e32 v18, v12
	v_cvt_f32_f16_sdwa v19, v12 dst_sel:DWORD dst_unused:UNUSED_PAD src0_sel:WORD_1
	v_mov_b32_e32 v6, v11
	v_cvt_f32_f16_e32 v10, v13
	v_cvt_f32_f16_sdwa v11, v13 dst_sel:DWORD dst_unused:UNUSED_PAD src0_sel:WORD_1
	v_readlane_b32 s26, v218, 60
	v_pk_fma_f32 v[8:9], v[6:7], v[18:19], v[8:9] op_sel_hi:[0,1,1]
	v_ashrrev_i32_e32 v17, 31, v16
	v_readlane_b32 s27, v218, 61
	s_waitcnt lgkmcnt(0)
	v_pk_fma_f32 v[8:9], v[14:15], v[10:11], v[8:9] op_sel_hi:[0,1,1]
	v_lshl_add_u64 v[16:17], v[16:17], 3, s[26:27]
	v_div_scale_f32 v1, s[26:27], v7, v7, v9
	v_rcp_f32_e32 v6, v1
	s_nop 0
	v_fma_f32 v10, -v1, v6, 1.0
	v_fmac_f32_e32 v6, v10, v6
	v_div_scale_f32 v10, vcc, v9, v7, v9
	v_mul_f32_e32 v11, v10, v6
	v_fma_f32 v12, -v1, v11, v10
	v_fmac_f32_e32 v11, v12, v6
	v_fma_f32 v1, -v1, v11, v10
	v_div_fmas_f32 v1, v1, v6, v11
	v_div_fixup_f32 v9, v1, v7, v9
	v_div_scale_f32 v1, s[26:27], v7, v7, v8
	v_rcp_f32_e32 v6, v1
	s_nop 0
	v_fma_f32 v10, -v1, v6, 1.0
	v_fmac_f32_e32 v6, v10, v6
	v_div_scale_f32 v10, vcc, v8, v7, v8
	v_mul_f32_e32 v11, v10, v6
	v_fma_f32 v12, -v1, v11, v10
	v_fmac_f32_e32 v11, v12, v6
	v_fma_f32 v1, -v1, v11, v10
	v_div_fmas_f32 v1, v1, v6, v11
	v_div_fixup_f32 v8, v1, v7, v8
	v_mov_b32_e32 v6, 0
	global_store_dwordx2 v[16:17], v[8:9], off
.LBB25_301:                             ;   in Loop: Header=BB25_14 Depth=1
	s_or_b64 exec, exec, s[4:5]
	s_movk_i32 s4, 0x47
	v_cmp_gt_i32_e32 vcc, s4, v6
	s_mov_b64 s[4:5], -1
	s_and_saveexec_b64 s[26:27], vcc
; %bb.302:                              ;   in Loop: Header=BB25_14 Depth=1
	v_cmp_eq_u32_e32 vcc, 0, v6
	s_orn2_b64 s[4:5], vcc, exec
; %bb.303:                              ;   in Loop: Header=BB25_14 Depth=1
	s_or_b64 exec, exec, s[26:27]
	s_and_b64 exec, exec, s[4:5]
	s_cbranch_execz .LBB25_12
; %bb.304:                              ;   in Loop: Header=BB25_14 Depth=1
	v_add_u32_e32 v1, s62, v134
	v_cmp_gt_i32_e32 vcc, s52, v1
	v_mov_b32_e32 v6, 0x47
	s_and_saveexec_b64 s[4:5], vcc
	s_cbranch_execz .LBB25_306
; %bb.305:                              ;   in Loop: Header=BB25_14 Depth=1
	v_add_u32_e32 v14, 0, v156
	v_add_u32_e32 v12, v118, v156
	ds_read2_b32 v[6:7], v14 offset0:64 offset1:65
	ds_read2st64_b32 v[8:9], v12 offset1:17
	ds_read2st64_b32 v[10:11], v14 offset0:18 offset1:35
	ds_read2st64_b32 v[12:13], v12 offset0:34 offset1:51
	ds_read_b32 v14, v14 offset:13312
	v_readlane_b32 s22, v218, 41
	s_waitcnt lgkmcnt(3)
	v_cvt_f32_f16_e32 v18, v8
	v_cvt_f32_f16_sdwa v19, v8 dst_sel:DWORD dst_unused:UNUSED_PAD src0_sel:WORD_1
	v_cvt_f32_f16_e32 v8, v9
	v_cvt_f32_f16_sdwa v9, v9 dst_sel:DWORD dst_unused:UNUSED_PAD src0_sel:WORD_1
	v_mad_u64_u32 v[16:17], s[26:27], s22, v1, v[54:55]
	v_pk_fma_f32 v[18:19], v[6:7], v[18:19], 0 op_sel_hi:[0,1,0]
	s_waitcnt lgkmcnt(2)
	v_pk_fma_f32 v[8:9], v[10:11], v[8:9], v[18:19] op_sel_hi:[0,1,1]
	s_waitcnt lgkmcnt(1)
	v_cvt_f32_f16_e32 v18, v12
	v_cvt_f32_f16_sdwa v19, v12 dst_sel:DWORD dst_unused:UNUSED_PAD src0_sel:WORD_1
	v_mov_b32_e32 v6, v11
	v_cvt_f32_f16_e32 v10, v13
	v_cvt_f32_f16_sdwa v11, v13 dst_sel:DWORD dst_unused:UNUSED_PAD src0_sel:WORD_1
	v_readlane_b32 s26, v218, 60
	v_pk_fma_f32 v[8:9], v[6:7], v[18:19], v[8:9] op_sel_hi:[0,1,1]
	v_ashrrev_i32_e32 v17, 31, v16
	v_readlane_b32 s27, v218, 61
	s_waitcnt lgkmcnt(0)
	v_pk_fma_f32 v[8:9], v[14:15], v[10:11], v[8:9] op_sel_hi:[0,1,1]
	v_lshl_add_u64 v[16:17], v[16:17], 3, s[26:27]
	v_div_scale_f32 v1, s[26:27], v7, v7, v9
	v_rcp_f32_e32 v6, v1
	s_nop 0
	v_fma_f32 v10, -v1, v6, 1.0
	v_fmac_f32_e32 v6, v10, v6
	v_div_scale_f32 v10, vcc, v9, v7, v9
	v_mul_f32_e32 v11, v10, v6
	v_fma_f32 v12, -v1, v11, v10
	v_fmac_f32_e32 v11, v12, v6
	v_fma_f32 v1, -v1, v11, v10
	v_div_fmas_f32 v1, v1, v6, v11
	v_div_fixup_f32 v9, v1, v7, v9
	v_div_scale_f32 v1, s[26:27], v7, v7, v8
	v_rcp_f32_e32 v6, v1
	s_nop 0
	v_fma_f32 v10, -v1, v6, 1.0
	v_fmac_f32_e32 v6, v10, v6
	v_div_scale_f32 v10, vcc, v8, v7, v8
	v_mul_f32_e32 v11, v10, v6
	v_fma_f32 v12, -v1, v11, v10
	v_fmac_f32_e32 v11, v12, v6
	v_fma_f32 v1, -v1, v11, v10
	v_div_fmas_f32 v1, v1, v6, v11
	v_div_fixup_f32 v8, v1, v7, v8
	v_mov_b32_e32 v6, 0
	global_store_dwordx2 v[16:17], v[8:9], off
.LBB25_306:                             ;   in Loop: Header=BB25_14 Depth=1
	s_or_b64 exec, exec, s[4:5]
	s_movk_i32 s4, 0x47
	v_cmp_gt_i32_e32 vcc, s4, v6
	s_mov_b64 s[4:5], -1
	s_and_saveexec_b64 s[26:27], vcc
; %bb.307:                              ;   in Loop: Header=BB25_14 Depth=1
	v_cmp_eq_u32_e32 vcc, 0, v6
	s_orn2_b64 s[4:5], vcc, exec
; %bb.308:                              ;   in Loop: Header=BB25_14 Depth=1
	s_or_b64 exec, exec, s[26:27]
	s_and_b64 exec, exec, s[4:5]
	s_cbranch_execz .LBB25_12
; %bb.309:                              ;   in Loop: Header=BB25_14 Depth=1
	v_add_u32_e32 v1, s62, v135
	v_cmp_gt_i32_e32 vcc, s52, v1
	v_mov_b32_e32 v6, 0x47
	s_and_saveexec_b64 s[4:5], vcc
	s_cbranch_execz .LBB25_311
; %bb.310:                              ;   in Loop: Header=BB25_14 Depth=1
	v_add_u32_e32 v14, 0, v157
	v_add_u32_e32 v12, v118, v157
	ds_read2_b32 v[6:7], v14 offset0:64 offset1:65
	ds_read2st64_b32 v[8:9], v12 offset1:17
	ds_read2st64_b32 v[10:11], v14 offset0:18 offset1:35
	ds_read2st64_b32 v[12:13], v12 offset0:34 offset1:51
	ds_read_b32 v14, v14 offset:13312
	v_readlane_b32 s22, v218, 41
	s_waitcnt lgkmcnt(3)
	v_cvt_f32_f16_e32 v18, v8
	v_cvt_f32_f16_sdwa v19, v8 dst_sel:DWORD dst_unused:UNUSED_PAD src0_sel:WORD_1
	v_cvt_f32_f16_e32 v8, v9
	v_cvt_f32_f16_sdwa v9, v9 dst_sel:DWORD dst_unused:UNUSED_PAD src0_sel:WORD_1
	v_mad_u64_u32 v[16:17], s[26:27], s22, v1, v[54:55]
	v_pk_fma_f32 v[18:19], v[6:7], v[18:19], 0 op_sel_hi:[0,1,0]
	s_waitcnt lgkmcnt(2)
	v_pk_fma_f32 v[8:9], v[10:11], v[8:9], v[18:19] op_sel_hi:[0,1,1]
	s_waitcnt lgkmcnt(1)
	v_cvt_f32_f16_e32 v18, v12
	v_cvt_f32_f16_sdwa v19, v12 dst_sel:DWORD dst_unused:UNUSED_PAD src0_sel:WORD_1
	v_mov_b32_e32 v6, v11
	v_cvt_f32_f16_e32 v10, v13
	v_cvt_f32_f16_sdwa v11, v13 dst_sel:DWORD dst_unused:UNUSED_PAD src0_sel:WORD_1
	v_readlane_b32 s26, v218, 60
	v_pk_fma_f32 v[8:9], v[6:7], v[18:19], v[8:9] op_sel_hi:[0,1,1]
	v_ashrrev_i32_e32 v17, 31, v16
	v_readlane_b32 s27, v218, 61
	s_waitcnt lgkmcnt(0)
	v_pk_fma_f32 v[8:9], v[14:15], v[10:11], v[8:9] op_sel_hi:[0,1,1]
	v_lshl_add_u64 v[16:17], v[16:17], 3, s[26:27]
	v_div_scale_f32 v1, s[26:27], v7, v7, v9
	v_rcp_f32_e32 v6, v1
	s_nop 0
	v_fma_f32 v10, -v1, v6, 1.0
	v_fmac_f32_e32 v6, v10, v6
	v_div_scale_f32 v10, vcc, v9, v7, v9
	v_mul_f32_e32 v11, v10, v6
	v_fma_f32 v12, -v1, v11, v10
	v_fmac_f32_e32 v11, v12, v6
	v_fma_f32 v1, -v1, v11, v10
	v_div_fmas_f32 v1, v1, v6, v11
	v_div_fixup_f32 v9, v1, v7, v9
	v_div_scale_f32 v1, s[26:27], v7, v7, v8
	v_rcp_f32_e32 v6, v1
	s_nop 0
	v_fma_f32 v10, -v1, v6, 1.0
	v_fmac_f32_e32 v6, v10, v6
	v_div_scale_f32 v10, vcc, v8, v7, v8
	v_mul_f32_e32 v11, v10, v6
	v_fma_f32 v12, -v1, v11, v10
	v_fmac_f32_e32 v11, v12, v6
	v_fma_f32 v1, -v1, v11, v10
	v_div_fmas_f32 v1, v1, v6, v11
	v_div_fixup_f32 v8, v1, v7, v8
	v_mov_b32_e32 v6, 0
	global_store_dwordx2 v[16:17], v[8:9], off
.LBB25_311:                             ;   in Loop: Header=BB25_14 Depth=1
	s_or_b64 exec, exec, s[4:5]
	s_movk_i32 s4, 0x47
	v_cmp_gt_i32_e32 vcc, s4, v6
	s_mov_b64 s[4:5], -1
	s_and_saveexec_b64 s[26:27], vcc
; %bb.312:                              ;   in Loop: Header=BB25_14 Depth=1
	v_cmp_eq_u32_e32 vcc, 0, v6
	s_orn2_b64 s[4:5], vcc, exec
; %bb.313:                              ;   in Loop: Header=BB25_14 Depth=1
	s_or_b64 exec, exec, s[26:27]
	s_and_b64 exec, exec, s[4:5]
	s_cbranch_execz .LBB25_12
; %bb.314:                              ;   in Loop: Header=BB25_14 Depth=1
	v_add_u32_e32 v1, s62, v136
	v_cmp_gt_i32_e32 vcc, s52, v1
	v_mov_b32_e32 v6, 0x47
	s_and_saveexec_b64 s[4:5], vcc
	s_cbranch_execz .LBB25_316
; %bb.315:                              ;   in Loop: Header=BB25_14 Depth=1
	v_add_u32_e32 v14, 0, v158
	v_add_u32_e32 v12, v118, v158
	ds_read2_b32 v[6:7], v14 offset0:64 offset1:65
	ds_read2st64_b32 v[8:9], v12 offset1:17
	ds_read2st64_b32 v[10:11], v14 offset0:18 offset1:35
	ds_read2st64_b32 v[12:13], v12 offset0:34 offset1:51
	ds_read_b32 v14, v14 offset:13312
	v_readlane_b32 s22, v218, 41
	s_waitcnt lgkmcnt(3)
	v_cvt_f32_f16_e32 v18, v8
	v_cvt_f32_f16_sdwa v19, v8 dst_sel:DWORD dst_unused:UNUSED_PAD src0_sel:WORD_1
	v_cvt_f32_f16_e32 v8, v9
	v_cvt_f32_f16_sdwa v9, v9 dst_sel:DWORD dst_unused:UNUSED_PAD src0_sel:WORD_1
	v_mad_u64_u32 v[16:17], s[26:27], s22, v1, v[54:55]
	v_pk_fma_f32 v[18:19], v[6:7], v[18:19], 0 op_sel_hi:[0,1,0]
	s_waitcnt lgkmcnt(2)
	v_pk_fma_f32 v[8:9], v[10:11], v[8:9], v[18:19] op_sel_hi:[0,1,1]
	s_waitcnt lgkmcnt(1)
	v_cvt_f32_f16_e32 v18, v12
	v_cvt_f32_f16_sdwa v19, v12 dst_sel:DWORD dst_unused:UNUSED_PAD src0_sel:WORD_1
	v_mov_b32_e32 v6, v11
	v_cvt_f32_f16_e32 v10, v13
	v_cvt_f32_f16_sdwa v11, v13 dst_sel:DWORD dst_unused:UNUSED_PAD src0_sel:WORD_1
	v_readlane_b32 s26, v218, 60
	v_pk_fma_f32 v[8:9], v[6:7], v[18:19], v[8:9] op_sel_hi:[0,1,1]
	v_ashrrev_i32_e32 v17, 31, v16
	v_readlane_b32 s27, v218, 61
	s_waitcnt lgkmcnt(0)
	v_pk_fma_f32 v[8:9], v[14:15], v[10:11], v[8:9] op_sel_hi:[0,1,1]
	v_lshl_add_u64 v[16:17], v[16:17], 3, s[26:27]
	v_div_scale_f32 v1, s[26:27], v7, v7, v9
	v_rcp_f32_e32 v6, v1
	s_nop 0
	v_fma_f32 v10, -v1, v6, 1.0
	v_fmac_f32_e32 v6, v10, v6
	v_div_scale_f32 v10, vcc, v9, v7, v9
	v_mul_f32_e32 v11, v10, v6
	v_fma_f32 v12, -v1, v11, v10
	v_fmac_f32_e32 v11, v12, v6
	v_fma_f32 v1, -v1, v11, v10
	v_div_fmas_f32 v1, v1, v6, v11
	v_div_fixup_f32 v9, v1, v7, v9
	v_div_scale_f32 v1, s[26:27], v7, v7, v8
	v_rcp_f32_e32 v6, v1
	s_nop 0
	v_fma_f32 v10, -v1, v6, 1.0
	v_fmac_f32_e32 v6, v10, v6
	v_div_scale_f32 v10, vcc, v8, v7, v8
	v_mul_f32_e32 v11, v10, v6
	v_fma_f32 v12, -v1, v11, v10
	v_fmac_f32_e32 v11, v12, v6
	v_fma_f32 v1, -v1, v11, v10
	v_div_fmas_f32 v1, v1, v6, v11
	v_div_fixup_f32 v8, v1, v7, v8
	v_mov_b32_e32 v6, 0
	global_store_dwordx2 v[16:17], v[8:9], off
.LBB25_316:                             ;   in Loop: Header=BB25_14 Depth=1
	s_or_b64 exec, exec, s[4:5]
	s_movk_i32 s4, 0x47
	v_cmp_gt_i32_e32 vcc, s4, v6
	s_mov_b64 s[4:5], -1
	s_and_saveexec_b64 s[26:27], vcc
; %bb.317:                              ;   in Loop: Header=BB25_14 Depth=1
	v_cmp_eq_u32_e32 vcc, 0, v6
	s_orn2_b64 s[4:5], vcc, exec
; %bb.318:                              ;   in Loop: Header=BB25_14 Depth=1
	s_or_b64 exec, exec, s[26:27]
	s_and_b64 exec, exec, s[4:5]
	s_cbranch_execz .LBB25_12
; %bb.319:                              ;   in Loop: Header=BB25_14 Depth=1
	v_add_u32_e32 v1, s62, v137
	v_cmp_gt_i32_e32 vcc, s52, v1
	v_mov_b32_e32 v6, 0x47
	s_and_saveexec_b64 s[4:5], vcc
	s_cbranch_execz .LBB25_321
; %bb.320:                              ;   in Loop: Header=BB25_14 Depth=1
	v_add_u32_e32 v14, 0, v159
	v_add_u32_e32 v12, v118, v159
	ds_read2_b32 v[6:7], v14 offset0:64 offset1:65
	ds_read2st64_b32 v[8:9], v12 offset1:17
	ds_read2st64_b32 v[10:11], v14 offset0:18 offset1:35
	ds_read2st64_b32 v[12:13], v12 offset0:34 offset1:51
	ds_read_b32 v14, v14 offset:13312
	v_readlane_b32 s22, v218, 41
	s_waitcnt lgkmcnt(3)
	v_cvt_f32_f16_e32 v18, v8
	v_cvt_f32_f16_sdwa v19, v8 dst_sel:DWORD dst_unused:UNUSED_PAD src0_sel:WORD_1
	v_cvt_f32_f16_e32 v8, v9
	v_cvt_f32_f16_sdwa v9, v9 dst_sel:DWORD dst_unused:UNUSED_PAD src0_sel:WORD_1
	v_mad_u64_u32 v[16:17], s[26:27], s22, v1, v[54:55]
	v_pk_fma_f32 v[18:19], v[6:7], v[18:19], 0 op_sel_hi:[0,1,0]
	s_waitcnt lgkmcnt(2)
	v_pk_fma_f32 v[8:9], v[10:11], v[8:9], v[18:19] op_sel_hi:[0,1,1]
	s_waitcnt lgkmcnt(1)
	v_cvt_f32_f16_e32 v18, v12
	v_cvt_f32_f16_sdwa v19, v12 dst_sel:DWORD dst_unused:UNUSED_PAD src0_sel:WORD_1
	v_mov_b32_e32 v6, v11
	v_cvt_f32_f16_e32 v10, v13
	v_cvt_f32_f16_sdwa v11, v13 dst_sel:DWORD dst_unused:UNUSED_PAD src0_sel:WORD_1
	v_readlane_b32 s26, v218, 60
	v_pk_fma_f32 v[8:9], v[6:7], v[18:19], v[8:9] op_sel_hi:[0,1,1]
	v_ashrrev_i32_e32 v17, 31, v16
	v_readlane_b32 s27, v218, 61
	s_waitcnt lgkmcnt(0)
	v_pk_fma_f32 v[8:9], v[14:15], v[10:11], v[8:9] op_sel_hi:[0,1,1]
	v_lshl_add_u64 v[16:17], v[16:17], 3, s[26:27]
	v_div_scale_f32 v1, s[26:27], v7, v7, v9
	v_rcp_f32_e32 v6, v1
	s_nop 0
	v_fma_f32 v10, -v1, v6, 1.0
	v_fmac_f32_e32 v6, v10, v6
	v_div_scale_f32 v10, vcc, v9, v7, v9
	v_mul_f32_e32 v11, v10, v6
	v_fma_f32 v12, -v1, v11, v10
	v_fmac_f32_e32 v11, v12, v6
	v_fma_f32 v1, -v1, v11, v10
	v_div_fmas_f32 v1, v1, v6, v11
	v_div_fixup_f32 v9, v1, v7, v9
	v_div_scale_f32 v1, s[26:27], v7, v7, v8
	v_rcp_f32_e32 v6, v1
	s_nop 0
	v_fma_f32 v10, -v1, v6, 1.0
	v_fmac_f32_e32 v6, v10, v6
	v_div_scale_f32 v10, vcc, v8, v7, v8
	v_mul_f32_e32 v11, v10, v6
	v_fma_f32 v12, -v1, v11, v10
	v_fmac_f32_e32 v11, v12, v6
	v_fma_f32 v1, -v1, v11, v10
	v_div_fmas_f32 v1, v1, v6, v11
	v_div_fixup_f32 v8, v1, v7, v8
	v_mov_b32_e32 v6, 0
	global_store_dwordx2 v[16:17], v[8:9], off
.LBB25_321:                             ;   in Loop: Header=BB25_14 Depth=1
	s_or_b64 exec, exec, s[4:5]
	s_movk_i32 s4, 0x47
	v_cmp_gt_i32_e32 vcc, s4, v6
	s_mov_b64 s[4:5], -1
	s_and_saveexec_b64 s[26:27], vcc
; %bb.322:                              ;   in Loop: Header=BB25_14 Depth=1
	v_cmp_eq_u32_e32 vcc, 0, v6
	s_orn2_b64 s[4:5], vcc, exec
; %bb.323:                              ;   in Loop: Header=BB25_14 Depth=1
	s_or_b64 exec, exec, s[26:27]
	s_and_b64 exec, exec, s[4:5]
	s_cbranch_execz .LBB25_12
; %bb.324:                              ;   in Loop: Header=BB25_14 Depth=1
	v_add_u32_e32 v1, s62, v138
	v_cmp_gt_i32_e32 vcc, s52, v1
	v_mov_b32_e32 v6, 0x47
	s_and_saveexec_b64 s[4:5], vcc
	s_cbranch_execz .LBB25_326
; %bb.325:                              ;   in Loop: Header=BB25_14 Depth=1
	v_add_u32_e32 v14, 0, v160
	v_add_u32_e32 v12, v118, v160
	ds_read2_b32 v[6:7], v14 offset0:64 offset1:65
	ds_read2st64_b32 v[8:9], v12 offset1:17
	ds_read2st64_b32 v[10:11], v14 offset0:18 offset1:35
	ds_read2st64_b32 v[12:13], v12 offset0:34 offset1:51
	ds_read_b32 v14, v14 offset:13312
	v_readlane_b32 s22, v218, 41
	s_waitcnt lgkmcnt(3)
	v_cvt_f32_f16_e32 v18, v8
	v_cvt_f32_f16_sdwa v19, v8 dst_sel:DWORD dst_unused:UNUSED_PAD src0_sel:WORD_1
	v_cvt_f32_f16_e32 v8, v9
	v_cvt_f32_f16_sdwa v9, v9 dst_sel:DWORD dst_unused:UNUSED_PAD src0_sel:WORD_1
	v_mad_u64_u32 v[16:17], s[26:27], s22, v1, v[54:55]
	v_pk_fma_f32 v[18:19], v[6:7], v[18:19], 0 op_sel_hi:[0,1,0]
	s_waitcnt lgkmcnt(2)
	v_pk_fma_f32 v[8:9], v[10:11], v[8:9], v[18:19] op_sel_hi:[0,1,1]
	s_waitcnt lgkmcnt(1)
	v_cvt_f32_f16_e32 v18, v12
	v_cvt_f32_f16_sdwa v19, v12 dst_sel:DWORD dst_unused:UNUSED_PAD src0_sel:WORD_1
	v_mov_b32_e32 v6, v11
	v_cvt_f32_f16_e32 v10, v13
	v_cvt_f32_f16_sdwa v11, v13 dst_sel:DWORD dst_unused:UNUSED_PAD src0_sel:WORD_1
	v_readlane_b32 s26, v218, 60
	v_pk_fma_f32 v[8:9], v[6:7], v[18:19], v[8:9] op_sel_hi:[0,1,1]
	v_ashrrev_i32_e32 v17, 31, v16
	v_readlane_b32 s27, v218, 61
	s_waitcnt lgkmcnt(0)
	v_pk_fma_f32 v[8:9], v[14:15], v[10:11], v[8:9] op_sel_hi:[0,1,1]
	v_lshl_add_u64 v[16:17], v[16:17], 3, s[26:27]
	v_div_scale_f32 v1, s[26:27], v7, v7, v9
	v_rcp_f32_e32 v6, v1
	s_nop 0
	v_fma_f32 v10, -v1, v6, 1.0
	v_fmac_f32_e32 v6, v10, v6
	v_div_scale_f32 v10, vcc, v9, v7, v9
	v_mul_f32_e32 v11, v10, v6
	v_fma_f32 v12, -v1, v11, v10
	v_fmac_f32_e32 v11, v12, v6
	v_fma_f32 v1, -v1, v11, v10
	v_div_fmas_f32 v1, v1, v6, v11
	v_div_fixup_f32 v9, v1, v7, v9
	v_div_scale_f32 v1, s[26:27], v7, v7, v8
	v_rcp_f32_e32 v6, v1
	s_nop 0
	v_fma_f32 v10, -v1, v6, 1.0
	v_fmac_f32_e32 v6, v10, v6
	v_div_scale_f32 v10, vcc, v8, v7, v8
	v_mul_f32_e32 v11, v10, v6
	v_fma_f32 v12, -v1, v11, v10
	v_fmac_f32_e32 v11, v12, v6
	v_fma_f32 v1, -v1, v11, v10
	v_div_fmas_f32 v1, v1, v6, v11
	v_div_fixup_f32 v8, v1, v7, v8
	v_mov_b32_e32 v6, 0
	global_store_dwordx2 v[16:17], v[8:9], off
.LBB25_326:                             ;   in Loop: Header=BB25_14 Depth=1
	s_or_b64 exec, exec, s[4:5]
	s_movk_i32 s4, 0x47
	v_cmp_gt_i32_e32 vcc, s4, v6
	s_mov_b64 s[4:5], -1
	s_and_saveexec_b64 s[26:27], vcc
; %bb.327:                              ;   in Loop: Header=BB25_14 Depth=1
	v_cmp_eq_u32_e32 vcc, 0, v6
	s_orn2_b64 s[4:5], vcc, exec
; %bb.328:                              ;   in Loop: Header=BB25_14 Depth=1
	s_or_b64 exec, exec, s[26:27]
	s_and_b64 exec, exec, s[4:5]
	s_cbranch_execz .LBB25_12
; %bb.329:                              ;   in Loop: Header=BB25_14 Depth=1
	v_add_u32_e32 v1, s62, v139
	v_cmp_gt_i32_e32 vcc, s52, v1
	v_mov_b32_e32 v6, 0x47
	s_and_saveexec_b64 s[4:5], vcc
	s_cbranch_execz .LBB25_331
; %bb.330:                              ;   in Loop: Header=BB25_14 Depth=1
	v_add_u32_e32 v14, 0, v161
	v_add_u32_e32 v12, v118, v161
	ds_read2_b32 v[6:7], v14 offset0:64 offset1:65
	ds_read2st64_b32 v[8:9], v12 offset1:17
	ds_read2st64_b32 v[10:11], v14 offset0:18 offset1:35
	ds_read2st64_b32 v[12:13], v12 offset0:34 offset1:51
	ds_read_b32 v14, v14 offset:13312
	v_readlane_b32 s22, v218, 41
	s_waitcnt lgkmcnt(3)
	v_cvt_f32_f16_e32 v18, v8
	v_cvt_f32_f16_sdwa v19, v8 dst_sel:DWORD dst_unused:UNUSED_PAD src0_sel:WORD_1
	v_cvt_f32_f16_e32 v8, v9
	v_cvt_f32_f16_sdwa v9, v9 dst_sel:DWORD dst_unused:UNUSED_PAD src0_sel:WORD_1
	v_mad_u64_u32 v[16:17], s[26:27], s22, v1, v[54:55]
	v_pk_fma_f32 v[18:19], v[6:7], v[18:19], 0 op_sel_hi:[0,1,0]
	s_waitcnt lgkmcnt(2)
	v_pk_fma_f32 v[8:9], v[10:11], v[8:9], v[18:19] op_sel_hi:[0,1,1]
	s_waitcnt lgkmcnt(1)
	v_cvt_f32_f16_e32 v18, v12
	v_cvt_f32_f16_sdwa v19, v12 dst_sel:DWORD dst_unused:UNUSED_PAD src0_sel:WORD_1
	v_mov_b32_e32 v6, v11
	v_cvt_f32_f16_e32 v10, v13
	v_cvt_f32_f16_sdwa v11, v13 dst_sel:DWORD dst_unused:UNUSED_PAD src0_sel:WORD_1
	v_readlane_b32 s26, v218, 60
	v_pk_fma_f32 v[8:9], v[6:7], v[18:19], v[8:9] op_sel_hi:[0,1,1]
	v_ashrrev_i32_e32 v17, 31, v16
	v_readlane_b32 s27, v218, 61
	s_waitcnt lgkmcnt(0)
	v_pk_fma_f32 v[8:9], v[14:15], v[10:11], v[8:9] op_sel_hi:[0,1,1]
	v_lshl_add_u64 v[16:17], v[16:17], 3, s[26:27]
	v_div_scale_f32 v1, s[26:27], v7, v7, v9
	v_rcp_f32_e32 v6, v1
	s_nop 0
	v_fma_f32 v10, -v1, v6, 1.0
	v_fmac_f32_e32 v6, v10, v6
	v_div_scale_f32 v10, vcc, v9, v7, v9
	v_mul_f32_e32 v11, v10, v6
	v_fma_f32 v12, -v1, v11, v10
	v_fmac_f32_e32 v11, v12, v6
	v_fma_f32 v1, -v1, v11, v10
	v_div_fmas_f32 v1, v1, v6, v11
	v_div_fixup_f32 v9, v1, v7, v9
	v_div_scale_f32 v1, s[26:27], v7, v7, v8
	v_rcp_f32_e32 v6, v1
	s_nop 0
	v_fma_f32 v10, -v1, v6, 1.0
	v_fmac_f32_e32 v6, v10, v6
	v_div_scale_f32 v10, vcc, v8, v7, v8
	v_mul_f32_e32 v11, v10, v6
	v_fma_f32 v12, -v1, v11, v10
	v_fmac_f32_e32 v11, v12, v6
	v_fma_f32 v1, -v1, v11, v10
	v_div_fmas_f32 v1, v1, v6, v11
	v_div_fixup_f32 v8, v1, v7, v8
	v_mov_b32_e32 v6, 0
	global_store_dwordx2 v[16:17], v[8:9], off
.LBB25_331:                             ;   in Loop: Header=BB25_14 Depth=1
	s_or_b64 exec, exec, s[4:5]
	s_movk_i32 s4, 0x47
	v_cmp_gt_i32_e32 vcc, s4, v6
	s_mov_b64 s[4:5], -1
	s_and_saveexec_b64 s[26:27], vcc
; %bb.332:                              ;   in Loop: Header=BB25_14 Depth=1
	v_cmp_eq_u32_e32 vcc, 0, v6
	s_orn2_b64 s[4:5], vcc, exec
; %bb.333:                              ;   in Loop: Header=BB25_14 Depth=1
	s_or_b64 exec, exec, s[26:27]
	s_and_b64 exec, exec, s[4:5]
	s_cbranch_execz .LBB25_12
; %bb.334:                              ;   in Loop: Header=BB25_14 Depth=1
	v_add_u32_e32 v1, s62, v140
	v_cmp_gt_i32_e32 vcc, s52, v1
	s_and_b64 exec, exec, vcc
	s_cbranch_execz .LBB25_12
; %bb.335:                              ;   in Loop: Header=BB25_14 Depth=1
	v_add_u32_e32 v14, 0, v162
	v_add_u32_e32 v12, v118, v162
	ds_read2_b32 v[6:7], v14 offset0:64 offset1:65
	ds_read2st64_b32 v[8:9], v12 offset1:17
	ds_read2st64_b32 v[10:11], v14 offset0:18 offset1:35
	ds_read2st64_b32 v[12:13], v12 offset0:34 offset1:51
	ds_read_b32 v14, v14 offset:13312
	v_readlane_b32 s4, v218, 41
	s_waitcnt lgkmcnt(3)
	v_cvt_f32_f16_e32 v18, v8
	v_cvt_f32_f16_sdwa v19, v8 dst_sel:DWORD dst_unused:UNUSED_PAD src0_sel:WORD_1
	v_cvt_f32_f16_e32 v8, v9
	v_cvt_f32_f16_sdwa v9, v9 dst_sel:DWORD dst_unused:UNUSED_PAD src0_sel:WORD_1
	v_mad_u64_u32 v[16:17], s[4:5], s4, v1, v[54:55]
	v_pk_fma_f32 v[18:19], v[6:7], v[18:19], 0 op_sel_hi:[0,1,0]
	s_waitcnt lgkmcnt(2)
	v_pk_fma_f32 v[8:9], v[10:11], v[8:9], v[18:19] op_sel_hi:[0,1,1]
	s_waitcnt lgkmcnt(1)
	v_cvt_f32_f16_e32 v18, v12
	v_cvt_f32_f16_sdwa v19, v12 dst_sel:DWORD dst_unused:UNUSED_PAD src0_sel:WORD_1
	v_mov_b32_e32 v6, v11
	v_cvt_f32_f16_e32 v10, v13
	v_cvt_f32_f16_sdwa v11, v13 dst_sel:DWORD dst_unused:UNUSED_PAD src0_sel:WORD_1
	v_readlane_b32 s4, v218, 60
	v_pk_fma_f32 v[8:9], v[6:7], v[18:19], v[8:9] op_sel_hi:[0,1,1]
	v_ashrrev_i32_e32 v17, 31, v16
	v_readlane_b32 s5, v218, 61
	s_waitcnt lgkmcnt(0)
	v_pk_fma_f32 v[8:9], v[14:15], v[10:11], v[8:9] op_sel_hi:[0,1,1]
	v_lshl_add_u64 v[16:17], v[16:17], 3, s[4:5]
	v_div_scale_f32 v1, s[4:5], v7, v7, v9
	v_rcp_f32_e32 v6, v1
	s_nop 0
	v_fma_f32 v10, -v1, v6, 1.0
	v_fmac_f32_e32 v6, v10, v6
	v_div_scale_f32 v10, vcc, v9, v7, v9
	v_mul_f32_e32 v11, v10, v6
	v_fma_f32 v12, -v1, v11, v10
	v_fmac_f32_e32 v11, v12, v6
	v_fma_f32 v1, -v1, v11, v10
	v_div_fmas_f32 v1, v1, v6, v11
	v_div_fixup_f32 v9, v1, v7, v9
	v_div_scale_f32 v1, s[4:5], v7, v7, v8
	v_rcp_f32_e32 v6, v1
	s_nop 0
	v_fma_f32 v10, -v1, v6, 1.0
	v_fmac_f32_e32 v6, v10, v6
	v_div_scale_f32 v10, vcc, v8, v7, v8
	v_mul_f32_e32 v11, v10, v6
	v_fma_f32 v12, -v1, v11, v10
	v_fmac_f32_e32 v11, v12, v6
	v_fma_f32 v1, -v1, v11, v10
	v_div_fmas_f32 v1, v1, v6, v11
	v_div_fixup_f32 v8, v1, v7, v8
	global_store_dwordx2 v[16:17], v[8:9], off
	s_branch .LBB25_12
.LBB25_336:                             ;   in Loop: Header=BB25_14 Depth=1
                                        ; implicit-def: $vgpr6_vgpr7_vgpr8_vgpr9
	s_branch .LBB25_90
.LBB25_337:                             ;   in Loop: Header=BB25_14 Depth=1
                                        ; implicit-def: $vgpr6_vgpr7_vgpr8_vgpr9
	s_branch .LBB25_249
.LBB25_338:
	v_readlane_b32 s12, v218, 26
	v_readlane_b32 s60, v218, 38
	;; [unrolled: 1-line block ×10, first 2 shown]
	s_andn2_b64 vcc, exec, s[4:5]
	s_cbranch_vccnz .LBB25_10
.LBB25_339:
	v_readlane_b32 s7, v218, 7
	s_abs_i32 s0, s7
	v_cvt_f32_u32_e32 v1, s0
	s_sub_i32 s3, 0, s0
	s_abs_i32 s2, s80
	s_xor_b32 s1, s80, s7
	v_rcp_iflag_f32_e32 v1, v1
	s_ashr_i32 s1, s1, 31
	v_readlane_b32 s8, v218, 6
	v_readlane_b32 s9, v218, 3
	v_mul_f32_e32 v1, 0x4f7ffffe, v1
	v_cvt_u32_f32_e32 v1, v1
	s_nop 0
	v_readfirstlane_b32 s4, v1
	s_mul_i32 s3, s3, s4
	s_mul_hi_u32 s3, s4, s3
	s_add_i32 s4, s4, s3
	s_mul_hi_u32 s3, s2, s4
	s_mul_i32 s4, s3, s0
	s_sub_i32 s2, s2, s4
	s_add_i32 s5, s3, 1
	s_sub_i32 s4, s2, s0
	s_cmp_ge_u32 s2, s0
	s_cselect_b32 s3, s5, s3
	s_cselect_b32 s2, s4, s2
	s_add_i32 s4, s3, 1
	s_cmp_ge_u32 s2, s0
	s_cselect_b32 s0, s4, s3
	s_abs_i32 s2, s8
	v_cvt_f32_u32_e32 v1, s2
	s_xor_b32 s0, s0, s1
	s_sub_i32 s3, 0, s2
	s_sub_i32 s6, s0, s1
	v_rcp_iflag_f32_e32 v1, v1
	s_mul_i32 s0, s6, s7
	s_sub_i32 s0, s80, s0
	s_abs_i32 s4, s0
	v_mul_f32_e32 v1, 0x4f7ffffe, v1
	v_cvt_u32_f32_e32 v1, v1
	s_xor_b32 s1, s0, s8
	s_ashr_i32 s1, s1, 31
	v_readfirstlane_b32 s5, v1
	s_mul_i32 s3, s3, s5
	s_mul_hi_u32 s3, s5, s3
	s_add_i32 s5, s5, s3
	s_mul_hi_u32 s3, s4, s5
	s_mul_i32 s5, s3, s2
	s_sub_i32 s4, s4, s5
	s_add_i32 s7, s3, 1
	s_sub_i32 s5, s4, s2
	s_cmp_ge_u32 s4, s2
	s_cselect_b32 s3, s7, s3
	s_cselect_b32 s4, s5, s4
	s_add_i32 s5, s3, 1
	s_cmp_ge_u32 s4, s2
	s_cselect_b32 s2, s5, s3
	s_abs_i32 s3, s9
	v_cvt_f32_u32_e32 v1, s3
	s_xor_b32 s2, s2, s1
	s_sub_i32 s4, 0, s3
	s_sub_i32 s7, s2, s1
	v_rcp_iflag_f32_e32 v1, v1
	s_mul_i32 s1, s7, s8
	s_sub_i32 s1, s0, s1
	s_abs_i32 s2, s1
	v_mul_f32_e32 v1, 0x4f7ffffe, v1
	v_cvt_u32_f32_e32 v1, v1
	s_xor_b32 s0, s1, s9
	s_ashr_i32 s0, s0, 31
	v_readfirstlane_b32 s5, v1
	s_mul_i32 s4, s4, s5
	s_mul_hi_u32 s4, s5, s4
	s_add_i32 s5, s5, s4
	s_mul_hi_u32 s4, s2, s5
	s_mul_i32 s5, s4, s3
	s_sub_i32 s2, s2, s5
	s_add_i32 s8, s4, 1
	s_sub_i32 s5, s2, s3
	s_cmp_ge_u32 s2, s3
	s_cselect_b32 s4, s8, s4
	s_cselect_b32 s2, s5, s2
	s_add_i32 s5, s4, 1
	s_cmp_ge_u32 s2, s3
	s_cselect_b32 s2, s5, s4
	s_xor_b32 s2, s2, s0
	s_sub_i32 s0, s2, s0
	s_mul_i32 s2, s0, s9
	s_sub_i32 s1, s1, s2
	s_abs_i32 s10, s1
	s_ashr_i32 s8, s6, 31
	s_mul_hi_u32 s9, s10, s33
	s_cmp_eq_u64 s[42:43], 0
	s_mov_b64 s[2:3], 0
	s_cbranch_scc1 .LBB25_341
; %bb.340:
	s_abs_i32 s2, s16
	v_cvt_f32_u32_e32 v1, s2
	s_sub_i32 s4, 0, s2
	s_abs_i32 s3, s6
	v_readlane_b32 s16, v218, 14
	v_rcp_iflag_f32_e32 v1, v1
	v_readlane_b32 s17, v218, 15
	v_mul_f32_e32 v1, 0x4f7ffffe, v1
	v_cvt_u32_f32_e32 v1, v1
	s_nop 0
	v_readfirstlane_b32 s5, v1
	s_mul_i32 s4, s4, s5
	s_mul_hi_u32 s4, s5, s4
	s_add_i32 s5, s5, s4
	s_mul_hi_u32 s4, s3, s5
	s_mul_i32 s4, s4, s2
	s_sub_i32 s3, s3, s4
	s_sub_i32 s4, s3, s2
	s_cmp_ge_u32 s3, s2
	s_cselect_b32 s3, s4, s3
	s_sub_i32 s4, s3, s2
	s_cmp_ge_u32 s3, s2
	s_cselect_b32 s2, s4, s3
	s_xor_b32 s2, s2, s8
	s_sub_i32 s2, s2, s8
	s_ashr_i32 s3, s2, 31
	s_mul_hi_u32 s4, s16, s2
	s_mul_i32 s3, s16, s3
	s_mul_i32 s5, s17, s2
	s_add_i32 s3, s4, s3
	s_add_i32 s3, s3, s5
	s_mul_i32 s2, s16, s2
	s_add_u32 s2, s42, s2
	s_addc_u32 s3, s43, s3
.LBB25_341:
	s_ashr_i32 s12, s1, 31
	v_readlane_b32 s1, v218, 2
	s_mul_i32 s11, s7, s1
	s_add_i32 s11, s11, s0
	v_cmp_le_f32_e64 s[0:1], s13, 0
	s_and_b64 vcc, exec, s[0:1]
	v_mov_b32_e32 v28, 1.0
	s_cbranch_vccnz .LBB25_343
; %bb.342:
	v_mov_b32_e32 v1, s64
	v_sub_co_u32_e32 v1, vcc, s11, v1
	v_mov_b32_e32 v2, s15
	v_mov_b32_e32 v3, s14
	s_add_i32 s0, s11, 1
	v_lshlrev_b32_e32 v1, 1, v1
	v_cndmask_b32_e32 v2, v2, v3, vcc
	v_or_b32_e32 v1, 1, v1
	v_mov_b32_e32 v3, s0
	v_cndmask_b32_e32 v1, v1, v3, vcc
	v_cvt_f32_i32_e32 v1, v1
	v_cmp_neq_f32_e32 vcc, 1.0, v2
	s_mov_b32 s0, 0x3f2aaaab
	s_movk_i32 s4, 0x204
	v_cndmask_b32_e32 v1, 1.0, v1, vcc
	v_cmp_neq_f32_e32 vcc, 0, v1
	s_mov_b32 s1, 0x42b17218
	s_mov_b32 s5, 0x3fb8aa3b
	v_cndmask_b32_e32 v18, 1.0, v2, vcc
	v_frexp_mant_f32_e64 v2, |v18|
	v_cmp_gt_f32_e32 vcc, s0, v2
	s_mov_b32 s0, 0x3f317218
	s_brev_b32 s13, -2
	v_cndmask_b32_e64 v3, 1.0, 2.0, vcc
	v_mul_f32_e32 v2, v2, v3
	v_add_f32_e32 v5, 1.0, v2
	v_rcp_f32_e32 v10, v5
	v_add_f32_e32 v3, -1.0, v5
	v_sub_f32_e32 v7, v2, v3
	v_add_f32_e32 v3, -1.0, v2
	v_mul_f32_e32 v11, v3, v10
	v_mul_f32_e32 v4, v5, v11
	v_fma_f32 v6, v11, v5, -v4
	v_fmac_f32_e32 v6, v11, v7
	v_add_f32_e32 v2, v4, v6
	v_sub_f32_e32 v5, v3, v2
	v_pk_add_f32 v[8:9], v[2:3], v[4:5] neg_lo:[0,1] neg_hi:[0,1]
	v_mov_b32_e32 v7, v2
	v_pk_add_f32 v[2:3], v[8:9], v[6:7] neg_lo:[0,1] neg_hi:[0,1]
	v_mov_b32_e32 v6, 0x3e91f4c4
	v_add_f32_e32 v2, v2, v3
	v_add_f32_e32 v2, v5, v2
	v_mul_f32_e32 v3, v10, v2
	v_add_f32_e32 v2, v11, v3
	v_sub_f32_e32 v4, v2, v11
	v_sub_f32_e32 v12, v3, v4
	v_mul_f32_e32 v3, v2, v2
	v_fma_f32 v5, v2, v2, -v3
	v_add_f32_e32 v4, v12, v12
	v_fmac_f32_e32 v5, v2, v4
	v_add_f32_e32 v4, v3, v5
	v_fmac_f32_e32 v6, 0x3e76c4e1, v4
	v_fmaak_f32 v6, v4, v6, 0x3ecccdef
	v_sub_f32_e32 v3, v4, v3
	v_sub_f32_e32 v13, v5, v3
	v_mul_f32_e32 v3, v4, v6
	v_fma_f32 v5, v4, v6, -v3
	v_fmac_f32_e32 v5, v13, v6
	v_add_f32_e32 v6, v3, v5
	v_add_f32_e32 v7, 0x3f2aaaaa, v6
	v_sub_f32_e32 v3, v6, v3
	v_sub_f32_e32 v3, v5, v3
	v_add_f32_e32 v5, 0xbf2aaaaa, v7
	v_add_f32_e32 v3, 0x31739010, v3
	v_sub_f32_e32 v5, v6, v5
	v_pk_mul_f32 v[8:9], v[2:3], v[4:5]
	v_pk_add_f32 v[10:11], v[2:3], v[4:5]
	v_fma_f32 v6, v4, v2, -v8
	v_fmac_f32_e32 v6, v4, v12
	v_mov_b32_e32 v9, v11
	v_fmac_f32_e32 v6, v13, v2
	v_pk_add_f32 v[4:5], v[8:9], v[6:7]
	v_ldexp_f32 v14, v12, 1
	v_sub_f32_e32 v3, v4, v8
	v_sub_f32_e32 v3, v6, v3
	;; [unrolled: 1-line block ×3, first 2 shown]
	v_add_f32_e32 v9, v11, v6
	v_pk_mul_f32 v[6:7], v[4:5], v[4:5] op_sel:[0,1] op_sel_hi:[1,0]
	v_cvt_f64_f32_e64 v[10:11], |v18|
	v_frexp_exp_i32_f64_e32 v7, v[10:11]
	v_subbrev_co_u32_e32 v7, vcc, 0, v7, vcc
	v_cvt_f32_i32_e32 v7, v7
	v_fma_f32 v8, v4, v5, -v6
	v_fmac_f32_e32 v8, v4, v9
	v_fmac_f32_e32 v8, v3, v5
	v_mul_f32_e32 v4, 0x3f317218, v7
	v_fma_f32 v3, v7, s0, -v4
	v_fmamk_f32 v10, v7, 0xb102e308, v3
	v_ldexp_f32 v11, v2, 1
	v_add_f32_e32 v5, v6, v8
	v_pk_add_f32 v[2:3], v[4:5], v[10:11]
	v_mov_b32_e32 v12, v5
	v_mov_b32_e32 v13, v3
	;; [unrolled: 1-line block ×3, first 2 shown]
	v_pk_add_f32 v[6:7], v[12:13], v[6:7] neg_lo:[0,1] neg_hi:[0,1]
	v_mov_b32_e32 v9, v5
	v_pk_add_f32 v[6:7], v[8:9], v[6:7] neg_lo:[0,1] neg_hi:[0,1]
	v_mov_b32_e32 v11, v2
	v_add_f32_e32 v5, v14, v6
	v_add_f32_e32 v5, v5, v7
	v_pk_add_f32 v[6:7], v[2:3], v[4:5] neg_lo:[0,1] neg_hi:[0,1]
	v_pk_add_f32 v[8:9], v[2:3], v[4:5]
	v_mov_b32_e32 v16, v3
	v_mov_b32_e32 v7, v9
	v_pk_add_f32 v[12:13], v[10:11], v[6:7] neg_lo:[0,1] neg_hi:[0,1]
	v_pk_add_f32 v[6:7], v[10:11], v[6:7]
	v_mov_b32_e32 v4, v5
	v_pk_add_f32 v[10:11], v[6:7], v[2:3] op_sel:[1,0] op_sel_hi:[0,1] neg_lo:[0,1] neg_hi:[0,1]
	v_pk_add_f32 v[14:15], v[8:9], v[10:11] op_sel_hi:[1,0] neg_lo:[0,1] neg_hi:[0,1]
	v_mov_b32_e32 v8, v9
	v_mov_b32_e32 v9, v7
	;; [unrolled: 1-line block ×3, first 2 shown]
	v_pk_add_f32 v[8:9], v[8:9], v[16:17] neg_lo:[0,1] neg_hi:[0,1]
	v_mov_b32_e32 v5, v2
	v_pk_add_f32 v[2:3], v[4:5], v[8:9] neg_lo:[0,1] neg_hi:[0,1]
	v_mov_b32_e32 v14, v12
	v_pk_add_f32 v[4:5], v[14:15], v[2:3]
	v_mov_b32_e32 v13, v7
	v_pk_add_f32 v[8:9], v[4:5], v[4:5] op_sel:[0,1] op_sel_hi:[1,0]
	s_mov_b32 s0, 0x7f800000
	v_pk_add_f32 v[6:7], v[6:7], v[8:9] op_sel:[1,0] op_sel_hi:[0,1]
	v_mov_b32_e32 v5, v6
	v_pk_add_f32 v[10:11], v[4:5], v[12:13] neg_lo:[0,1] neg_hi:[0,1]
	v_mov_b32_e32 v3, v8
	v_sub_f32_e32 v4, v4, v10
	v_pk_add_f32 v[2:3], v[2:3], v[10:11] neg_lo:[0,1] neg_hi:[0,1]
	v_sub_f32_e32 v4, v12, v4
	v_add_f32_e32 v2, v2, v4
	v_add_f32_e32 v2, v2, v3
	;; [unrolled: 1-line block ×3, first 2 shown]
	v_sub_f32_e32 v4, v3, v6
	v_sub_f32_e32 v2, v2, v4
	v_mul_f32_e32 v4, v1, v3
	v_fma_f32 v3, v1, v3, -v4
	v_fmac_f32_e32 v3, v1, v2
	v_add_f32_e32 v2, v4, v3
	v_cmp_class_f32_e64 vcc, v4, s4
	v_sub_f32_e32 v5, v2, v4
	v_sub_f32_e32 v3, v3, v5
	v_cndmask_b32_e32 v2, v2, v4, vcc
	v_mov_b32_e32 v4, 0x37000000
	v_cmp_eq_f32_e32 vcc, s1, v2
	v_cmp_class_f32_e64 s[14:15], v18, s4
	s_nop 0
	v_cndmask_b32_e32 v4, 0, v4, vcc
	v_sub_f32_e32 v5, v2, v4
	v_mul_f32_e32 v6, 0x3fb8aa3b, v5
	v_fma_f32 v7, v5, s5, -v6
	v_rndne_f32_e32 v8, v6
	v_fmamk_f32 v7, v5, 0x32a5705f, v7
	v_sub_f32_e32 v6, v6, v8
	v_add_f32_e32 v6, v6, v7
	v_exp_f32_e32 v6, v6
	v_cvt_i32_f32_e32 v7, v8
	v_cmp_neq_f32_e64 vcc, |v2|, s0
	s_mov_b32 s0, 0xc2ce8ed0
	s_nop 0
	v_cndmask_b32_e32 v2, 0, v3, vcc
	v_ldexp_f32 v3, v6, v7
	v_cmp_ngt_f32_e32 vcc, s0, v5
	v_add_f32_e32 v2, v4, v2
	v_mov_b32_e32 v4, 0x7f800000
	v_cndmask_b32_e32 v3, 0, v3, vcc
	v_cmp_nlt_f32_e32 vcc, s1, v5
	v_mov_b32_e32 v5, 0x7fc00000
	s_nop 0
	v_cndmask_b32_e32 v3, v4, v3, vcc
	v_fma_f32 v2, v3, v2, v3
	v_cmp_class_f32_e64 vcc, v3, s4
	v_cmp_gt_f32_e64 s[4:5], 0, v1
	s_nop 0
	v_cndmask_b32_e32 v2, v2, v3, vcc
	v_trunc_f32_e32 v3, v1
	v_cmp_eq_f32_e32 vcc, v3, v1
	v_mul_f32_e32 v3, 0.5, v1
	v_trunc_f32_e32 v6, v3
	v_cmp_neq_f32_e64 s[0:1], v6, v3
	s_and_b64 s[0:1], vcc, s[0:1]
	s_nop 0
	v_cndmask_b32_e64 v3, 1.0, v18, s[0:1]
	v_bfi_b32 v2, s13, v2, v3
	v_cndmask_b32_e32 v3, v5, v2, vcc
	v_cmp_gt_f32_e32 vcc, 0, v18
	s_nop 1
	v_cndmask_b32_e32 v2, v2, v3, vcc
	v_cmp_eq_f32_e32 vcc, 0, v18
	s_xor_b64 s[4:5], s[4:5], vcc
	v_cndmask_b32_e64 v1, v4, 0, s[4:5]
	v_cndmask_b32_e64 v3, 0, v18, s[0:1]
	v_bfi_b32 v1, s13, v1, v3
	s_or_b64 vcc, vcc, s[14:15]
	v_cndmask_b32_e32 v1, v2, v1, vcc
	v_cmp_o_f32_e32 vcc, v18, v18
	s_nop 1
	v_cndmask_b32_e32 v28, v5, v1, vcc
.LBB25_343:
	s_mul_i32 s1, s9, s87
	v_readlane_b32 s0, v218, 19
	s_sub_i32 s1, s10, s1
	s_xor_b32 s0, s12, s0
	s_add_i32 s4, s9, 1
	s_sub_i32 s5, s1, s87
	s_cmp_ge_u32 s1, s87
	s_cselect_b32 s4, s4, s9
	s_cselect_b32 s1, s5, s1
	s_add_i32 s5, s4, 1
	s_cmp_ge_u32 s1, s87
	s_cselect_b32 s1, s5, s4
	s_xor_b32 s1, s1, s0
	s_sub_i32 s4, s1, s0
	s_cmp_eq_u64 s[46:47], 0
	v_mov_b32_e32 v16, s82
	s_cbranch_scc1 .LBB25_345
; %bb.344:
	v_readlane_b32 s0, v218, 0
	s_mul_i32 s0, s6, s0
	s_add_i32 s0, s4, s0
	s_ashr_i32 s1, s0, 31
	s_lshl_b64 s[0:1], s[0:1], 2
	s_add_u32 s0, s46, s0
	s_addc_u32 s1, s47, s1
	v_mov_b32_e32 v1, 0
	global_load_dword v1, v1, s[0:1]
	s_waitcnt vmcnt(0)
	v_ashrrev_i32_e32 v2, 31, v1
	v_lshrrev_b32_e32 v2, 26, v2
	v_add_u32_e32 v1, v1, v2
	v_ashrrev_i32_e32 v1, 6, v1
	v_min_i32_e32 v16, s82, v1
.LBB25_345:
	v_readlane_b32 s12, v218, 8
	v_readlane_b32 s13, v218, 9
	s_mul_i32 s0, s6, s13
	s_ashr_i32 s1, s0, 31
	s_add_u32 s0, s36, s0
	s_mul_i32 s11, s11, s12
	s_addc_u32 s1, s37, s1
	s_ashr_i32 s5, s11, 31
	s_add_u32 s0, s0, s11
	s_addc_u32 s1, s1, s5
	s_lshl_b32 s9, s4, 4
	v_and_b32_e32 v32, 0x3ff, v0
	v_add_u32_e32 v86, s9, v113
	s_mov_b32 s10, 0x10001
	v_lshl_add_u32 v33, v32, 2, 0
	v_cmp_le_i32_e32 vcc, s52, v86
	s_and_saveexec_b64 s[4:5], vcc
	s_xor_b64 s[4:5], exec, s[4:5]
; %bb.346:
	s_movk_i32 s11, 0x110
	v_mad_u32_u24 v0, v113, s11, v33
	v_mov_b32_e32 v1, 0
	ds_write_b32 v0, v1
; %bb.347:
	s_or_saveexec_b64 s[4:5], s[4:5]
	v_mul_lo_u32 v0, v117, s10
	s_xor_b64 exec, exec, s[4:5]
	s_cbranch_execz .LBB25_349
; %bb.348:
	v_readlane_b32 s10, v218, 16
	s_nop 1
	v_mad_u64_u32 v[2:3], s[10:11], v86, s10, v[32:33]
	v_ashrrev_i32_e32 v3, 31, v2
	v_lshl_add_u64 v[2:3], v[2:3], 3, s[0:1]
	global_load_dwordx2 v[2:3], v[2:3], off
	s_movk_i32 s10, 0x110
	s_waitcnt vmcnt(0)
	v_cvt_pk_f16_f32 v1, v2, v3
	v_pk_mul_f16 v1, v1, v0
	v_mad_u32_u24 v2, v113, s10, v33
	ds_write_b32 v2, v1
.LBB25_349:
	s_or_b64 exec, exec, s[4:5]
	v_add_u32_e32 v87, s9, v116
	v_cmp_le_i32_e32 vcc, s52, v87
	s_and_saveexec_b64 s[4:5], vcc
	s_xor_b64 s[4:5], exec, s[4:5]
; %bb.350:
	s_movk_i32 s10, 0x110
	v_mad_u32_u24 v1, v116, s10, v33
	v_mov_b32_e32 v2, 0
	ds_write_b32 v1, v2
                                        ; implicit-def: $vgpr116
; %bb.351:
	s_andn2_saveexec_b64 s[4:5], s[4:5]
	s_cbranch_execz .LBB25_353
; %bb.352:
	v_readlane_b32 s10, v218, 16
	s_nop 1
	v_mad_u64_u32 v[2:3], s[10:11], v87, s10, v[32:33]
	v_ashrrev_i32_e32 v3, 31, v2
	v_lshl_add_u64 v[2:3], v[2:3], 3, s[0:1]
	global_load_dwordx2 v[2:3], v[2:3], off
	s_movk_i32 s10, 0x110
	s_waitcnt vmcnt(0)
	v_cvt_pk_f16_f32 v1, v2, v3
	v_pk_mul_f16 v1, v1, v0
	v_mad_u32_u24 v2, v116, s10, v33
	ds_write_b32 v2, v1
.LBB25_353:
	s_or_b64 exec, exec, s[4:5]
	v_add_u32_e32 v88, s9, v59
	v_cmp_le_i32_e32 vcc, s52, v88
	s_and_saveexec_b64 s[4:5], vcc
	s_xor_b64 s[4:5], exec, s[4:5]
; %bb.354:
	s_movk_i32 s10, 0x110
	v_mad_u32_u24 v1, v59, s10, v33
	v_mov_b32_e32 v2, 0
	ds_write_b32 v1, v2
                                        ; implicit-def: $vgpr59
; %bb.355:
	s_andn2_saveexec_b64 s[4:5], s[4:5]
	s_cbranch_execz .LBB25_357
; %bb.356:
	v_readlane_b32 s10, v218, 16
	s_nop 1
	v_mad_u64_u32 v[2:3], s[10:11], v88, s10, v[32:33]
	v_ashrrev_i32_e32 v3, 31, v2
	v_lshl_add_u64 v[2:3], v[2:3], 3, s[0:1]
	global_load_dwordx2 v[2:3], v[2:3], off
	s_movk_i32 s10, 0x110
	s_waitcnt vmcnt(0)
	v_cvt_pk_f16_f32 v1, v2, v3
	v_pk_mul_f16 v1, v1, v0
	v_mad_u32_u24 v2, v59, s10, v33
	ds_write_b32 v2, v1
.LBB25_357:
	s_or_b64 exec, exec, s[4:5]
	v_add_u32_e32 v89, s9, v55
	v_cmp_le_i32_e32 vcc, s52, v89
	s_and_saveexec_b64 s[4:5], vcc
	s_xor_b64 s[4:5], exec, s[4:5]
; %bb.358:
	s_movk_i32 s9, 0x110
	v_mad_u32_u24 v0, v55, s9, v33
	v_mov_b32_e32 v1, 0
	ds_write_b32 v0, v1
                                        ; implicit-def: $vgpr0
                                        ; implicit-def: $vgpr55
; %bb.359:
	s_andn2_saveexec_b64 s[4:5], s[4:5]
	s_cbranch_execz .LBB25_361
; %bb.360:
	v_readlane_b32 s9, v218, 16
	s_nop 1
	v_mad_u64_u32 v[2:3], s[10:11], v89, s9, v[32:33]
	v_ashrrev_i32_e32 v3, 31, v2
	v_lshl_add_u64 v[2:3], v[2:3], 3, s[0:1]
	global_load_dwordx2 v[2:3], v[2:3], off
	s_movk_i32 s0, 0x110
	s_waitcnt vmcnt(0)
	v_cvt_pk_f16_f32 v1, v2, v3
	v_pk_mul_f16 v0, v1, v0
	v_mad_u32_u24 v1, v55, s0, v33
	ds_write_b32 v1, v0
.LBB25_361:
	s_or_b64 exec, exec, s[4:5]
	v_readlane_b32 s4, v218, 12
	v_readlane_b32 s5, v218, 13
	s_mul_i32 s0, s4, s8
	s_mul_hi_u32 s1, s4, s6
	s_add_i32 s0, s1, s0
	s_mul_i32 s1, s5, s6
	s_add_i32 s0, s0, s1
	s_mul_i32 s1, s4, s6
	s_add_u32 s1, s40, s1
	s_mul_i32 s4, s7, s59
	s_addc_u32 s0, s41, s0
	s_ashr_i32 s5, s4, 31
	s_add_u32 s29, s1, s4
	s_addc_u32 s30, s0, s5
	s_mul_i32 s0, s56, s8
	s_mul_hi_u32 s1, s56, s6
	s_add_i32 s0, s1, s0
	s_mul_i32 s1, s57, s6
	v_readlane_b32 s4, v218, 17
	s_add_i32 s0, s0, s1
	s_mul_i32 s1, s56, s6
	v_readlane_b32 s5, v218, 18
	s_add_u32 s1, s38, s1
	s_mul_i32 s7, s7, s5
	s_addc_u32 s0, s39, s0
	s_ashr_i32 s4, s7, 31
	s_add_u32 s31, s1, s7
	v_lshrrev_b32_e32 v1, 3, v32
	s_addc_u32 s33, s0, s4
	v_and_b32_e32 v18, 0xff0, v114
	s_movk_i32 s4, 0x110
	v_and_b32_e32 v64, 15, v32
	v_and_b32_e32 v17, 0x7e, v1
	v_mad_u32_u24 v0, v18, s4, 0
	v_mul_u32_u24_e32 v85, 0x110, v64
	v_lshlrev_b32_e32 v65, 2, v17
	v_add3_u32 v0, v0, v85, v65
	s_waitcnt lgkmcnt(0)
	s_barrier
	ds_read2_b64 v[12:15], v0 offset1:4
	ds_read2_b64 v[8:11], v0 offset0:8 offset1:12
	ds_read2_b64 v[4:7], v0 offset0:16 offset1:20
	;; [unrolled: 1-line block ×3, first 2 shown]
	v_add_u32_e32 v92, -1, v16
	v_cmp_ge_i32_e32 vcc, s28, v92
	s_mov_b32 s34, 0
	s_and_b64 vcc, exec, vcc
	v_or_b32_e32 v84, v18, v64
	v_lshlrev_b32_e32 v30, 1, v32
	v_lshrrev_b32_e32 v91, 4, v32
	v_lshlrev_b32_e32 v90, 2, v32
	v_lshrrev_b32_e32 v83, 2, v32
	v_lshlrev_b32_e32 v66, 1, v64
	s_waitcnt lgkmcnt(0)
	s_barrier
	s_cbranch_vccnz .LBB25_389
; %bb.362:
	v_mov_b32_e32 v35, 0
	v_mov_b32_e32 v31, v35
	v_mul_u32_u24_e32 v16, 0x90, v113
	v_lshl_add_u64 v[36:37], s[2:3], 0, v[30:31]
	v_add3_u32 v31, 0, v16, v30
	v_mul_hi_u32 v16, s70, v86
	v_add_u32_e32 v16, v86, v16
	v_lshrrev_b32_e32 v16, s71, v16
	v_mul_lo_u32 v16, v16, s52
	v_sub_u32_e32 v16, v86, v16
	v_mad_i64_i32 v[38:39], s[6:7], v16, s62, 0
	v_mul_hi_u32 v16, s70, v87
	v_add_u32_e32 v16, v87, v16
	v_lshrrev_b32_e32 v16, s71, v16
	v_mul_lo_u32 v16, v16, s52
	v_sub_u32_e32 v16, v87, v16
	v_mad_i64_i32 v[40:41], s[6:7], v16, s62, 0
	;; [unrolled: 6-line block ×4, first 2 shown]
	v_mbcnt_hi_u32_b32 v16, -1, v115
	v_and_b32_e32 v20, 64, v16
	v_add_u32_e32 v20, 64, v20
	v_xor_b32_e32 v21, 32, v16
	v_cmp_lt_i32_e32 vcc, v21, v20
	s_cmp_lg_u64 s[2:3], 0
	v_and_b32_e32 v18, 48, v112
	v_cndmask_b32_e32 v21, v16, v21, vcc
	v_lshlrev_b32_e32 v96, 2, v21
	v_xor_b32_e32 v21, 16, v16
	v_cmp_lt_i32_e32 vcc, v21, v20
	v_add_u32_e32 v20, v91, v114
	s_cselect_b64 s[24:25], -1, 0
	v_cndmask_b32_e32 v16, v16, v21, vcc
	v_lshlrev_b32_e32 v97, 2, v16
	v_and_b32_e32 v16, 60, v90
	v_mad_u32_u24 v19, v18, s4, 0
	v_mul_u32_u24_e32 v21, 0x110, v20
	v_lshlrev_b32_e32 v22, 2, v16
	v_mul_lo_u32 v46, s68, v20
	s_lshl_b32 s10, s68, 4
	v_add3_u32 v98, 0, v21, v22
	v_add_u32_e32 v48, s10, v46
	v_add_u32_e32 v21, v19, v85
	;; [unrolled: 1-line block ×3, first 2 shown]
	v_lshl_add_u32 v102, v17, 2, v21
	v_lshrrev_b32_e32 v17, 2, v32
	v_add_u32_e32 v52, s10, v50
	v_and_b32_e32 v22, 0xfc, v17
	v_mul_lo_u32 v54, s54, v20
	s_lshl_b32 s10, s54, 4
	v_add_u32_e32 v23, v22, v18
	v_add_u16_e32 v18, v22, v18
	v_add_u32_e32 v56, s10, v54
	v_lshrrev_b16_e32 v18, 1, v18
	v_add_u32_e32 v58, s10, v56
	v_mul_u32_u24_e32 v24, 0x90, v84
	v_lshlrev_b32_e32 v18, 2, v18
	v_add_u32_e32 v60, s10, v58
	s_movk_i32 s10, 0xfef2
	v_or_b32_e32 v17, 3, v17
	s_mov_b64 s[22:23], src_private_base
	v_cmp_gt_u32_e64 s[18:19], 64, v20
	v_cmp_gt_u32_e64 s[4:5], 48, v20
	;; [unrolled: 1-line block ×4, first 2 shown]
	v_add3_u32 v18, 0, v24, v18
	v_mad_i32_i24 v20, v64, s10, v21
	v_mul_u32_u24_e32 v21, 0x110, v22
	v_mul_u32_u24_e32 v17, 0x110, v17
	v_lshlrev_b32_e32 v34, 2, v16
                                        ; implicit-def: $vgpr16
                                        ; implicit-def: $vgpr16
	;; [unrolled: 1-line block ×3, first 2 shown]
	v_cmp_gt_u32_e64 s[0:1], 64, v32
	v_add_u32_e32 v93, 0x240, v31
	v_add_u32_e32 v94, 0x480, v31
	v_add_u32_e32 v95, 0x6c0, v31
	v_ashrrev_i32_e32 v47, 31, v46
	v_add_u32_e32 v99, 0x1100, v98
	v_ashrrev_i32_e32 v49, 31, v48
	v_add_u32_e32 v100, 0x2200, v98
	;; [unrolled: 2-line block ×3, first 2 shown]
	v_ashrrev_i32_e32 v53, 31, v52
	v_ashrrev_i32_e32 v55, 31, v54
	;; [unrolled: 1-line block ×5, first 2 shown]
	v_cmp_gt_u32_e64 s[10:11], 64, v23
	v_cmp_gt_u32_e64 s[12:13], 63, v23
	;; [unrolled: 1-line block ×4, first 2 shown]
	v_add3_u32 v103, v19, v21, v66
	v_mov_b32_e32 v62, v28
	v_mov_b32_e32 v63, v28
	s_lshl_b32 s26, s28, 6
	v_mov_b32_e32 v110, 0xfeffffff
	s_mov_b32 s22, 0x3f200000
	s_mov_b32 s35, 0x3fb8aa3b
	;; [unrolled: 1-line block ×4, first 2 shown]
	v_mov_b32_e32 v104, 0x3ca908c9
	s_brev_b32 s38, -2
	v_add_u32_e32 v105, 0x4400, v18
	s_mov_b32 s39, 0xc1a00000
	v_add_u32_e32 v106, v20, v17
	s_mov_b32 s40, 0x5040100
	v_mov_b32_e32 v107, 0
	v_mov_b32_e32 v16, v35
	;; [unrolled: 1-line block ×23, first 2 shown]
	s_andn2_b64 vcc, exec, s[24:25]
	s_ashr_i32 s27, s26, 31
	s_cbranch_vccnz .LBB25_366
.LBB25_363:
	v_mov_b32_e32 v20, 0
	v_mov_b32_e32 v21, 0
	;; [unrolled: 1-line block ×4, first 2 shown]
	s_and_saveexec_b64 s[20:21], s[0:1]
	s_cbranch_execz .LBB25_365
; %bb.364:
	v_lshl_add_u64 v[20:21], s[26:27], 1, v[36:37]
	v_lshl_add_u64 v[22:23], v[38:39], 1, v[20:21]
	v_lshl_add_u64 v[24:25], v[40:41], 1, v[20:21]
	v_lshl_add_u64 v[26:27], v[42:43], 1, v[20:21]
	v_lshl_add_u64 v[116:117], v[44:45], 1, v[20:21]
	global_load_ushort v20, v[22:23], off
	global_load_ushort v21, v[24:25], off
	s_nop 0
	global_load_ushort v22, v[26:27], off
	global_load_ushort v23, v[116:117], off
.LBB25_365:
	s_or_b64 exec, exec, s[20:21]
	s_waitcnt vmcnt(3)
	ds_write_b16 v31, v20 offset:17408
	s_waitcnt vmcnt(2)
	ds_write_b16 v93, v21 offset:17408
	;; [unrolled: 2-line block ×4, first 2 shown]
.LBB25_366:                             ; =>This Inner Loop Header: Depth=1
	s_mul_hi_i32 s21, s26, s68
	s_mul_i32 s20, s26, s68
	s_lshl_b64 s[20:21], s[20:21], 2
	s_add_u32 s20, s31, s20
	s_addc_u32 s21, s33, s21
	v_lshl_add_u64 v[20:21], v[46:47], 2, s[20:21]
	v_lshl_add_u64 v[20:21], v[20:21], 0, v[34:35]
	v_mov_b32_e32 v26, s23
	v_cndmask_b32_e64 v21, v26, v21, s[18:19]
	v_cndmask_b32_e64 v20, v107, v20, s[18:19]
	scratch_store_dwordx4 off, v[16:19], off
	flat_load_dwordx4 v[20:23], v[20:21]
	v_lshl_add_u64 v[24:25], v[48:49], 2, s[20:21]
	v_lshl_add_u64 v[24:25], v[24:25], 0, v[34:35]
	v_cndmask_b32_e64 v25, v26, v25, s[4:5]
	v_cndmask_b32_e64 v24, v107, v24, s[4:5]
	s_waitcnt vmcnt(0) lgkmcnt(0)
	ds_write_b128 v98, v[20:23]
	flat_load_dwordx4 v[20:23], v[24:25]
	v_lshl_add_u64 v[24:25], v[50:51], 2, s[20:21]
	v_lshl_add_u64 v[24:25], v[24:25], 0, v[34:35]
	v_cndmask_b32_e64 v25, v26, v25, s[6:7]
	v_cndmask_b32_e64 v24, v107, v24, s[6:7]
	s_waitcnt vmcnt(0) lgkmcnt(0)
	ds_write_b128 v99, v[20:23]
	;; [unrolled: 7-line block ×3, first 2 shown]
	flat_load_dwordx4 v[20:23], v[24:25]
	s_waitcnt vmcnt(0) lgkmcnt(0)
	ds_write_b128 v101, v[20:23]
	s_waitcnt lgkmcnt(0)
	s_barrier
	ds_read2_b64 v[20:23], v102 offset1:4
	s_waitcnt lgkmcnt(0)
	v_mfma_f32_16x16x16_f16 v[24:27], v[20:21], v[12:13], 0
	v_mfma_f32_16x16x16_f16 v[20:23], v[22:23], v[14:15], v[24:27]
	s_nop 6
	ds_read2_b64 v[24:27], v102 offset0:8 offset1:12
	s_waitcnt lgkmcnt(0)
	v_mfma_f32_16x16x16_f16 v[20:23], v[24:25], v[8:9], v[20:23]
	v_mfma_f32_16x16x16_f16 v[20:23], v[26:27], v[10:11], v[20:23]
	ds_read2_b64 v[24:27], v102 offset0:16 offset1:20
	s_waitcnt lgkmcnt(0)
	v_mfma_f32_16x16x16_f16 v[20:23], v[24:25], v[4:5], v[20:23]
	v_mfma_f32_16x16x16_f16 v[20:23], v[26:27], v[6:7], v[20:23]
	ds_read2_b64 v[24:27], v102 offset0:24 offset1:28
	s_waitcnt lgkmcnt(0)
	s_barrier
	v_mfma_f32_16x16x16_f16 v[20:23], v[24:25], v[0:1], v[20:23]
                                        ; implicit-def: $vgpr24
	v_mfma_f32_16x16x16_f16 v[20:23], v[26:27], v[2:3], v[20:23]
	s_nop 7
	v_cmp_nlt_f32_e64 s[20:21], |v20|, s22
	s_and_saveexec_b64 s[42:43], s[20:21]
	s_xor_b64 s[20:21], exec, s[42:43]
	s_cbranch_execz .LBB25_368
; %bb.367:                              ;   in Loop: Header=BB25_366 Depth=1
	v_add_f32_e64 v24, |v20|, |v20|
	v_mul_f32_e32 v25, 0x3fb8aa3b, v24
	v_rndne_f32_e32 v26, v25
	v_sub_f32_e32 v27, v25, v26
	v_fma_f32 v25, v24, s35, -v25
	v_fmac_f32_e32 v25, 0x32a5705f, v24
	v_add_f32_e32 v25, v27, v25
	v_cvt_i32_f32_e32 v26, v26
	v_exp_f32_e32 v25, v25
	v_cmp_ngt_f32_e32 vcc, s36, v24
	v_ldexp_f32 v25, v25, v26
	s_nop 0
	v_cndmask_b32_e32 v25, 0, v25, vcc
	v_cmp_nlt_f32_e32 vcc, s37, v24
	s_nop 1
	v_cndmask_b32_e32 v24, v108, v25, vcc
	v_add_f32_e32 v24, 1.0, v24
	v_rcp_f32_e32 v24, v24
	s_nop 0
	v_fma_f32 v24, v24, -2.0, 1.0
.LBB25_368:                             ;   in Loop: Header=BB25_366 Depth=1
	s_andn2_saveexec_b64 s[20:21], s[20:21]
; %bb.369:                              ;   in Loop: Header=BB25_366 Depth=1
	v_mul_f32_e32 v24, v20, v20
	v_fmamk_f32 v25, v24, 0xbbbac73d, v104
	v_fmaak_f32 v25, v24, v25, 0xbd5c1c4e
	v_fmaak_f32 v25, v24, v25, 0x3e088382
	;; [unrolled: 1-line block ×3, first 2 shown]
	v_mul_f32_e64 v25, |v20|, v25
	v_fma_f32 v24, v24, v25, |v20|
; %bb.370:                              ;   in Loop: Header=BB25_366 Depth=1
	s_or_b64 exec, exec, s[20:21]
	v_cmp_nlt_f32_e64 s[20:21], |v21|, s22
                                        ; implicit-def: $vgpr25
	s_and_saveexec_b64 s[42:43], s[20:21]
	s_xor_b64 s[20:21], exec, s[42:43]
	s_cbranch_execz .LBB25_372
; %bb.371:                              ;   in Loop: Header=BB25_366 Depth=1
	v_add_f32_e64 v25, |v21|, |v21|
	v_mul_f32_e32 v26, 0x3fb8aa3b, v25
	v_rndne_f32_e32 v27, v26
	v_sub_f32_e32 v29, v26, v27
	v_fma_f32 v26, v25, s35, -v26
	v_fmac_f32_e32 v26, 0x32a5705f, v25
	v_add_f32_e32 v26, v29, v26
	v_cvt_i32_f32_e32 v27, v27
	v_exp_f32_e32 v26, v26
	v_cmp_ngt_f32_e32 vcc, s36, v25
	v_ldexp_f32 v26, v26, v27
	s_nop 0
	v_cndmask_b32_e32 v26, 0, v26, vcc
	v_cmp_nlt_f32_e32 vcc, s37, v25
	s_nop 1
	v_cndmask_b32_e32 v25, v108, v26, vcc
	v_add_f32_e32 v25, 1.0, v25
	v_rcp_f32_e32 v25, v25
	s_nop 0
	v_fma_f32 v25, v25, -2.0, 1.0
.LBB25_372:                             ;   in Loop: Header=BB25_366 Depth=1
	s_andn2_saveexec_b64 s[20:21], s[20:21]
; %bb.373:                              ;   in Loop: Header=BB25_366 Depth=1
	v_mul_f32_e32 v25, v21, v21
	v_fmamk_f32 v26, v25, 0xbbbac73d, v104
	v_fmaak_f32 v26, v25, v26, 0xbd5c1c4e
	v_fmaak_f32 v26, v25, v26, 0x3e088382
	v_fmaak_f32 v26, v25, v26, 0xbeaaaa99
	v_mul_f32_e64 v26, |v21|, v26
	v_fma_f32 v25, v25, v26, |v21|
; %bb.374:                              ;   in Loop: Header=BB25_366 Depth=1
	s_or_b64 exec, exec, s[20:21]
	v_cmp_nlt_f32_e64 s[20:21], |v22|, s22
                                        ; implicit-def: $vgpr26
	s_and_saveexec_b64 s[42:43], s[20:21]
	s_xor_b64 s[20:21], exec, s[42:43]
	s_cbranch_execz .LBB25_376
; %bb.375:                              ;   in Loop: Header=BB25_366 Depth=1
	v_add_f32_e64 v26, |v22|, |v22|
	v_mul_f32_e32 v27, 0x3fb8aa3b, v26
	v_rndne_f32_e32 v29, v27
	v_sub_f32_e32 v111, v27, v29
	v_fma_f32 v27, v26, s35, -v27
	v_fmac_f32_e32 v27, 0x32a5705f, v26
	v_add_f32_e32 v27, v111, v27
	v_cvt_i32_f32_e32 v29, v29
	v_exp_f32_e32 v27, v27
	v_cmp_ngt_f32_e32 vcc, s36, v26
	v_ldexp_f32 v27, v27, v29
	s_nop 0
	v_cndmask_b32_e32 v27, 0, v27, vcc
	v_cmp_nlt_f32_e32 vcc, s37, v26
	s_nop 1
	v_cndmask_b32_e32 v26, v108, v27, vcc
	v_add_f32_e32 v26, 1.0, v26
	v_rcp_f32_e32 v26, v26
	s_nop 0
	v_fma_f32 v26, v26, -2.0, 1.0
.LBB25_376:                             ;   in Loop: Header=BB25_366 Depth=1
	s_andn2_saveexec_b64 s[20:21], s[20:21]
; %bb.377:                              ;   in Loop: Header=BB25_366 Depth=1
	v_mul_f32_e32 v26, v22, v22
	v_fmamk_f32 v27, v26, 0xbbbac73d, v104
	v_fmaak_f32 v27, v26, v27, 0xbd5c1c4e
	v_fmaak_f32 v27, v26, v27, 0x3e088382
	;; [unrolled: 1-line block ×3, first 2 shown]
	v_mul_f32_e64 v27, |v22|, v27
	v_fma_f32 v26, v26, v27, |v22|
; %bb.378:                              ;   in Loop: Header=BB25_366 Depth=1
	s_or_b64 exec, exec, s[20:21]
	v_cmp_nlt_f32_e64 s[20:21], |v23|, s22
                                        ; implicit-def: $vgpr27
	s_and_saveexec_b64 s[42:43], s[20:21]
	s_xor_b64 s[20:21], exec, s[42:43]
	s_cbranch_execz .LBB25_380
; %bb.379:                              ;   in Loop: Header=BB25_366 Depth=1
	v_add_f32_e64 v27, |v23|, |v23|
	v_mul_f32_e32 v29, 0x3fb8aa3b, v27
	v_rndne_f32_e32 v111, v29
	v_sub_f32_e32 v116, v29, v111
	v_fma_f32 v29, v27, s35, -v29
	v_fmac_f32_e32 v29, 0x32a5705f, v27
	v_add_f32_e32 v29, v116, v29
	v_cvt_i32_f32_e32 v111, v111
	v_exp_f32_e32 v29, v29
	v_cmp_ngt_f32_e32 vcc, s36, v27
	v_ldexp_f32 v29, v29, v111
	s_nop 0
	v_cndmask_b32_e32 v29, 0, v29, vcc
	v_cmp_nlt_f32_e32 vcc, s37, v27
	s_nop 1
	v_cndmask_b32_e32 v27, v108, v29, vcc
	v_add_f32_e32 v27, 1.0, v27
	v_rcp_f32_e32 v27, v27
	s_nop 0
	v_fma_f32 v27, v27, -2.0, 1.0
.LBB25_380:                             ;   in Loop: Header=BB25_366 Depth=1
	s_andn2_saveexec_b64 s[20:21], s[20:21]
; %bb.381:                              ;   in Loop: Header=BB25_366 Depth=1
	v_mul_f32_e32 v27, v23, v23
	v_fmamk_f32 v29, v27, 0xbbbac73d, v104
	v_fmaak_f32 v29, v27, v29, 0xbd5c1c4e
	v_fmaak_f32 v29, v27, v29, 0x3e088382
	;; [unrolled: 1-line block ×3, first 2 shown]
	v_mul_f32_e64 v29, |v23|, v29
	v_fma_f32 v27, v27, v29, |v23|
; %bb.382:                              ;   in Loop: Header=BB25_366 Depth=1
	s_or_b64 exec, exec, s[20:21]
	v_bfi_b32 v20, s38, v24, v20
	v_mul_f32_e32 v24, s65, v20
	v_bfi_b32 v20, s38, v25, v21
	v_mul_f32_e32 v25, s65, v20
	;; [unrolled: 2-line block ×4, first 2 shown]
	s_and_b64 vcc, exec, s[24:25]
	s_cbranch_vccz .LBB25_387
; %bb.383:                              ;   in Loop: Header=BB25_366 Depth=1
	ds_read2_b32 v[20:21], v105 offset1:1
	v_mov_b32_e32 v29, v28
	s_waitcnt lgkmcnt(0)
	v_cvt_f32_f16_e32 v116, v20
	v_cvt_f32_f16_e32 v22, v21
	v_cvt_f32_f16_sdwa v23, v21 dst_sel:DWORD dst_unused:UNUSED_PAD src0_sel:WORD_1
	v_cvt_f32_f16_sdwa v117, v20 dst_sel:DWORD dst_unused:UNUSED_PAD src0_sel:WORD_1
	v_pk_fma_f32 v[22:23], v[28:29], v[22:23], v[26:27]
	v_pk_fma_f32 v[20:21], v[62:63], v[116:117], v[24:25]
	s_cbranch_execnz .LBB25_385
.LBB25_384:                             ;   in Loop: Header=BB25_366 Depth=1
	v_mov_b64_e32 v[20:21], v[24:25]
	v_mov_b64_e32 v[22:23], v[26:27]
.LBB25_385:                             ;   in Loop: Header=BB25_366 Depth=1
	s_mul_hi_i32 s21, s26, s54
	s_mul_i32 s20, s26, s54
	s_lshl_b64 s[20:21], s[20:21], 2
	s_add_u32 s20, s29, s20
	s_addc_u32 s21, s30, s21
	v_lshl_add_u64 v[24:25], v[54:55], 2, s[20:21]
	v_lshl_add_u64 v[24:25], v[24:25], 0, v[34:35]
	v_mov_b32_e32 v29, s23
	v_cndmask_b32_e64 v25, v29, v25, s[18:19]
	v_cndmask_b32_e64 v24, v107, v24, s[18:19]
	scratch_store_dwordx4 off, v[16:19], off
	flat_load_dwordx4 v[24:27], v[24:25]
	v_lshl_add_u64 v[116:117], v[56:57], 2, s[20:21]
	v_lshl_add_u64 v[116:117], v[116:117], 0, v[34:35]
	v_cndmask_b32_e64 v117, v29, v117, s[4:5]
	v_cndmask_b32_e64 v116, v107, v116, s[4:5]
	v_add_f32_e32 v111, 0x40051340, v20
	v_max_f32_e32 v120, v110, v110
	v_max_f32_e32 v111, v120, v111
	v_cndmask_b32_e64 v111, v110, v111, s[10:11]
	v_max_f32_e32 v120, v111, v111
	v_add_f32_e32 v121, 0x40051340, v22
	v_add_f32_e32 v122, 0x40051340, v23
	s_add_i32 s28, s28, 1
	v_cmp_lt_i32_e32 vcc, s28, v92
	s_and_b64 vcc, exec, vcc
	s_add_i32 s26, s26, 64
	s_waitcnt vmcnt(0) lgkmcnt(0)
	ds_write_b128 v98, v[24:27]
	flat_load_dwordx4 v[24:27], v[116:117]
	v_lshl_add_u64 v[116:117], v[58:59], 2, s[20:21]
	v_lshl_add_u64 v[116:117], v[116:117], 0, v[34:35]
	v_cndmask_b32_e64 v117, v29, v117, s[6:7]
	v_cndmask_b32_e64 v116, v107, v116, s[6:7]
	s_waitcnt vmcnt(0) lgkmcnt(0)
	ds_write_b128 v99, v[24:27]
	flat_load_dwordx4 v[116:119], v[116:117]
	v_add_f32_e32 v26, 0x40051340, v21
	v_max_f32_e32 v26, v120, v26
	v_cndmask_b32_e64 v26, v111, v26, s[12:13]
	v_max_f32_e32 v111, v26, v26
	v_max_f32_e32 v111, v111, v121
	v_lshl_add_u64 v[120:121], v[60:61], 2, s[20:21]
	v_lshl_add_u64 v[120:121], v[120:121], 0, v[34:35]
	v_cndmask_b32_e64 v121, v29, v121, s[8:9]
	v_cndmask_b32_e64 v120, v107, v120, s[8:9]
	;; [unrolled: 1-line block ×3, first 2 shown]
	v_max_f32_e32 v111, v26, v26
	v_max_f32_e32 v111, v111, v122
	v_cndmask_b32_e64 v26, v26, v111, s[16:17]
	ds_bpermute_b32 v111, v96, v26
	v_max_f32_e32 v26, v26, v26
	v_mov_b32_e32 v25, s34
	v_mov_b32_e32 v24, s34
	;; [unrolled: 1-line block ×3, first 2 shown]
	s_waitcnt lgkmcnt(0)
	v_max_f32_e32 v111, v111, v111
	v_max_f32_e32 v26, v26, v111
	ds_bpermute_b32 v111, v97, v26
	s_waitcnt lgkmcnt(0)
	v_max_f32_e32 v29, v111, v111
	v_max_f32_e32 v26, v26, v29
	v_sub_f32_e32 v20, v20, v26
	v_sub_f32_e32 v21, v21, v26
	;; [unrolled: 1-line block ×3, first 2 shown]
	v_mul_f32_e32 v110, 0x3fb8aa3b, v20
	v_sub_f32_e32 v22, v22, v26
	v_mul_f32_e32 v111, 0x3fb8aa3b, v21
	v_fma_f32 v125, v20, s35, -v110
	v_rndne_f32_e32 v126, v110
	v_sub_f32_e32 v23, v23, v26
	v_mul_f32_e32 v122, 0x3fb8aa3b, v22
	v_fma_f32 v127, v21, s35, -v111
	v_rndne_f32_e32 v128, v111
	v_fmac_f32_e32 v125, 0x32a5705f, v20
	v_sub_f32_e32 v110, v110, v126
	v_mul_f32_e32 v123, 0x3fb8aa3b, v23
	v_fma_f32 v129, v22, s35, -v122
	v_rndne_f32_e32 v130, v122
	v_fmac_f32_e32 v127, 0x32a5705f, v21
	v_sub_f32_e32 v111, v111, v128
	v_add_f32_e32 v110, v110, v125
	v_mul_f32_e32 v124, 0x3fb8aa3b, v29
	v_fma_f32 v131, v23, s35, -v123
	v_rndne_f32_e32 v132, v123
	v_cvt_i32_f32_e32 v126, v126
	v_fmac_f32_e32 v129, 0x32a5705f, v22
	v_sub_f32_e32 v122, v122, v130
	v_add_f32_e32 v111, v111, v127
	v_exp_f32_e32 v110, v110
	v_fma_f32 v133, v29, s35, -v124
	v_rndne_f32_e32 v134, v124
	v_cvt_i32_f32_e32 v128, v128
	v_fmac_f32_e32 v131, 0x32a5705f, v23
	v_sub_f32_e32 v123, v123, v132
	v_add_f32_e32 v122, v122, v129
	v_exp_f32_e32 v111, v111
	v_cvt_i32_f32_e32 v130, v130
	v_fmac_f32_e32 v133, 0x32a5705f, v29
	v_sub_f32_e32 v124, v124, v134
	v_add_f32_e32 v123, v123, v131
	v_exp_f32_e32 v122, v122
	v_cvt_i32_f32_e32 v132, v132
	v_add_f32_e32 v124, v124, v133
	v_exp_f32_e32 v123, v123
	v_cvt_i32_f32_e32 v134, v134
	v_exp_f32_e32 v124, v124
	v_ldexp_f32 v110, v110, v126
	v_cmp_ngt_f32_e64 s[20:21], s36, v20
	v_ldexp_f32 v111, v111, v128
	v_ldexp_f32 v122, v122, v130
	v_cndmask_b32_e64 v110, 0, v110, s[20:21]
	v_cmp_ngt_f32_e64 s[20:21], s36, v21
	s_waitcnt vmcnt(0)
	ds_write_b128 v100, v[116:119]
	flat_load_dwordx4 v[116:119], v[120:121]
	v_cndmask_b32_e64 v111, 0, v111, s[20:21]
	v_cmp_ngt_f32_e64 s[20:21], s36, v22
	v_ldexp_f32 v120, v123, v132
	v_ldexp_f32 v121, v124, v134
	v_cndmask_b32_e64 v122, 0, v122, s[20:21]
	v_cmp_ngt_f32_e64 s[20:21], s36, v23
	s_waitcnt vmcnt(0) lgkmcnt(0)
	ds_write_b128 v101, v[116:119]
	v_cndmask_b32_e64 v120, 0, v120, s[20:21]
	v_cmp_ngt_f32_e64 s[20:21], s36, v29
	s_waitcnt lgkmcnt(0)
	s_barrier
	v_cndmask_b32_e64 v121, 0, v121, s[20:21]
	v_cmp_nlt_f32_e64 s[20:21], s37, v20
	s_nop 1
	v_cndmask_b32_e64 v20, v108, v110, s[20:21]
	v_cmp_nlt_f32_e64 s[20:21], s37, v21
	v_cndmask_b32_e64 v20, 0, v20, s[10:11]
	s_nop 0
	v_cndmask_b32_e64 v110, v108, v111, s[20:21]
	v_cmp_nlt_f32_e64 s[20:21], s37, v22
	v_cndmask_b32_e64 v21, v25, v110, s[12:13]
	;; [unrolled: 4-line block ×4, first 2 shown]
	v_add_f32_e32 v27, v110, v20
	v_cndmask_b32_e64 v111, v108, v121, s[20:21]
	v_cmp_le_f32_e64 s[20:21], s39, v29
	v_cvt_pk_f16_f32 v110, v20, v21
	v_cndmask_b32_e64 v20, v20, v27, s[12:13]
	v_cndmask_b32_e64 v25, 0, v111, s[20:21]
	v_cvt_f16_f32_e32 v29, v25
	v_add_f32_e32 v21, v20, v122
	v_cndmask_b32_e64 v20, v20, v21, s[14:15]
	v_cvt_pk_f16_f32 v111, v22, v24
	v_add_f32_e32 v21, v20, v23
	v_mul_u32_u24_e32 v22, 0x10001, v29
	v_cndmask_b32_e64 v20, v20, v21, s[16:17]
	v_pk_mul_f16 v21, v82, v22
	v_pk_mul_f16 v27, v81, v22
	;; [unrolled: 1-line block ×16, first 2 shown]
	v_fmac_f32_e32 v20, v109, v25
	v_cvt_f32_f16_e32 v22, v21
	v_cvt_f32_f16_sdwa v23, v21 dst_sel:DWORD dst_unused:UNUSED_PAD src0_sel:WORD_1
	v_cvt_f32_f16_e32 v24, v27
	v_cvt_f32_f16_sdwa v25, v27 dst_sel:DWORD dst_unused:UNUSED_PAD src0_sel:WORD_1
	;; [unrolled: 2-line block ×9, first 2 shown]
	ds_read_u16 v21, v103
	ds_read_u16 v27, v103 offset:32
	ds_read_u16 v29, v103 offset:64
	;; [unrolled: 1-line block ×23, first 2 shown]
	ds_read_u16 v116, v106
	ds_read_u16 v131, v106 offset:32
	ds_read_u16 v135, v106 offset:64
	;; [unrolled: 1-line block ×7, first 2 shown]
	s_waitcnt lgkmcnt(14)
	v_perm_b32 v80, v80, v21, s40
	s_waitcnt lgkmcnt(7)
	v_perm_b32 v81, v116, v81, s40
	v_cvt_f32_f16_e32 v116, v128
	v_cvt_f32_f16_sdwa v117, v128 dst_sel:DWORD dst_unused:UNUSED_PAD src0_sel:WORD_1
	v_perm_b32 v128, v118, v27, s40
	s_waitcnt lgkmcnt(6)
	v_perm_b32 v129, v131, v129, s40
	v_mfma_f32_16x16x16_f16 v[22:25], v[80:81], v[110:111], v[22:25]
	v_perm_b32 v80, v119, v29, s40
	s_waitcnt lgkmcnt(5)
	v_perm_b32 v81, v135, v130, s40
	v_cvt_f32_f16_e32 v118, v132
	v_mfma_f32_16x16x16_f16 v[128:131], v[128:129], v[110:111], v[68:71]
	v_cvt_f32_f16_sdwa v119, v132 dst_sel:DWORD dst_unused:UNUSED_PAD src0_sel:WORD_1
	v_cvt_f32_f16_e32 v122, v123
	v_cvt_f32_f16_sdwa v123, v123 dst_sel:DWORD dst_unused:UNUSED_PAD src0_sel:WORD_1
	v_perm_b32 v70, v133, v82, s40
	s_waitcnt lgkmcnt(4)
	v_perm_b32 v71, v148, v134, s40
	v_mfma_f32_16x16x16_f16 v[132:135], v[80:81], v[110:111], v[72:75]
	v_cvt_f32_f16_e32 v124, v125
	v_cvt_f32_f16_sdwa v125, v125 dst_sel:DWORD dst_unused:UNUSED_PAD src0_sel:WORD_1
	v_cvt_f32_f16_e32 v126, v127
	v_perm_b32 v72, v140, v109, s40
	s_waitcnt lgkmcnt(3)
	v_perm_b32 v73, v149, v144, s40
	v_perm_b32 v74, v141, v137, s40
	s_waitcnt lgkmcnt(2)
	v_perm_b32 v75, v150, v145, s40
	v_cvt_f32_f16_sdwa v127, v127 dst_sel:DWORD dst_unused:UNUSED_PAD src0_sel:WORD_1
	v_mfma_f32_16x16x16_f16 v[120:123], v[72:73], v[110:111], v[120:123]
	v_perm_b32 v80, v142, v138, s40
	s_waitcnt lgkmcnt(1)
	v_perm_b32 v81, v151, v146, s40
	v_cvt_f32_f16_e32 v68, v136
	v_mfma_f32_16x16x16_f16 v[72:75], v[74:75], v[110:111], v[124:127]
	v_cvt_f32_f16_sdwa v69, v136 dst_sel:DWORD dst_unused:UNUSED_PAD src0_sel:WORD_1
	v_cvt_pk_f16_f32 v82, v22, v23
	s_waitcnt lgkmcnt(0)
	v_perm_b32 v124, v143, v139, s40
	v_perm_b32 v125, v152, v147, s40
	v_mfma_f32_16x16x16_f16 v[76:79], v[70:71], v[110:111], v[76:79]
	v_cvt_f32_f16_e32 v70, v67
	v_cvt_f32_f16_sdwa v71, v67 dst_sel:DWORD dst_unused:UNUSED_PAD src0_sel:WORD_1
	v_cvt_pk_f16_f32 v72, v72, v73
	v_mfma_f32_16x16x16_f16 v[116:119], v[80:81], v[110:111], v[116:119]
	v_cvt_pk_f16_f32 v73, v122, v123
	s_nop 2
	v_cvt_pk_f16_f32 v76, v76, v77
	v_cvt_pk_f16_f32 v77, v134, v135
	v_mfma_f32_16x16x16_f16 v[68:71], v[124:125], v[110:111], v[68:71]
	v_cvt_pk_f16_f32 v80, v128, v129
	v_cvt_pk_f16_f32 v81, v24, v25
	s_barrier
	s_nop 4
	v_cvt_pk_f16_f32 v68, v68, v69
	v_cvt_pk_f16_f32 v67, v70, v71
	;; [unrolled: 1-line block ×9, first 2 shown]
	s_cbranch_vccz .LBB25_390
; %bb.386:                              ;   in Loop: Header=BB25_366 Depth=1
	v_mov_b32_e32 v109, v20
	v_mov_b32_e32 v110, v26
	s_andn2_b64 vcc, exec, s[24:25]
	s_ashr_i32 s27, s26, 31
	s_cbranch_vccz .LBB25_363
	s_branch .LBB25_366
.LBB25_387:                             ;   in Loop: Header=BB25_366 Depth=1
                                        ; implicit-def: $vgpr20_vgpr21_vgpr22_vgpr23
	s_branch .LBB25_384
.LBB25_388:
                                        ; implicit-def: $sgpr4_sgpr5
                                        ; kill: killed $sgpr4_sgpr5
	s_load_dwordx2 s[70:71], s[0:1], 0x5c
	s_branch .LBB25_7
.LBB25_389:
	v_mov_b32_e32 v26, 0xfeffffff
	v_mov_b32_e32 v20, 0
	v_mov_b32_e32 v81, 0
	v_mov_b32_e32 v82, 0
	v_mov_b32_e32 v79, 0
	v_mov_b32_e32 v80, 0
	v_mov_b32_e32 v77, 0
	v_mov_b32_e32 v78, 0
	v_mov_b32_e32 v75, 0
	v_mov_b32_e32 v76, 0
	v_mov_b32_e32 v73, 0
	v_mov_b32_e32 v74, 0
	v_mov_b32_e32 v71, 0
	v_mov_b32_e32 v72, 0
	v_mov_b32_e32 v69, 0
	v_mov_b32_e32 v70, 0
	v_mov_b32_e32 v67, 0
	v_mov_b32_e32 v68, 0
.LBB25_390:
	s_lshl_b32 s10, s28, 6
	v_readlane_b32 s0, v218, 4
	s_sub_i32 s14, s0, s10
	s_cmp_lg_u64 s[2:3], 0
	s_cselect_b64 s[12:13], -1, 0
	s_ashr_i32 s11, s10, 31
	s_cmp_eq_u64 s[2:3], 0
	v_readlane_b32 s1, v218, 5
	s_cbranch_scc1 .LBB25_400
; %bb.391:
	s_lshl_b64 s[0:1], s[10:11], 1
	s_add_u32 s0, s2, s0
	s_addc_u32 s1, s3, s1
	v_mov_b32_e32 v31, 0
	v_cmp_gt_i32_e32 vcc, s14, v32
	v_lshl_add_u64 v[16:17], s[0:1], 0, v[30:31]
	v_mov_b32_e32 v19, 0
	s_and_saveexec_b64 s[0:1], vcc
	s_cbranch_execz .LBB25_393
; %bb.392:
	v_mul_hi_u32 v18, s70, v86
	v_add_u32_e32 v18, v86, v18
	v_lshrrev_b32_e32 v18, s71, v18
	v_mul_lo_u32 v18, v18, s52
	v_sub_u32_e32 v18, v86, v18
	v_mad_i64_i32 v[18:19], s[2:3], v18, s62, 0
	v_lshl_add_u64 v[18:19], v[18:19], 1, v[16:17]
	global_load_ushort v19, v[18:19], off
.LBB25_393:
	s_or_b64 exec, exec, s[0:1]
	s_movk_i32 s0, 0x90
	v_mad_u32_u24 v18, v113, s0, 0
	v_lshl_add_u32 v21, v32, 1, v18
	s_waitcnt vmcnt(0)
	ds_write_b16 v21, v19 offset:17408
	s_and_saveexec_b64 s[0:1], vcc
	s_cbranch_execz .LBB25_395
; %bb.394:
	v_mul_hi_u32 v19, s70, v87
	v_add_u32_e32 v19, v87, v19
	v_lshrrev_b32_e32 v19, s71, v19
	v_mul_lo_u32 v19, v19, s52
	v_sub_u32_e32 v19, v87, v19
	v_mad_i64_i32 v[22:23], s[2:3], v19, s62, 0
	v_lshl_add_u64 v[22:23], v[22:23], 1, v[16:17]
	global_load_ushort v31, v[22:23], off
.LBB25_395:
	s_or_b64 exec, exec, s[0:1]
	v_add_u32_e32 v19, 0x240, v18
	v_lshl_add_u32 v18, v32, 1, v19
	s_waitcnt vmcnt(0)
	ds_write_b16 v18, v31 offset:17408
	v_mov_b32_e32 v18, 0
	v_mov_b32_e32 v21, 0
	s_and_saveexec_b64 s[0:1], vcc
	s_cbranch_execz .LBB25_397
; %bb.396:
	v_mul_hi_u32 v21, s70, v88
	v_add_u32_e32 v21, v88, v21
	v_lshrrev_b32_e32 v21, s71, v21
	v_mul_lo_u32 v21, v21, s52
	v_sub_u32_e32 v21, v88, v21
	v_mad_i64_i32 v[22:23], s[2:3], v21, s62, 0
	v_lshl_add_u64 v[22:23], v[22:23], 1, v[16:17]
	global_load_ushort v21, v[22:23], off
.LBB25_397:
	s_or_b64 exec, exec, s[0:1]
	v_add_u32_e32 v19, 0x240, v19
	v_lshl_add_u32 v19, v32, 1, v19
	s_waitcnt vmcnt(0)
	ds_write_b16 v19, v21 offset:17408
	s_and_saveexec_b64 s[0:1], vcc
	s_cbranch_execz .LBB25_399
; %bb.398:
	v_mul_hi_u32 v18, s70, v89
	v_add_u32_e32 v18, v89, v18
	v_lshrrev_b32_e32 v18, s71, v18
	v_mul_lo_u32 v18, v18, s52
	v_sub_u32_e32 v18, v89, v18
	v_mad_i64_i32 v[22:23], s[2:3], v18, s62, 0
	v_lshl_add_u64 v[16:17], v[22:23], 1, v[16:17]
	global_load_ushort v18, v[16:17], off
.LBB25_399:
	s_or_b64 exec, exec, s[0:1]
	s_waitcnt vmcnt(0)
	ds_write_b16 v19, v18 offset:17984
.LBB25_400:
	s_mul_hi_i32 s3, s10, s68
	s_mul_i32 s2, s10, s68
	s_lshl_b64 s[2:3], s[2:3], 2
	v_add_u32_e32 v18, v91, v114
	s_add_u32 s2, s31, s2
	v_mul_lo_u32 v30, s68, v18
	s_addc_u32 s3, s33, s3
	v_and_b32_e32 v16, 60, v90
	v_ashrrev_i32_e32 v31, 31, v30
	s_mov_b64 s[0:1], src_private_base
	v_mov_b32_e32 v17, 0
	v_lshlrev_b32_e32 v16, 2, v16
	v_lshl_add_u64 v[22:23], v[30:31], 2, s[2:3]
	v_lshl_add_u64 v[22:23], v[22:23], 0, v[16:17]
	v_mov_b32_e32 v19, s1
	v_cmp_gt_i32_e64 s[4:5], s14, v18
	v_mov_b32_e32 v21, 0
	v_mov_b32_e32 v24, v17
	v_cndmask_b32_e64 v35, v19, v23, s[4:5]
	v_cndmask_b32_e64 v34, v21, v22, s[4:5]
	v_mov_b32_e32 v22, v17
	v_mov_b32_e32 v23, v17
	;; [unrolled: 1-line block ×3, first 2 shown]
	scratch_store_dwordx4 off, v[22:25], off
	flat_load_dwordx4 v[34:37], v[34:35]
	s_lshl_b32 s0, s68, 4
	v_add_u32_e32 v24, s0, v30
	v_ashrrev_i32_e32 v25, 31, v24
	v_mul_u32_u24_e32 v22, 0x110, v18
	v_add_u32_e32 v23, 16, v18
	v_lshl_add_u64 v[30:31], v[24:25], 2, s[2:3]
	v_add3_u32 v22, 0, v22, v16
	v_lshl_add_u64 v[30:31], v[30:31], 0, v[16:17]
	v_cmp_gt_i32_e64 s[6:7], s14, v23
	v_add_u32_e32 v24, s0, v24
	v_ashrrev_i32_e32 v25, 31, v24
	v_cndmask_b32_e64 v31, v19, v31, s[6:7]
	v_cndmask_b32_e64 v30, v21, v30, s[6:7]
	v_add_u32_e32 v23, 32, v18
	v_cmp_gt_i32_e64 s[8:9], s14, v23
	v_add_u32_e32 v23, 48, v18
	s_waitcnt vmcnt(0) lgkmcnt(0)
	ds_write_b128 v22, v[34:37]
	flat_load_dwordx4 v[34:37], v[30:31]
	v_lshl_add_u64 v[30:31], v[24:25], 2, s[2:3]
	v_lshl_add_u64 v[30:31], v[30:31], 0, v[16:17]
	v_cndmask_b32_e64 v31, v19, v31, s[8:9]
	v_cndmask_b32_e64 v30, v21, v30, s[8:9]
	v_add_u32_e32 v24, s0, v24
	v_ashrrev_i32_e32 v25, 31, v24
	v_lshl_add_u64 v[24:25], v[24:25], 2, s[2:3]
	v_lshl_add_u64 v[24:25], v[24:25], 0, v[16:17]
	v_cmp_gt_i32_e64 s[0:1], s14, v23
	s_movk_i32 s2, 0x110
	v_and_b32_e32 v17, 48, v112
	v_cndmask_b32_e64 v25, v19, v25, s[0:1]
	v_cndmask_b32_e64 v24, v21, v24, s[0:1]
	v_mad_u32_u24 v21, v17, s2, 0
	v_add3_u32 v19, v21, v85, v65
	s_mov_b32 s2, 0x3f200000
	s_waitcnt vmcnt(0) lgkmcnt(0)
	ds_write_b128 v22, v[34:37] offset:4352
	flat_load_dwordx4 v[34:37], v[30:31]
	s_waitcnt vmcnt(0) lgkmcnt(0)
	ds_write_b128 v22, v[34:37] offset:8704
	flat_load_dwordx4 v[34:37], v[24:25]
	s_waitcnt vmcnt(0) lgkmcnt(0)
	ds_write_b128 v22, v[34:37] offset:13056
	s_waitcnt lgkmcnt(0)
	s_barrier
	ds_read2_b64 v[34:37], v19 offset1:4
	s_waitcnt lgkmcnt(0)
	v_mfma_f32_16x16x16_f16 v[38:41], v[34:35], v[12:13], 0
	v_mfma_f32_16x16x16_f16 v[12:15], v[36:37], v[14:15], v[38:41]
	ds_read2_b64 v[34:37], v19 offset0:8 offset1:12
	s_waitcnt lgkmcnt(0)
	v_mfma_f32_16x16x16_f16 v[12:15], v[34:35], v[8:9], v[12:15]
	v_mfma_f32_16x16x16_f16 v[8:11], v[36:37], v[10:11], v[12:15]
	s_nop 6
	ds_read2_b64 v[12:15], v19 offset0:16 offset1:20
	s_waitcnt lgkmcnt(0)
	v_mfma_f32_16x16x16_f16 v[8:11], v[12:13], v[4:5], v[8:11]
	v_mfma_f32_16x16x16_f16 v[4:7], v[14:15], v[6:7], v[8:11]
	s_nop 6
	ds_read2_b64 v[8:11], v19 offset0:24 offset1:28
	s_waitcnt lgkmcnt(0)
	v_mfma_f32_16x16x16_f16 v[4:7], v[8:9], v[0:1], v[4:7]
	s_barrier
	v_mfma_f32_16x16x16_f16 v[0:3], v[10:11], v[2:3], v[4:7]
                                        ; implicit-def: $vgpr4
	s_nop 7
	v_cmp_nlt_f32_e64 s[2:3], |v0|, s2
	s_and_saveexec_b64 s[16:17], s[2:3]
	s_xor_b64 s[2:3], exec, s[16:17]
	s_cbranch_execz .LBB25_402
; %bb.401:
	v_add_f32_e64 v4, |v0|, |v0|
	v_mul_f32_e32 v5, 0x3fb8aa3b, v4
	s_mov_b32 s11, 0x3fb8aa3b
	v_rndne_f32_e32 v6, v5
	v_sub_f32_e32 v7, v5, v6
	v_fma_f32 v5, v4, s11, -v5
	v_fmamk_f32 v5, v4, 0x32a5705f, v5
	v_add_f32_e32 v5, v7, v5
	v_exp_f32_e32 v5, v5
	v_cvt_i32_f32_e32 v6, v6
	s_mov_b32 s11, 0xc2ce8ed0
	v_cmp_ngt_f32_e32 vcc, s11, v4
	s_mov_b32 s11, 0x42b17218
	v_ldexp_f32 v5, v5, v6
	v_cndmask_b32_e32 v5, 0, v5, vcc
	v_mov_b32_e32 v6, 0x7f800000
	v_cmp_nlt_f32_e32 vcc, s11, v4
	s_nop 1
	v_cndmask_b32_e32 v4, v6, v5, vcc
	v_add_f32_e32 v4, 1.0, v4
	v_rcp_f32_e32 v4, v4
	s_nop 0
	v_fma_f32 v4, v4, -2.0, 1.0
.LBB25_402:
	s_andn2_saveexec_b64 s[2:3], s[2:3]
; %bb.403:
	v_mul_f32_e32 v4, v0, v0
	v_mov_b32_e32 v5, 0x3ca908c9
	v_fmac_f32_e32 v5, 0xbbbac73d, v4
	v_fmaak_f32 v5, v4, v5, 0xbd5c1c4e
	v_fmaak_f32 v5, v4, v5, 0x3e088382
	;; [unrolled: 1-line block ×3, first 2 shown]
	v_mul_f32_e64 v5, |v0|, v5
	v_fma_f32 v4, v4, v5, |v0|
; %bb.404:
	s_or_b64 exec, exec, s[2:3]
	s_mov_b32 s2, 0x3f200000
	v_cmp_nlt_f32_e64 s[2:3], |v1|, s2
                                        ; implicit-def: $vgpr5
	s_and_saveexec_b64 s[16:17], s[2:3]
	s_xor_b64 s[2:3], exec, s[16:17]
	s_cbranch_execz .LBB25_406
; %bb.405:
	v_add_f32_e64 v5, |v1|, |v1|
	v_mul_f32_e32 v6, 0x3fb8aa3b, v5
	s_mov_b32 s11, 0x3fb8aa3b
	v_rndne_f32_e32 v7, v6
	v_sub_f32_e32 v8, v6, v7
	v_fma_f32 v6, v5, s11, -v6
	v_fmamk_f32 v6, v5, 0x32a5705f, v6
	v_add_f32_e32 v6, v8, v6
	v_exp_f32_e32 v6, v6
	v_cvt_i32_f32_e32 v7, v7
	s_mov_b32 s11, 0xc2ce8ed0
	v_cmp_ngt_f32_e32 vcc, s11, v5
	s_mov_b32 s11, 0x42b17218
	v_ldexp_f32 v6, v6, v7
	v_cndmask_b32_e32 v6, 0, v6, vcc
	v_mov_b32_e32 v7, 0x7f800000
	v_cmp_nlt_f32_e32 vcc, s11, v5
	s_nop 1
	v_cndmask_b32_e32 v5, v7, v6, vcc
	v_add_f32_e32 v5, 1.0, v5
	v_rcp_f32_e32 v5, v5
	s_nop 0
	v_fma_f32 v5, v5, -2.0, 1.0
.LBB25_406:
	s_andn2_saveexec_b64 s[2:3], s[2:3]
; %bb.407:
	v_mul_f32_e32 v5, v1, v1
	v_mov_b32_e32 v6, 0x3ca908c9
	v_fmac_f32_e32 v6, 0xbbbac73d, v5
	v_fmaak_f32 v6, v5, v6, 0xbd5c1c4e
	v_fmaak_f32 v6, v5, v6, 0x3e088382
	;; [unrolled: 1-line block ×3, first 2 shown]
	v_mul_f32_e64 v6, |v1|, v6
	v_fma_f32 v5, v5, v6, |v1|
; %bb.408:
	s_or_b64 exec, exec, s[2:3]
	s_mov_b32 s2, 0x3f200000
	v_cmp_nlt_f32_e64 s[2:3], |v2|, s2
                                        ; implicit-def: $vgpr6
	s_and_saveexec_b64 s[16:17], s[2:3]
	s_xor_b64 s[2:3], exec, s[16:17]
	s_cbranch_execz .LBB25_410
; %bb.409:
	v_add_f32_e64 v6, |v2|, |v2|
	v_mul_f32_e32 v7, 0x3fb8aa3b, v6
	s_mov_b32 s11, 0x3fb8aa3b
	v_rndne_f32_e32 v8, v7
	v_sub_f32_e32 v9, v7, v8
	v_fma_f32 v7, v6, s11, -v7
	v_fmamk_f32 v7, v6, 0x32a5705f, v7
	v_add_f32_e32 v7, v9, v7
	v_exp_f32_e32 v7, v7
	v_cvt_i32_f32_e32 v8, v8
	s_mov_b32 s11, 0xc2ce8ed0
	v_cmp_ngt_f32_e32 vcc, s11, v6
	s_mov_b32 s11, 0x42b17218
	v_ldexp_f32 v7, v7, v8
	v_cndmask_b32_e32 v7, 0, v7, vcc
	v_mov_b32_e32 v8, 0x7f800000
	v_cmp_nlt_f32_e32 vcc, s11, v6
	s_nop 1
	v_cndmask_b32_e32 v6, v8, v7, vcc
	v_add_f32_e32 v6, 1.0, v6
	v_rcp_f32_e32 v6, v6
	s_nop 0
	v_fma_f32 v6, v6, -2.0, 1.0
.LBB25_410:
	s_andn2_saveexec_b64 s[2:3], s[2:3]
; %bb.411:
	v_mul_f32_e32 v6, v2, v2
	v_mov_b32_e32 v7, 0x3ca908c9
	v_fmac_f32_e32 v7, 0xbbbac73d, v6
	v_fmaak_f32 v7, v6, v7, 0xbd5c1c4e
	v_fmaak_f32 v7, v6, v7, 0x3e088382
	;; [unrolled: 1-line block ×3, first 2 shown]
	v_mul_f32_e64 v7, |v2|, v7
	v_fma_f32 v6, v6, v7, |v2|
; %bb.412:
	s_or_b64 exec, exec, s[2:3]
	s_mov_b32 s2, 0x3f200000
	v_cmp_nlt_f32_e64 s[2:3], |v3|, s2
                                        ; implicit-def: $vgpr7
	s_and_saveexec_b64 s[16:17], s[2:3]
	s_xor_b64 s[2:3], exec, s[16:17]
	s_cbranch_execz .LBB25_414
; %bb.413:
	v_add_f32_e64 v7, |v3|, |v3|
	v_mul_f32_e32 v8, 0x3fb8aa3b, v7
	s_mov_b32 s11, 0x3fb8aa3b
	v_rndne_f32_e32 v9, v8
	v_sub_f32_e32 v10, v8, v9
	v_fma_f32 v8, v7, s11, -v8
	v_fmamk_f32 v8, v7, 0x32a5705f, v8
	v_add_f32_e32 v8, v10, v8
	v_exp_f32_e32 v8, v8
	v_cvt_i32_f32_e32 v9, v9
	s_mov_b32 s11, 0xc2ce8ed0
	v_cmp_ngt_f32_e32 vcc, s11, v7
	s_mov_b32 s11, 0x42b17218
	v_ldexp_f32 v8, v8, v9
	v_cndmask_b32_e32 v8, 0, v8, vcc
	v_mov_b32_e32 v9, 0x7f800000
	v_cmp_nlt_f32_e32 vcc, s11, v7
	s_nop 1
	v_cndmask_b32_e32 v7, v9, v8, vcc
	v_add_f32_e32 v7, 1.0, v7
	v_rcp_f32_e32 v7, v7
	s_nop 0
	v_fma_f32 v7, v7, -2.0, 1.0
.LBB25_414:
	s_andn2_saveexec_b64 s[2:3], s[2:3]
; %bb.415:
	v_mul_f32_e32 v7, v3, v3
	v_mov_b32_e32 v8, 0x3ca908c9
	v_fmac_f32_e32 v8, 0xbbbac73d, v7
	v_fmaak_f32 v8, v7, v8, 0xbd5c1c4e
	v_fmaak_f32 v8, v7, v8, 0x3e088382
	;; [unrolled: 1-line block ×3, first 2 shown]
	v_mul_f32_e64 v8, |v3|, v8
	v_fma_f32 v7, v7, v8, |v3|
; %bb.416:
	s_or_b64 exec, exec, s[2:3]
	s_brev_b32 s2, -2
	v_bfi_b32 v0, s2, v4, v0
	v_mul_f32_e32 v4, s65, v0
	v_bfi_b32 v0, s2, v5, v1
	v_mul_f32_e32 v5, s65, v0
	v_bfi_b32 v0, s2, v6, v2
	v_mul_f32_e32 v6, s65, v0
	v_bfi_b32 v0, s2, v7, v3
	v_mul_f32_e32 v7, s65, v0
	s_and_b64 vcc, exec, s[12:13]
	s_cbranch_vccz .LBB25_418
; %bb.417:
	v_lshrrev_b32_e32 v12, 2, v32
	v_and_b32_e32 v11, 0xfc, v12
	v_add_u16_e32 v1, v11, v17
	s_movk_i32 s2, 0x90
	v_lshrrev_b16_e32 v1, 1, v1
	v_mad_u32_u24 v0, v84, s2, 0
	v_lshlrev_b32_e32 v1, 2, v1
	s_movk_i32 s2, 0x4400
	v_add3_u32 v0, v0, v1, s2
	ds_read2_b32 v[0:1], v0 offset1:1
	v_add_u32_e32 v10, v11, v17
	s_mov_b64 s[2:3], 0
	s_waitcnt lgkmcnt(0)
	v_cvt_f32_f16_e32 v8, v0
	v_cvt_f32_f16_e32 v2, v1
	v_cvt_f32_f16_sdwa v3, v1 dst_sel:DWORD dst_unused:UNUSED_PAD src0_sel:WORD_1
	v_cvt_f32_f16_sdwa v9, v0 dst_sel:DWORD dst_unused:UNUSED_PAD src0_sel:WORD_1
	v_pk_fma_f32 v[2:3], v[28:29], v[2:3], v[6:7] op_sel_hi:[0,1,1]
	v_pk_fma_f32 v[0:1], v[28:29], v[8:9], v[4:5] op_sel_hi:[0,1,1]
	s_branch .LBB25_419
.LBB25_418:
	s_mov_b64 s[2:3], -1
                                        ; implicit-def: $vgpr0_vgpr1_vgpr2_vgpr3
                                        ; implicit-def: $vgpr12
                                        ; implicit-def: $vgpr11
                                        ; implicit-def: $vgpr10
.LBB25_419:
	v_add_u32_e32 v13, 0x1100, v22
	v_add_u32_e32 v9, 0x2200, v22
	s_andn2_b64 vcc, exec, s[2:3]
	v_add_u32_e32 v8, 0x3300, v22
	s_cbranch_vccnz .LBB25_421
; %bb.420:
	v_and_b32_e32 v11, 0xfc, v83
	v_mov_b64_e32 v[0:1], v[4:5]
	v_add_u32_e32 v10, v11, v17
	v_mov_b32_e32 v12, v83
	v_mov_b64_e32 v[2:3], v[6:7]
.LBB25_421:
	s_mul_hi_i32 s11, s10, s54
	s_mul_i32 s10, s10, s54
	s_lshl_b64 s[10:11], s[10:11], 2
	s_mov_b64 s[2:3], src_private_base
	s_add_u32 s10, s29, s10
	v_mul_lo_u32 v4, s54, v18
	s_addc_u32 s11, s30, s11
	v_ashrrev_i32_e32 v5, 31, v4
	s_lshl_b32 s2, s54, 4
	v_lshl_add_u64 v[6:7], v[4:5], 2, s[10:11]
	v_add_u32_e32 v4, s2, v4
	v_ashrrev_i32_e32 v5, 31, v4
	v_lshl_add_u64 v[14:15], v[4:5], 2, s[10:11]
	v_add_u32_e32 v4, s2, v4
	v_ashrrev_i32_e32 v5, 31, v4
	v_lshl_add_u64 v[18:19], v[4:5], 2, s[10:11]
	v_add_u32_e32 v4, s2, v4
	v_ashrrev_i32_e32 v5, 31, v4
	v_mov_b32_e32 v17, 0
	v_lshl_add_u64 v[4:5], v[4:5], 2, s[10:11]
	v_lshl_add_u64 v[6:7], v[6:7], 0, v[16:17]
	v_mov_b32_e32 v23, s3
	v_mov_b32_e32 v27, 0
	v_lshl_add_u64 v[14:15], v[14:15], 0, v[16:17]
	v_lshl_add_u64 v[24:25], v[18:19], 0, v[16:17]
	;; [unrolled: 1-line block ×3, first 2 shown]
	v_mov_b32_e32 v16, v17
	v_mov_b32_e32 v18, v17
	;; [unrolled: 1-line block ×3, first 2 shown]
	v_cndmask_b32_e64 v7, v23, v7, s[4:5]
	v_cndmask_b32_e64 v6, v27, v6, s[4:5]
	scratch_store_dwordx4 off, v[16:19], off
	flat_load_dwordx4 v[4:7], v[6:7]
	v_cndmask_b32_e64 v15, v23, v15, s[6:7]
	v_cndmask_b32_e64 v14, v27, v14, s[6:7]
	v_or_b32_e32 v16, 3, v12
	v_mul_i32_i24_e32 v41, 0x110, v16
	v_cndmask_b32_e64 v17, v23, v25, s[8:9]
	v_cndmask_b32_e64 v16, v27, v24, s[8:9]
	v_cmp_gt_u32_e32 vcc, s14, v10
	v_add_u32_e32 v18, 1, v10
	v_add_u32_e32 v31, 3, v10
	v_add_f32_e32 v19, 0x40051340, v1
	v_mbcnt_hi_u32_b32 v36, -1, v115
	v_and_b32_e32 v35, 64, v36
	v_cmp_gt_u32_e64 s[8:9], s14, v18
	v_xor_b32_e32 v37, 32, v36
	v_add_f32_e32 v30, 0x40051340, v2
	v_add_f32_e32 v34, 0x40051340, v3
	v_cmp_gt_u32_e64 s[6:7], s14, v31
	v_xor_b32_e32 v40, 16, v36
	s_mov_b32 s12, 0x3fb8aa3b
	v_mul_u32_u24_e32 v39, 0x110, v11
	s_mov_b32 s13, 0xc2ce8ed0
	s_mov_b32 s15, 0x42b17218
	v_mov_b32_e32 v38, 0x7f800000
	s_mov_b32 s3, 0
	s_mov_b32 s16, 0xc1a00000
	v_mov_b32_e32 v12, s3
	v_mov_b32_e32 v11, s3
	s_mov_b32 s2, 0x5040100
	s_waitcnt vmcnt(0) lgkmcnt(0)
	ds_write_b128 v22, v[4:7]
	flat_load_dwordx4 v[4:7], v[14:15]
	v_add_f32_e32 v14, 0x40051340, v0
	v_max_f32_e32 v15, v26, v26
	v_max_f32_e32 v14, v15, v14
	v_add_u32_e32 v22, 2, v10
	v_cndmask_b32_e32 v10, v26, v14, vcc
	v_max_f32_e32 v14, v10, v10
	v_max_f32_e32 v14, v14, v19
	v_cndmask_b32_e64 v10, v10, v14, s[8:9]
	v_max_f32_e32 v14, v10, v10
	v_max_f32_e32 v14, v14, v30
	v_mov_b32_e32 v15, s3
	s_waitcnt vmcnt(0) lgkmcnt(0)
	ds_write_b128 v13, v[4:7]
	flat_load_dwordx4 v[4:7], v[16:17]
	v_add_u32_e32 v13, 64, v35
	v_cmp_lt_i32_e64 s[4:5], v37, v13
	v_cmp_lt_i32_e64 s[10:11], v40, v13
	v_cndmask_b32_e64 v17, v23, v29, s[0:1]
	v_cndmask_b32_e64 v16, v36, v37, s[4:5]
	v_cmp_gt_u32_e64 s[4:5], s14, v22
	v_lshlrev_b32_e32 v35, 2, v16
	v_cndmask_b32_e64 v13, v36, v40, s[10:11]
	v_cndmask_b32_e64 v10, v10, v14, s[4:5]
	v_max_f32_e32 v14, v10, v10
	v_max_f32_e32 v14, v14, v34
	v_cndmask_b32_e64 v10, v10, v14, s[6:7]
	ds_bpermute_b32 v14, v35, v10
	v_lshlrev_b32_e32 v37, 2, v13
	v_max_f32_e32 v10, v10, v10
	v_cndmask_b32_e64 v16, v27, v28, s[0:1]
	v_add3_u32 v36, v21, v39, v66
	s_waitcnt lgkmcnt(0)
	v_max_f32_e32 v13, v14, v14
	v_max_f32_e32 v10, v10, v13
	ds_bpermute_b32 v13, v37, v10
	v_add3_u32 v39, v21, v41, v66
	s_waitcnt lgkmcnt(0)
	v_max_f32_e32 v13, v13, v13
	v_max_f32_e32 v34, v10, v13
	v_sub_f32_e32 v10, v0, v34
	v_sub_f32_e32 v13, v1, v34
	v_sub_f32_e32 v14, v2, v34
	v_sub_f32_e32 v18, v3, v34
	v_mul_f32_e32 v0, 0x3fb8aa3b, v10
	v_mul_f32_e32 v1, 0x3fb8aa3b, v13
	v_mul_f32_e32 v2, 0x3fb8aa3b, v14
	v_mul_f32_e32 v3, 0x3fb8aa3b, v18
	v_sub_f32_e32 v19, v26, v34
	v_fma_f32 v22, v10, s12, -v0
	v_rndne_f32_e32 v23, v0
	v_fma_f32 v24, v13, s12, -v1
	v_rndne_f32_e32 v25, v1
	;; [unrolled: 2-line block ×4, first 2 shown]
	v_fmac_f32_e32 v22, 0x32a5705f, v10
	v_sub_f32_e32 v0, v0, v23
	v_fmac_f32_e32 v24, 0x32a5705f, v13
	v_sub_f32_e32 v1, v1, v25
	;; [unrolled: 2-line block ×4, first 2 shown]
	v_add_f32_e32 v0, v0, v22
	v_add_f32_e32 v1, v1, v24
	;; [unrolled: 1-line block ×4, first 2 shown]
	v_cvt_i32_f32_e32 v23, v23
	v_cvt_i32_f32_e32 v25, v25
	v_cvt_i32_f32_e32 v27, v27
	v_cvt_i32_f32_e32 v29, v29
	v_exp_f32_e32 v0, v0
	v_exp_f32_e32 v1, v1
	;; [unrolled: 1-line block ×4, first 2 shown]
	v_ldexp_f32 v22, v0, v23
	v_ldexp_f32 v23, v1, v25
	;; [unrolled: 1-line block ×4, first 2 shown]
	v_mul_f32_e32 v21, 0x3fb8aa3b, v19
	v_fma_f32 v30, v19, s12, -v21
	v_rndne_f32_e32 v31, v21
	v_fmac_f32_e32 v30, 0x32a5705f, v19
	v_sub_f32_e32 v21, v21, v31
	v_add_f32_e32 v21, v21, v30
	v_cvt_i32_f32_e32 v31, v31
	v_exp_f32_e32 v21, v21
	v_cmp_ngt_f32_e64 s[0:1], s13, v10
	s_waitcnt vmcnt(0)
	ds_write_b128 v9, v[4:7]
	flat_load_dwordx4 v[0:3], v[16:17]
	v_cndmask_b32_e64 v5, 0, v22, s[0:1]
	v_cmp_ngt_f32_e64 s[0:1], s13, v13
	v_ldexp_f32 v4, v21, v31
	s_waitcnt vmcnt(0) lgkmcnt(0)
	ds_write_b128 v8, v[0:3]
	v_cndmask_b32_e64 v6, 0, v23, s[0:1]
	v_cmp_ngt_f32_e64 s[0:1], s13, v14
	s_waitcnt lgkmcnt(0)
	s_barrier
	v_cndmask_b32_e64 v7, 0, v24, s[0:1]
	v_cmp_ngt_f32_e64 s[0:1], s13, v18
	s_nop 1
	v_cndmask_b32_e64 v9, 0, v25, s[0:1]
	v_cmp_ngt_f32_e64 s[0:1], s13, v19
	s_nop 1
	v_cndmask_b32_e64 v4, 0, v4, s[0:1]
	v_cmp_nlt_f32_e64 s[0:1], s15, v10
	s_nop 1
	v_cndmask_b32_e64 v5, v38, v5, s[0:1]
	v_cmp_nlt_f32_e64 s[0:1], s15, v13
	s_nop 1
	v_cndmask_b32_e64 v10, v38, v6, s[0:1]
	v_cmp_nlt_f32_e64 s[0:1], s15, v14
	s_nop 1
	v_cndmask_b32_e64 v7, v38, v7, s[0:1]
	v_cmp_nlt_f32_e64 s[0:1], s15, v18
	v_cndmask_b32_e64 v6, v12, v7, s[4:5]
	s_nop 0
	v_cndmask_b32_e64 v9, v38, v9, s[0:1]
	v_cmp_nlt_f32_e64 s[0:1], s15, v19
	s_nop 1
	v_cndmask_b32_e64 v13, v38, v4, s[0:1]
	v_cndmask_b32_e32 v4, 0, v5, vcc
	v_cmp_le_f32_e32 vcc, s16, v19
	v_cndmask_b32_e64 v5, v11, v10, s[8:9]
	v_add_f32_e32 v10, v10, v4
	v_cndmask_b32_e32 v12, 0, v13, vcc
	v_cvt_f16_f32_e32 v13, v12
	v_cvt_pk_f16_f32 v30, v4, v5
	v_cndmask_b32_e64 v4, v4, v10, s[8:9]
	v_cndmask_b32_e64 v11, v15, v9, s[6:7]
	v_add_f32_e32 v5, v4, v7
	v_cvt_pk_f16_f32 v31, v6, v11
	v_cndmask_b32_e64 v4, v4, v5, s[4:5]
	v_mul_u32_u24_e32 v6, 0x10001, v13
	v_add_f32_e32 v5, v4, v9
	v_pk_mul_f16 v9, v80, v6
	v_pk_mul_f16 v29, v71, v6
	;; [unrolled: 1-line block ×6, first 2 shown]
	v_cvt_f32_f16_e32 v10, v9
	v_cvt_f32_f16_sdwa v11, v9 dst_sel:DWORD dst_unused:UNUSED_PAD src0_sel:WORD_1
	ds_read_u16 v0, v36
	ds_read_u16 v2, v36 offset:32
	ds_read_u16 v42, v36 offset:64
	;; [unrolled: 1-line block ×23, first 2 shown]
	ds_read_u16 v62, v39
	ds_read_u16 v63, v39 offset:32
	ds_read_u16 v66, v39 offset:64
	;; [unrolled: 1-line block ×7, first 2 shown]
	v_cndmask_b32_e64 v46, v4, v5, s[6:7]
	v_pk_mul_f16 v5, v82, v6
	v_pk_mul_f16 v7, v81, v6
	;; [unrolled: 1-line block ×3, first 2 shown]
	s_waitcnt lgkmcnt(7)
	v_perm_b32 v1, v62, v1, s2
	v_perm_b32 v0, v3, v0, s2
	s_waitcnt lgkmcnt(6)
	v_perm_b32 v9, v63, v9, s2
	v_perm_b32 v8, v8, v2, s2
	v_pk_mul_f16 v15, v78, v6
	v_pk_mul_f16 v17, v77, v6
	;; [unrolled: 1-line block ×7, first 2 shown]
	v_fmac_f32_e32 v46, v20, v12
	v_cvt_f32_f16_e32 v4, v5
	v_cvt_f32_f16_sdwa v5, v5 dst_sel:DWORD dst_unused:UNUSED_PAD src0_sel:WORD_1
	v_cvt_f32_f16_e32 v6, v7
	v_cvt_f32_f16_sdwa v7, v7 dst_sel:DWORD dst_unused:UNUSED_PAD src0_sel:WORD_1
	;; [unrolled: 2-line block ×3, first 2 shown]
	s_waitcnt lgkmcnt(5)
	v_perm_b32 v45, v66, v45, s2
	v_perm_b32 v44, v44, v42, s2
	v_cvt_f32_f16_e32 v14, v15
	v_cvt_f32_f16_sdwa v15, v15 dst_sel:DWORD dst_unused:UNUSED_PAD src0_sel:WORD_1
	v_cvt_f32_f16_e32 v16, v17
	v_cvt_f32_f16_sdwa v17, v17 dst_sel:DWORD dst_unused:UNUSED_PAD src0_sel:WORD_1
	v_mfma_f32_16x16x16_f16 v[0:3], v[0:1], v[30:31], v[4:7]
	v_cvt_f32_f16_e32 v18, v19
	v_cvt_f32_f16_sdwa v19, v19 dst_sel:DWORD dst_unused:UNUSED_PAD src0_sel:WORD_1
	v_cvt_f32_f16_e32 v20, v21
	v_mfma_f32_16x16x16_f16 v[4:7], v[8:9], v[30:31], v[10:13]
	v_cvt_f32_f16_sdwa v21, v21 dst_sel:DWORD dst_unused:UNUSED_PAD src0_sel:WORD_1
	v_cvt_f32_f16_e32 v22, v23
	v_cvt_f32_f16_sdwa v23, v23 dst_sel:DWORD dst_unused:UNUSED_PAD src0_sel:WORD_1
	s_waitcnt lgkmcnt(4)
	v_perm_b32 v13, v67, v58, s2
	v_perm_b32 v12, v53, v48, s2
	v_mfma_f32_16x16x16_f16 v[8:11], v[44:45], v[30:31], v[14:17]
	v_cvt_f32_f16_e32 v24, v25
	v_cvt_f32_f16_sdwa v25, v25 dst_sel:DWORD dst_unused:UNUSED_PAD src0_sel:WORD_1
	v_cvt_f32_f16_e32 v26, v27
	s_waitcnt lgkmcnt(3)
	v_perm_b32 v17, v68, v59, s2
	v_perm_b32 v16, v54, v49, s2
	v_mfma_f32_16x16x16_f16 v[12:15], v[12:13], v[30:31], v[18:21]
	v_cvt_f32_f16_sdwa v27, v27 dst_sel:DWORD dst_unused:UNUSED_PAD src0_sel:WORD_1
	v_cvt_f32_f16_e32 v28, v29
	v_cvt_f32_f16_sdwa v29, v29 dst_sel:DWORD dst_unused:UNUSED_PAD src0_sel:WORD_1
	s_waitcnt lgkmcnt(2)
	v_perm_b32 v21, v69, v60, s2
	v_perm_b32 v20, v55, v50, s2
	v_cvt_f32_f16_e32 v44, v47
	v_cvt_f32_f16_sdwa v45, v47 dst_sel:DWORD dst_unused:UNUSED_PAD src0_sel:WORD_1
	ds_bpermute_b32 v47, v35, v46
	v_mfma_f32_16x16x16_f16 v[16:19], v[16:17], v[30:31], v[22:25]
	v_cvt_f32_f16_e32 v38, v40
	v_cvt_f32_f16_sdwa v39, v40 dst_sel:DWORD dst_unused:UNUSED_PAD src0_sel:WORD_1
	v_cvt_f32_f16_e32 v40, v41
	s_waitcnt lgkmcnt(2)
	v_perm_b32 v25, v70, v61, s2
	v_perm_b32 v24, v56, v51, s2
	v_cvt_f32_f16_sdwa v41, v41 dst_sel:DWORD dst_unused:UNUSED_PAD src0_sel:WORD_1
	v_mfma_f32_16x16x16_f16 v[20:23], v[20:21], v[30:31], v[26:29]
	v_cvt_f32_f16_e32 v42, v43
	v_cvt_f32_f16_sdwa v43, v43 dst_sel:DWORD dst_unused:UNUSED_PAD src0_sel:WORD_1
	s_movk_i32 s4, 0x110
	s_waitcnt lgkmcnt(1)
	v_perm_b32 v29, v71, v36, s2
	v_perm_b32 v28, v57, v52, s2
	s_waitcnt lgkmcnt(0)
	v_add_f32_e32 v36, v46, v47
	v_mfma_f32_16x16x16_f16 v[24:27], v[24:25], v[30:31], v[38:41]
	v_cmp_gt_u32_e64 s[0:1], 16, v32
	s_barrier
	s_nop 0
	ds_bpermute_b32 v38, v37, v36
	v_mfma_f32_16x16x16_f16 v[28:31], v[28:29], v[30:31], v[42:45]
	s_waitcnt lgkmcnt(0)
	s_and_saveexec_b64 s[2:3], s[0:1]
; %bb.422:
	v_add_f32_e32 v36, v36, v38
	v_or_b32_e32 v38, v112, v32
	v_mad_u32_u24 v38, v38, s4, 0
	ds_write2_b32 v38, v34, v36 offset0:64 offset1:65
; %bb.423:
	s_or_b64 exec, exec, s[2:3]
	v_and_b32_e32 v34, 3, v113
	v_cmp_eq_u32_e32 vcc, 0, v34
	v_cmp_ne_u32_e64 s[4:5], 0, v34
	s_waitcnt lgkmcnt(0)
	s_barrier
	s_and_saveexec_b64 s[2:3], s[4:5]
	s_xor_b64 s[2:3], exec, s[2:3]
	s_cbranch_execz .LBB25_425
; %bb.424:
	s_barrier
                                        ; implicit-def: $vgpr35
                                        ; implicit-def: $vgpr37
                                        ; implicit-def: $vgpr114
.LBB25_425:
	s_andn2_saveexec_b64 s[2:3], s[2:3]
	s_cbranch_execz .LBB25_429
; %bb.426:
	v_add_u32_e32 v34, v112, v32
	s_movk_i32 s4, 0x110
	v_mad_u32_u24 v40, v34, s4, 0
	ds_read_b64 v[38:39], v40 offset:256
	s_mov_b32 s4, 0x3fb8aa3b
	s_mov_b32 s6, 0x42b17218
	;; [unrolled: 1-line block ×3, first 2 shown]
	s_waitcnt lgkmcnt(0)
	ds_bpermute_b32 v34, v35, v38
	v_max_f32_e32 v36, v38, v38
	s_barrier
	s_waitcnt lgkmcnt(0)
	v_max_f32_e32 v34, v34, v34
	v_max_f32_e32 v34, v36, v34
	ds_bpermute_b32 v36, v37, v34
	s_waitcnt lgkmcnt(0)
	v_max_f32_e32 v36, v36, v36
	v_max_f32_e32 v34, v34, v36
	v_sub_f32_e32 v36, v38, v34
	v_mul_f32_e32 v38, 0x3fb8aa3b, v36
	v_fma_f32 v41, v36, s4, -v38
	v_rndne_f32_e32 v42, v38
	v_fmamk_f32 v41, v36, 0x32a5705f, v41
	v_sub_f32_e32 v38, v38, v42
	v_add_f32_e32 v38, v38, v41
	v_cvt_i32_f32_e32 v42, v42
	v_exp_f32_e32 v38, v38
	s_mov_b32 s4, 0xc2ce8ed0
	v_cmp_ngt_f32_e64 s[4:5], s4, v36
	v_mov_b32_e32 v41, 0x7f800000
	v_ldexp_f32 v38, v38, v42
	v_cndmask_b32_e64 v38, 0, v38, s[4:5]
	v_cmp_nlt_f32_e64 s[4:5], s6, v36
	s_nop 1
	v_cndmask_b32_e64 v36, v41, v38, s[4:5]
	v_mul_f32_e32 v38, v39, v36
	ds_bpermute_b32 v35, v35, v38
	s_waitcnt lgkmcnt(0)
	v_fmac_f32_e32 v35, v39, v36
	ds_bpermute_b32 v37, v37, v35
	s_waitcnt lgkmcnt(0)
	v_add_f32_e32 v37, v35, v37
	ds_write_b64 v40, v[36:37] offset:256
	s_and_saveexec_b64 s[4:5], s[0:1]
	s_cbranch_execz .LBB25_428
; %bb.427:
	s_add_i32 s0, s61, s60
	s_lshl_b32 s6, s0, 4
	s_lshl_b64 s[0:1], s[6:7], 3
	s_add_u32 s0, s50, s0
	v_or_b32_e32 v35, v114, v32
	s_addc_u32 s1, s51, s1
	v_lshlrev_b32_e32 v36, 3, v35
	v_mov_b32_e32 v35, v37
	global_store_dwordx2 v36, v[34:35], s[0:1]
.LBB25_428:
	s_or_b64 exec, exec, s[4:5]
.LBB25_429:
	s_or_b64 exec, exec, s[2:3]
	v_cvt_pk_f16_f32 v2, v2, v3
	v_cvt_pk_f16_f32 v3, v4, v5
	;; [unrolled: 1-line block ×4, first 2 shown]
	v_or_b32_e32 v16, v112, v64
	v_mul_u32_u24_e32 v16, 0x110, v16
	v_cvt_pk_f16_f32 v0, v0, v1
	s_movk_i32 s4, 0x110
	s_mov_b32 s3, 0
	v_add3_u32 v16, 0, v16, v65
	v_cvt_pk_f16_f32 v1, v6, v7
	v_cvt_pk_f16_f32 v4, v10, v11
	;; [unrolled: 1-line block ×11, first 2 shown]
	ds_write2_b32 v16, v0, v2 offset1:1
	ds_write2_b32 v16, v3, v1 offset0:8 offset1:9
	ds_write2_b32 v16, v5, v4 offset0:16 offset1:17
	;; [unrolled: 1-line block ×7, first 2 shown]
	s_waitcnt lgkmcnt(0)
	s_barrier
	s_and_saveexec_b64 s[0:1], vcc
	s_cbranch_execz .LBB25_431
; %bb.430:
	s_lshl_b32 s2, s60, 10
	s_lshl_b64 s[6:7], s[2:3], 3
	s_add_u32 s5, s50, s6
	s_addc_u32 s6, s51, s7
	v_bfe_u32 v1, v113, 2, 4
	s_movk_i32 s7, 0x3c0
	v_and_or_b32 v1, v113, s7, v1
	v_mad_u32_u24 v10, v1, s4, v33
	ds_read2st64_b32 v[2:3], v10 offset1:17
	v_mad_u32_u24 v1, v1, s4, 0
	ds_read2st64_b32 v[4:5], v1 offset0:1 offset1:18
	ds_read2st64_b32 v[8:9], v1 offset0:35 offset1:52
	;; [unrolled: 1-line block ×3, first 2 shown]
	v_lshrrev_b32_e32 v0, 2, v113
	s_waitcnt lgkmcnt(3)
	v_cvt_f32_f16_e32 v6, v2
	v_cvt_f32_f16_sdwa v7, v2 dst_sel:DWORD dst_unused:UNUSED_PAD src0_sel:WORD_1
	v_cvt_f32_f16_e32 v2, v3
	v_cvt_f32_f16_sdwa v3, v3 dst_sel:DWORD dst_unused:UNUSED_PAD src0_sel:WORD_1
	s_waitcnt lgkmcnt(0)
	v_cvt_f32_f16_e32 v12, v10
	v_cvt_f32_f16_sdwa v13, v10 dst_sel:DWORD dst_unused:UNUSED_PAD src0_sel:WORD_1
	v_cvt_f32_f16_e32 v10, v11
	v_cvt_f32_f16_sdwa v11, v11 dst_sel:DWORD dst_unused:UNUSED_PAD src0_sel:WORD_1
	v_pk_fma_f32 v[6:7], v[4:5], v[6:7], 0 op_sel_hi:[0,1,0]
	v_mov_b32_e32 v4, v5
	s_lshl_b32 s2, s61, 5
	v_pk_fma_f32 v[2:3], v[4:5], v[2:3], v[6:7] op_sel_hi:[0,1,1]
	s_lshl_b64 s[2:3], s[2:3], 3
	v_pk_fma_f32 v[2:3], v[8:9], v[12:13], v[2:3] op_sel_hi:[0,1,1]
	v_mov_b32_e32 v4, v9
	v_add_u32_e32 v6, 1, v0
	s_add_u32 s2, s5, s2
	v_pk_fma_f32 v[2:3], v[4:5], v[10:11], v[2:3] op_sel_hi:[0,1,1]
	v_lshlrev_b32_e32 v4, 2, v6
	v_and_b32_e32 v5, 15, v6
	s_movk_i32 s5, 0x7c0
	v_and_or_b32 v7, v4, s5, v5
	v_mad_u32_u24 v10, v7, s4, v33
	s_addc_u32 s3, s6, s3
	v_add_lshl_u32 v1, v112, v32, 3
	ds_read2st64_b32 v[4:5], v10 offset1:17
	global_store_dwordx2 v1, v[2:3], s[2:3]
	v_mad_u32_u24 v1, v7, s4, 0
	ds_read2st64_b32 v[2:3], v1 offset0:1 offset1:18
	ds_read2st64_b32 v[8:9], v1 offset0:35 offset1:52
	ds_read2st64_b32 v[10:11], v10 offset0:34 offset1:51
	v_lshlrev_b32_e32 v12, 6, v6
	s_waitcnt lgkmcnt(3)
	v_cvt_f32_f16_e32 v6, v4
	v_cvt_f32_f16_sdwa v7, v4 dst_sel:DWORD dst_unused:UNUSED_PAD src0_sel:WORD_1
	v_cvt_f32_f16_e32 v4, v5
	v_cvt_f32_f16_sdwa v5, v5 dst_sel:DWORD dst_unused:UNUSED_PAD src0_sel:WORD_1
	v_add_lshl_u32 v1, v12, v32, 3
	s_waitcnt lgkmcnt(0)
	v_cvt_f32_f16_e32 v12, v10
	v_cvt_f32_f16_sdwa v13, v10 dst_sel:DWORD dst_unused:UNUSED_PAD src0_sel:WORD_1
	v_cvt_f32_f16_e32 v10, v11
	v_cvt_f32_f16_sdwa v11, v11 dst_sel:DWORD dst_unused:UNUSED_PAD src0_sel:WORD_1
	v_pk_fma_f32 v[6:7], v[2:3], v[6:7], 0 op_sel_hi:[0,1,0]
	v_mov_b32_e32 v2, v3
	v_pk_fma_f32 v[2:3], v[2:3], v[4:5], v[6:7] op_sel_hi:[0,1,1]
	v_pk_fma_f32 v[2:3], v[8:9], v[12:13], v[2:3] op_sel_hi:[0,1,1]
	v_mov_b32_e32 v4, v9
	v_add_u32_e32 v6, 2, v0
	v_pk_fma_f32 v[2:3], v[4:5], v[10:11], v[2:3] op_sel_hi:[0,1,1]
	v_lshlrev_b32_e32 v4, 2, v6
	v_and_b32_e32 v5, 15, v6
	v_and_or_b32 v7, v4, s5, v5
	v_mad_u32_u24 v10, v7, s4, v33
	ds_read2st64_b32 v[4:5], v10 offset1:17
	global_store_dwordx2 v1, v[2:3], s[2:3]
	v_mad_u32_u24 v1, v7, s4, 0
	ds_read2st64_b32 v[2:3], v1 offset0:1 offset1:18
	ds_read2st64_b32 v[8:9], v1 offset0:35 offset1:52
	ds_read2st64_b32 v[10:11], v10 offset0:34 offset1:51
	v_lshlrev_b32_e32 v12, 6, v6
	s_waitcnt lgkmcnt(3)
	v_cvt_f32_f16_e32 v6, v4
	v_cvt_f32_f16_sdwa v7, v4 dst_sel:DWORD dst_unused:UNUSED_PAD src0_sel:WORD_1
	v_cvt_f32_f16_e32 v4, v5
	v_cvt_f32_f16_sdwa v5, v5 dst_sel:DWORD dst_unused:UNUSED_PAD src0_sel:WORD_1
	v_add_lshl_u32 v1, v12, v32, 3
	s_waitcnt lgkmcnt(0)
	v_cvt_f32_f16_e32 v12, v10
	v_cvt_f32_f16_sdwa v13, v10 dst_sel:DWORD dst_unused:UNUSED_PAD src0_sel:WORD_1
	v_cvt_f32_f16_e32 v10, v11
	v_cvt_f32_f16_sdwa v11, v11 dst_sel:DWORD dst_unused:UNUSED_PAD src0_sel:WORD_1
	v_pk_fma_f32 v[6:7], v[2:3], v[6:7], 0 op_sel_hi:[0,1,0]
	v_mov_b32_e32 v2, v3
	v_pk_fma_f32 v[2:3], v[2:3], v[4:5], v[6:7] op_sel_hi:[0,1,1]
	v_pk_fma_f32 v[2:3], v[8:9], v[12:13], v[2:3] op_sel_hi:[0,1,1]
	v_mov_b32_e32 v4, v9
	v_add_u32_e32 v6, 3, v0
	v_pk_fma_f32 v[2:3], v[4:5], v[10:11], v[2:3] op_sel_hi:[0,1,1]
	v_lshlrev_b32_e32 v4, 2, v6
	v_and_b32_e32 v5, 15, v6
	v_and_or_b32 v7, v4, s5, v5
	v_mad_u32_u24 v10, v7, s4, v33
	;; [unrolled: 29-line block ×13, first 2 shown]
	ds_read2st64_b32 v[4:5], v10 offset1:17
	global_store_dwordx2 v1, v[2:3], s[2:3]
	v_mad_u32_u24 v1, v7, s4, 0
	ds_read2st64_b32 v[2:3], v1 offset0:1 offset1:18
	ds_read2st64_b32 v[8:9], v1 offset0:35 offset1:52
	;; [unrolled: 1-line block ×3, first 2 shown]
	v_lshlrev_b32_e32 v12, 6, v6
	s_waitcnt lgkmcnt(3)
	v_cvt_f32_f16_e32 v6, v4
	v_cvt_f32_f16_sdwa v7, v4 dst_sel:DWORD dst_unused:UNUSED_PAD src0_sel:WORD_1
	v_cvt_f32_f16_e32 v4, v5
	v_cvt_f32_f16_sdwa v5, v5 dst_sel:DWORD dst_unused:UNUSED_PAD src0_sel:WORD_1
	v_add_lshl_u32 v14, v12, v32, 3
	s_waitcnt lgkmcnt(0)
	v_cvt_f32_f16_e32 v12, v10
	v_cvt_f32_f16_sdwa v13, v10 dst_sel:DWORD dst_unused:UNUSED_PAD src0_sel:WORD_1
	v_cvt_f32_f16_e32 v10, v11
	v_cvt_f32_f16_sdwa v11, v11 dst_sel:DWORD dst_unused:UNUSED_PAD src0_sel:WORD_1
	v_pk_fma_f32 v[6:7], v[2:3], v[6:7], 0 op_sel_hi:[0,1,0]
	v_mov_b32_e32 v2, v3
	v_pk_fma_f32 v[2:3], v[2:3], v[4:5], v[6:7] op_sel_hi:[0,1,1]
	v_pk_fma_f32 v[2:3], v[8:9], v[12:13], v[2:3] op_sel_hi:[0,1,1]
	v_mov_b32_e32 v4, v9
	v_pk_fma_f32 v[2:3], v[4:5], v[10:11], v[2:3] op_sel_hi:[0,1,1]
	v_add_u32_e32 v4, 15, v0
	v_lshlrev_b32_e32 v0, 2, v4
	v_and_b32_e32 v1, 15, v4
	v_and_or_b32 v5, v0, s5, v1
	v_mad_u32_u24 v8, v5, s4, v33
	ds_read2st64_b32 v[0:1], v8 offset1:17
	global_store_dwordx2 v14, v[2:3], s[2:3]
	v_mad_u32_u24 v6, v5, s4, 0
	ds_read2st64_b32 v[2:3], v6 offset0:1 offset1:18
	ds_read2st64_b32 v[6:7], v6 offset0:35 offset1:52
	;; [unrolled: 1-line block ×3, first 2 shown]
	v_lshlrev_b32_e32 v10, 6, v4
	s_waitcnt lgkmcnt(3)
	v_cvt_f32_f16_e32 v4, v0
	v_cvt_f32_f16_sdwa v5, v0 dst_sel:DWORD dst_unused:UNUSED_PAD src0_sel:WORD_1
	v_cvt_f32_f16_e32 v0, v1
	v_cvt_f32_f16_sdwa v1, v1 dst_sel:DWORD dst_unused:UNUSED_PAD src0_sel:WORD_1
	v_add_lshl_u32 v12, v10, v32, 3
	s_waitcnt lgkmcnt(0)
	v_cvt_f32_f16_e32 v10, v8
	v_cvt_f32_f16_sdwa v11, v8 dst_sel:DWORD dst_unused:UNUSED_PAD src0_sel:WORD_1
	v_cvt_f32_f16_e32 v8, v9
	v_cvt_f32_f16_sdwa v9, v9 dst_sel:DWORD dst_unused:UNUSED_PAD src0_sel:WORD_1
	v_pk_fma_f32 v[4:5], v[2:3], v[4:5], 0 op_sel_hi:[0,1,0]
	v_mov_b32_e32 v2, v3
	v_pk_fma_f32 v[0:1], v[2:3], v[0:1], v[4:5] op_sel_hi:[0,1,1]
	v_pk_fma_f32 v[0:1], v[6:7], v[10:11], v[0:1] op_sel_hi:[0,1,1]
	v_mov_b32_e32 v2, v7
	v_pk_fma_f32 v[0:1], v[2:3], v[8:9], v[0:1] op_sel_hi:[0,1,1]
	global_store_dwordx2 v12, v[0:1], s[2:3]
.LBB25_431:
	s_or_b64 exec, exec, s[0:1]
	s_barrier
	s_endpgm
	.section	.rodata,"a",@progbits
	.p2align	6, 0x0
	.amdhsa_kernel _ZL18flash_attn_ext_f16ILi128ELi128ELi16ELi1ELb1ELb0EEvPKcS1_S1_S1_S1_PKiPfP15HIP_vector_typeIfLj2EEffffjfiS5_IjLj3EEiiiiiiiiiiiliiliiiiil
		.amdhsa_group_segment_fixed_size 0
		.amdhsa_private_segment_fixed_size 32
		.amdhsa_kernarg_size 464
		.amdhsa_user_sgpr_count 2
		.amdhsa_user_sgpr_dispatch_ptr 0
		.amdhsa_user_sgpr_queue_ptr 0
		.amdhsa_user_sgpr_kernarg_segment_ptr 1
		.amdhsa_user_sgpr_dispatch_id 0
		.amdhsa_user_sgpr_kernarg_preload_length 0
		.amdhsa_user_sgpr_kernarg_preload_offset 0
		.amdhsa_user_sgpr_private_segment_size 0
		.amdhsa_uses_dynamic_stack 0
		.amdhsa_enable_private_segment 1
		.amdhsa_system_sgpr_workgroup_id_x 1
		.amdhsa_system_sgpr_workgroup_id_y 0
		.amdhsa_system_sgpr_workgroup_id_z 0
		.amdhsa_system_sgpr_workgroup_info 0
		.amdhsa_system_vgpr_workitem_id 1
		.amdhsa_next_free_vgpr 219
		.amdhsa_next_free_sgpr 100
		.amdhsa_accum_offset 220
		.amdhsa_reserve_vcc 1
		.amdhsa_float_round_mode_32 0
		.amdhsa_float_round_mode_16_64 0
		.amdhsa_float_denorm_mode_32 3
		.amdhsa_float_denorm_mode_16_64 3
		.amdhsa_dx10_clamp 1
		.amdhsa_ieee_mode 1
		.amdhsa_fp16_overflow 0
		.amdhsa_tg_split 0
		.amdhsa_exception_fp_ieee_invalid_op 0
		.amdhsa_exception_fp_denorm_src 0
		.amdhsa_exception_fp_ieee_div_zero 0
		.amdhsa_exception_fp_ieee_overflow 0
		.amdhsa_exception_fp_ieee_underflow 0
		.amdhsa_exception_fp_ieee_inexact 0
		.amdhsa_exception_int_div_zero 0
	.end_amdhsa_kernel
	.section	.text._ZL18flash_attn_ext_f16ILi128ELi128ELi16ELi1ELb1ELb0EEvPKcS1_S1_S1_S1_PKiPfP15HIP_vector_typeIfLj2EEffffjfiS5_IjLj3EEiiiiiiiiiiiliiliiiiil,"axG",@progbits,_ZL18flash_attn_ext_f16ILi128ELi128ELi16ELi1ELb1ELb0EEvPKcS1_S1_S1_S1_PKiPfP15HIP_vector_typeIfLj2EEffffjfiS5_IjLj3EEiiiiiiiiiiiliiliiiiil,comdat
.Lfunc_end25:
	.size	_ZL18flash_attn_ext_f16ILi128ELi128ELi16ELi1ELb1ELb0EEvPKcS1_S1_S1_S1_PKiPfP15HIP_vector_typeIfLj2EEffffjfiS5_IjLj3EEiiiiiiiiiiiliiliiiiil, .Lfunc_end25-_ZL18flash_attn_ext_f16ILi128ELi128ELi16ELi1ELb1ELb0EEvPKcS1_S1_S1_S1_PKiPfP15HIP_vector_typeIfLj2EEffffjfiS5_IjLj3EEiiiiiiiiiiiliiliiiiil
                                        ; -- End function
	.set _ZL18flash_attn_ext_f16ILi128ELi128ELi16ELi1ELb1ELb0EEvPKcS1_S1_S1_S1_PKiPfP15HIP_vector_typeIfLj2EEffffjfiS5_IjLj3EEiiiiiiiiiiiliiliiiiil.num_vgpr, 219
	.set _ZL18flash_attn_ext_f16ILi128ELi128ELi16ELi1ELb1ELb0EEvPKcS1_S1_S1_S1_PKiPfP15HIP_vector_typeIfLj2EEffffjfiS5_IjLj3EEiiiiiiiiiiiliiliiiiil.num_agpr, 0
	.set _ZL18flash_attn_ext_f16ILi128ELi128ELi16ELi1ELb1ELb0EEvPKcS1_S1_S1_S1_PKiPfP15HIP_vector_typeIfLj2EEffffjfiS5_IjLj3EEiiiiiiiiiiiliiliiiiil.numbered_sgpr, 100
	.set _ZL18flash_attn_ext_f16ILi128ELi128ELi16ELi1ELb1ELb0EEvPKcS1_S1_S1_S1_PKiPfP15HIP_vector_typeIfLj2EEffffjfiS5_IjLj3EEiiiiiiiiiiiliiliiiiil.num_named_barrier, 0
	.set _ZL18flash_attn_ext_f16ILi128ELi128ELi16ELi1ELb1ELb0EEvPKcS1_S1_S1_S1_PKiPfP15HIP_vector_typeIfLj2EEffffjfiS5_IjLj3EEiiiiiiiiiiiliiliiiiil.private_seg_size, 32
	.set _ZL18flash_attn_ext_f16ILi128ELi128ELi16ELi1ELb1ELb0EEvPKcS1_S1_S1_S1_PKiPfP15HIP_vector_typeIfLj2EEffffjfiS5_IjLj3EEiiiiiiiiiiiliiliiiiil.uses_vcc, 1
	.set _ZL18flash_attn_ext_f16ILi128ELi128ELi16ELi1ELb1ELb0EEvPKcS1_S1_S1_S1_PKiPfP15HIP_vector_typeIfLj2EEffffjfiS5_IjLj3EEiiiiiiiiiiiliiliiiiil.uses_flat_scratch, 0
	.set _ZL18flash_attn_ext_f16ILi128ELi128ELi16ELi1ELb1ELb0EEvPKcS1_S1_S1_S1_PKiPfP15HIP_vector_typeIfLj2EEffffjfiS5_IjLj3EEiiiiiiiiiiiliiliiiiil.has_dyn_sized_stack, 0
	.set _ZL18flash_attn_ext_f16ILi128ELi128ELi16ELi1ELb1ELb0EEvPKcS1_S1_S1_S1_PKiPfP15HIP_vector_typeIfLj2EEffffjfiS5_IjLj3EEiiiiiiiiiiiliiliiiiil.has_recursion, 0
	.set _ZL18flash_attn_ext_f16ILi128ELi128ELi16ELi1ELb1ELb0EEvPKcS1_S1_S1_S1_PKiPfP15HIP_vector_typeIfLj2EEffffjfiS5_IjLj3EEiiiiiiiiiiiliiliiiiil.has_indirect_call, 0
	.section	.AMDGPU.csdata,"",@progbits
; Kernel info:
; codeLenInByte = 49416
; TotalNumSgprs: 106
; NumVgprs: 219
; NumAgprs: 0
; TotalNumVgprs: 219
; ScratchSize: 32
; MemoryBound: 0
; FloatMode: 240
; IeeeMode: 1
; LDSByteSize: 0 bytes/workgroup (compile time only)
; SGPRBlocks: 13
; VGPRBlocks: 27
; NumSGPRsForWavesPerEU: 106
; NumVGPRsForWavesPerEU: 219
; AccumOffset: 220
; Occupancy: 2
; WaveLimiterHint : 0
; COMPUTE_PGM_RSRC2:SCRATCH_EN: 1
; COMPUTE_PGM_RSRC2:USER_SGPR: 2
; COMPUTE_PGM_RSRC2:TRAP_HANDLER: 0
; COMPUTE_PGM_RSRC2:TGID_X_EN: 1
; COMPUTE_PGM_RSRC2:TGID_Y_EN: 0
; COMPUTE_PGM_RSRC2:TGID_Z_EN: 0
; COMPUTE_PGM_RSRC2:TIDIG_COMP_CNT: 1
; COMPUTE_PGM_RSRC3_GFX90A:ACCUM_OFFSET: 54
; COMPUTE_PGM_RSRC3_GFX90A:TG_SPLIT: 0
	.section	.text._ZL33flash_attn_stream_k_fixup_uniformILi128ELi16ELi1EEvPfPK15HIP_vector_typeIfLj2EEiiiiiiS1_IjLj3EES5_S5_,"axG",@progbits,_ZL33flash_attn_stream_k_fixup_uniformILi128ELi16ELi1EEvPfPK15HIP_vector_typeIfLj2EEiiiiiiS1_IjLj3EES5_S5_,comdat
	.globl	_ZL33flash_attn_stream_k_fixup_uniformILi128ELi16ELi1EEvPfPK15HIP_vector_typeIfLj2EEiiiiiiS1_IjLj3EES5_S5_ ; -- Begin function _ZL33flash_attn_stream_k_fixup_uniformILi128ELi16ELi1EEvPfPK15HIP_vector_typeIfLj2EEiiiiiiS1_IjLj3EES5_S5_
	.p2align	8
	.type	_ZL33flash_attn_stream_k_fixup_uniformILi128ELi16ELi1EEvPfPK15HIP_vector_typeIfLj2EEiiiiiiS1_IjLj3EES5_S5_,@function
_ZL33flash_attn_stream_k_fixup_uniformILi128ELi16ELi1EEvPfPK15HIP_vector_typeIfLj2EEiiiiiiS1_IjLj3EES5_S5_: ; @_ZL33flash_attn_stream_k_fixup_uniformILi128ELi16ELi1EEvPfPK15HIP_vector_typeIfLj2EEiiiiiiS1_IjLj3EES5_S5_
; %bb.0:
	s_load_dwordx8 s[8:15], s[0:1], 0x1c
	s_load_dwordx2 s[6:7], s[0:1], 0x10
	s_load_dwordx4 s[20:23], s[0:1], 0x3c
	s_waitcnt lgkmcnt(0)
	s_mul_hi_u32 s5, s11, s2
	s_add_i32 s5, s2, s5
	s_lshr_b32 s5, s5, s12
	s_mul_i32 s11, s5, s13
	s_sub_i32 s11, s2, s11
	s_mul_hi_u32 s12, s11, s14
	s_add_i32 s12, s11, s12
	s_lshr_b32 s16, s12, s15
	s_mul_i32 s12, s16, s20
	s_sub_i32 s12, s11, s12
	;; [unrolled: 5-line block ×3, first 2 shown]
	s_lshl_b32 s12, s17, 4
	s_add_i32 s12, s12, s3
	s_cmp_lt_i32 s12, s6
	s_cselect_b64 s[12:13], -1, 0
	s_add_i32 s14, s11, s4
	s_cmp_lt_i32 s14, s9
	s_cselect_b64 s[14:15], -1, 0
	s_and_b64 s[12:13], s[12:13], s[14:15]
	s_andn2_b64 vcc, exec, s[12:13]
	s_cbranch_vccnz .LBB26_6
; %bb.1:
	s_load_dwordx4 s[12:15], s[0:1], 0x0
	s_mul_i32 s0, s5, s6
	s_add_i32 s0, s0, s3
	s_mul_i32 s0, s0, s7
	s_mul_i32 s16, s16, s9
	s_add_i32 s0, s0, s4
	s_add_i32 s0, s0, s16
	s_mul_i32 s1, s7, s17
	s_add_i32 s0, s0, s11
	s_lshl_b32 s1, s1, 11
	s_lshl_b32 s0, s0, 7
	s_add_i32 s1, s1, s0
	v_or_b32_e32 v4, s1, v0
	s_waitcnt lgkmcnt(0)
	v_mov_b32_e32 v2, s12
	v_mov_b32_e32 v3, s13
	v_ashrrev_i32_e32 v5, 31, v4
	v_lshl_add_u64 v[2:3], v[4:5], 2, v[2:3]
	global_load_dword v5, v[2:3], off
	s_mul_i32 s6, s10, s2
	s_add_i32 s7, s6, s10
	s_add_i32 s3, s3, s4
	s_lshl_b32 s0, s7, 4
	s_add_i32 s0, s3, s0
	s_add_i32 s0, s0, -16
	s_ashr_i32 s1, s0, 31
	s_lshl_b64 s[0:1], s[0:1], 3
	s_add_u32 s0, s14, s0
	s_addc_u32 s1, s15, s1
	s_load_dword s9, s[0:1], 0x4
	s_add_i32 s4, s7, -2
	s_cmp_lt_i32 s4, s6
	s_cbranch_scc1 .LBB26_4
; %bb.2:
	s_lshl_b32 s4, s8, 6
	s_ashr_i32 s5, s4, 31
	s_lshl_b64 s[4:5], s[4:5], 2
	s_add_u32 s4, s14, s4
	s_addc_u32 s5, s15, s5
	s_add_i32 s2, s2, 1
	s_mul_i32 s2, s10, s2
	s_load_dword s0, s[0:1], 0x0
	s_lshl_b32 s1, s3, 7
	s_lshl_b32 s10, s2, 11
	s_add_i32 s1, s1, s10
	v_or_b32_e32 v0, s1, v0
	s_lshl_b32 s1, s2, 4
	s_add_i32 s1, s3, s1
	s_lshl_b32 s2, s8, 4
	s_add_i32 s1, s1, s2
	s_add_i32 s7, s7, -1
	v_add_u32_e32 v0, 0xfffff000, v0
	s_sub_i32 s2, s1, 32
	s_waitcnt lgkmcnt(0)
	v_mov_b32_e32 v7, s0
	v_mov_b32_e32 v4, s9
	s_mov_b32 s8, 0x3fb8aa3b
	s_mov_b32 s9, 0xc2ce8ed0
	;; [unrolled: 1-line block ×3, first 2 shown]
	v_mov_b32_e32 v6, 0x7f800000
	s_mov_b32 s11, 0xc1a00000
.LBB26_3:                               ; =>This Inner Loop Header: Depth=1
	v_ashrrev_i32_e32 v1, 31, v0
	v_lshl_add_u64 v[8:9], v[0:1], 2, s[4:5]
	global_load_dword v9, v[8:9], off
	s_ashr_i32 s3, s2, 31
	s_lshl_b64 s[0:1], s[2:3], 3
	s_add_u32 s0, s14, s0
	s_addc_u32 s1, s15, s1
	s_load_dwordx2 s[0:1], s[0:1], 0x0
	v_max_f32_e32 v1, v7, v7
	s_add_i32 s7, s7, -1
	s_add_i32 s2, s2, -16
	v_add_u32_e32 v0, 0xfffff800, v0
	s_waitcnt lgkmcnt(0)
	v_max_f32_e64 v10, s0, s0
	v_max_f32_e32 v1, v1, v10
	v_sub_f32_e32 v11, s0, v1
	v_sub_f32_e32 v10, v7, v1
	v_mul_f32_e32 v12, 0x3fb8aa3b, v11
	v_mov_b32_e32 v7, v1
	v_mul_f32_e32 v1, 0x3fb8aa3b, v10
	v_fma_f32 v15, v11, s8, -v12
	v_rndne_f32_e32 v16, v12
	v_fma_f32 v13, v10, s8, -v1
	v_rndne_f32_e32 v14, v1
	v_fmac_f32_e32 v15, 0x32a5705f, v11
	v_sub_f32_e32 v12, v12, v16
	v_fmac_f32_e32 v13, 0x32a5705f, v10
	v_sub_f32_e32 v1, v1, v14
	v_add_f32_e32 v12, v12, v15
	v_cvt_i32_f32_e32 v16, v16
	v_add_f32_e32 v1, v1, v13
	v_exp_f32_e32 v12, v12
	v_cvt_i32_f32_e32 v14, v14
	v_exp_f32_e32 v1, v1
	v_cmp_ngt_f32_e32 vcc, s9, v11
	v_ldexp_f32 v12, v12, v16
	v_mov_b32_e32 v8, s1
	v_ldexp_f32 v1, v1, v14
	v_cmp_ngt_f32_e64 s[0:1], s9, v10
	v_cndmask_b32_e32 v12, 0, v12, vcc
	v_cmp_nlt_f32_e32 vcc, s10, v11
	v_cndmask_b32_e64 v1, 0, v1, s[0:1]
	v_cmp_nlt_f32_e64 s[0:1], s10, v10
	v_cndmask_b32_e32 v12, v6, v12, vcc
	v_cmp_le_f32_e32 vcc, s11, v11
	v_cndmask_b32_e64 v1, v6, v1, s[0:1]
	v_cmp_le_f32_e64 s[0:1], s11, v10
	v_cndmask_b32_e32 v12, 0, v12, vcc
	s_cmp_le_i32 s7, s6
	v_cndmask_b32_e64 v10, 0, v1, s[0:1]
	s_waitcnt vmcnt(0)
	v_pk_mul_f32 v[8:9], v[8:9], v[12:13] op_sel_hi:[1,0]
	s_nop 0
	v_pk_fma_f32 v[4:5], v[4:5], v[10:11], v[8:9] op_sel_hi:[1,0,1]
	s_cbranch_scc0 .LBB26_3
	s_branch .LBB26_5
.LBB26_4:
	s_waitcnt lgkmcnt(0)
	v_mov_b32_e32 v4, s9
.LBB26_5:
	s_waitcnt vmcnt(0)
	v_div_scale_f32 v0, s[0:1], v4, v4, v5
	v_rcp_f32_e32 v1, v0
	v_div_scale_f32 v6, vcc, v5, v4, v5
	v_fma_f32 v7, -v0, v1, 1.0
	v_fmac_f32_e32 v1, v7, v1
	v_mul_f32_e32 v7, v6, v1
	v_fma_f32 v8, -v0, v7, v6
	v_fmac_f32_e32 v7, v8, v1
	v_fma_f32 v0, -v0, v7, v6
	v_div_fmas_f32 v0, v0, v1, v7
	v_div_fixup_f32 v0, v0, v4, v5
	global_store_dword v[2:3], v0, off
.LBB26_6:
	s_endpgm
	.section	.rodata,"a",@progbits
	.p2align	6, 0x0
	.amdhsa_kernel _ZL33flash_attn_stream_k_fixup_uniformILi128ELi16ELi1EEvPfPK15HIP_vector_typeIfLj2EEiiiiiiS1_IjLj3EES5_S5_
		.amdhsa_group_segment_fixed_size 0
		.amdhsa_private_segment_fixed_size 0
		.amdhsa_kernarg_size 76
		.amdhsa_user_sgpr_count 2
		.amdhsa_user_sgpr_dispatch_ptr 0
		.amdhsa_user_sgpr_queue_ptr 0
		.amdhsa_user_sgpr_kernarg_segment_ptr 1
		.amdhsa_user_sgpr_dispatch_id 0
		.amdhsa_user_sgpr_kernarg_preload_length 0
		.amdhsa_user_sgpr_kernarg_preload_offset 0
		.amdhsa_user_sgpr_private_segment_size 0
		.amdhsa_uses_dynamic_stack 0
		.amdhsa_enable_private_segment 0
		.amdhsa_system_sgpr_workgroup_id_x 1
		.amdhsa_system_sgpr_workgroup_id_y 1
		.amdhsa_system_sgpr_workgroup_id_z 1
		.amdhsa_system_sgpr_workgroup_info 0
		.amdhsa_system_vgpr_workitem_id 0
		.amdhsa_next_free_vgpr 17
		.amdhsa_next_free_sgpr 24
		.amdhsa_accum_offset 20
		.amdhsa_reserve_vcc 1
		.amdhsa_float_round_mode_32 0
		.amdhsa_float_round_mode_16_64 0
		.amdhsa_float_denorm_mode_32 3
		.amdhsa_float_denorm_mode_16_64 3
		.amdhsa_dx10_clamp 1
		.amdhsa_ieee_mode 1
		.amdhsa_fp16_overflow 0
		.amdhsa_tg_split 0
		.amdhsa_exception_fp_ieee_invalid_op 0
		.amdhsa_exception_fp_denorm_src 0
		.amdhsa_exception_fp_ieee_div_zero 0
		.amdhsa_exception_fp_ieee_overflow 0
		.amdhsa_exception_fp_ieee_underflow 0
		.amdhsa_exception_fp_ieee_inexact 0
		.amdhsa_exception_int_div_zero 0
	.end_amdhsa_kernel
	.section	.text._ZL33flash_attn_stream_k_fixup_uniformILi128ELi16ELi1EEvPfPK15HIP_vector_typeIfLj2EEiiiiiiS1_IjLj3EES5_S5_,"axG",@progbits,_ZL33flash_attn_stream_k_fixup_uniformILi128ELi16ELi1EEvPfPK15HIP_vector_typeIfLj2EEiiiiiiS1_IjLj3EES5_S5_,comdat
.Lfunc_end26:
	.size	_ZL33flash_attn_stream_k_fixup_uniformILi128ELi16ELi1EEvPfPK15HIP_vector_typeIfLj2EEiiiiiiS1_IjLj3EES5_S5_, .Lfunc_end26-_ZL33flash_attn_stream_k_fixup_uniformILi128ELi16ELi1EEvPfPK15HIP_vector_typeIfLj2EEiiiiiiS1_IjLj3EES5_S5_
                                        ; -- End function
	.set _ZL33flash_attn_stream_k_fixup_uniformILi128ELi16ELi1EEvPfPK15HIP_vector_typeIfLj2EEiiiiiiS1_IjLj3EES5_S5_.num_vgpr, 17
	.set _ZL33flash_attn_stream_k_fixup_uniformILi128ELi16ELi1EEvPfPK15HIP_vector_typeIfLj2EEiiiiiiS1_IjLj3EES5_S5_.num_agpr, 0
	.set _ZL33flash_attn_stream_k_fixup_uniformILi128ELi16ELi1EEvPfPK15HIP_vector_typeIfLj2EEiiiiiiS1_IjLj3EES5_S5_.numbered_sgpr, 24
	.set _ZL33flash_attn_stream_k_fixup_uniformILi128ELi16ELi1EEvPfPK15HIP_vector_typeIfLj2EEiiiiiiS1_IjLj3EES5_S5_.num_named_barrier, 0
	.set _ZL33flash_attn_stream_k_fixup_uniformILi128ELi16ELi1EEvPfPK15HIP_vector_typeIfLj2EEiiiiiiS1_IjLj3EES5_S5_.private_seg_size, 0
	.set _ZL33flash_attn_stream_k_fixup_uniformILi128ELi16ELi1EEvPfPK15HIP_vector_typeIfLj2EEiiiiiiS1_IjLj3EES5_S5_.uses_vcc, 1
	.set _ZL33flash_attn_stream_k_fixup_uniformILi128ELi16ELi1EEvPfPK15HIP_vector_typeIfLj2EEiiiiiiS1_IjLj3EES5_S5_.uses_flat_scratch, 0
	.set _ZL33flash_attn_stream_k_fixup_uniformILi128ELi16ELi1EEvPfPK15HIP_vector_typeIfLj2EEiiiiiiS1_IjLj3EES5_S5_.has_dyn_sized_stack, 0
	.set _ZL33flash_attn_stream_k_fixup_uniformILi128ELi16ELi1EEvPfPK15HIP_vector_typeIfLj2EEiiiiiiS1_IjLj3EES5_S5_.has_recursion, 0
	.set _ZL33flash_attn_stream_k_fixup_uniformILi128ELi16ELi1EEvPfPK15HIP_vector_typeIfLj2EEiiiiiiS1_IjLj3EES5_S5_.has_indirect_call, 0
	.section	.AMDGPU.csdata,"",@progbits
; Kernel info:
; codeLenInByte = 816
; TotalNumSgprs: 30
; NumVgprs: 17
; NumAgprs: 0
; TotalNumVgprs: 17
; ScratchSize: 0
; MemoryBound: 0
; FloatMode: 240
; IeeeMode: 1
; LDSByteSize: 0 bytes/workgroup (compile time only)
; SGPRBlocks: 3
; VGPRBlocks: 2
; NumSGPRsForWavesPerEU: 30
; NumVGPRsForWavesPerEU: 17
; AccumOffset: 20
; Occupancy: 8
; WaveLimiterHint : 0
; COMPUTE_PGM_RSRC2:SCRATCH_EN: 0
; COMPUTE_PGM_RSRC2:USER_SGPR: 2
; COMPUTE_PGM_RSRC2:TRAP_HANDLER: 0
; COMPUTE_PGM_RSRC2:TGID_X_EN: 1
; COMPUTE_PGM_RSRC2:TGID_Y_EN: 1
; COMPUTE_PGM_RSRC2:TGID_Z_EN: 1
; COMPUTE_PGM_RSRC2:TIDIG_COMP_CNT: 0
; COMPUTE_PGM_RSRC3_GFX90A:ACCUM_OFFSET: 4
; COMPUTE_PGM_RSRC3_GFX90A:TG_SPLIT: 0
	.section	.text._ZL33flash_attn_stream_k_fixup_generalILi128ELi16ELi1EEvPfPK15HIP_vector_typeIfLj2EEiiiiS1_IjLj3EES5_S5_S5_,"axG",@progbits,_ZL33flash_attn_stream_k_fixup_generalILi128ELi16ELi1EEvPfPK15HIP_vector_typeIfLj2EEiiiiS1_IjLj3EES5_S5_S5_,comdat
	.globl	_ZL33flash_attn_stream_k_fixup_generalILi128ELi16ELi1EEvPfPK15HIP_vector_typeIfLj2EEiiiiS1_IjLj3EES5_S5_S5_ ; -- Begin function _ZL33flash_attn_stream_k_fixup_generalILi128ELi16ELi1EEvPfPK15HIP_vector_typeIfLj2EEiiiiS1_IjLj3EES5_S5_S5_
	.p2align	8
	.type	_ZL33flash_attn_stream_k_fixup_generalILi128ELi16ELi1EEvPfPK15HIP_vector_typeIfLj2EEiiiiS1_IjLj3EES5_S5_S5_,@function
_ZL33flash_attn_stream_k_fixup_generalILi128ELi16ELi1EEvPfPK15HIP_vector_typeIfLj2EEiiiiS1_IjLj3EES5_S5_S5_: ; @_ZL33flash_attn_stream_k_fixup_generalILi128ELi16ELi1EEvPfPK15HIP_vector_typeIfLj2EEiiiiS1_IjLj3EES5_S5_S5_
; %bb.0:
	s_load_dwordx4 s[8:11], s[0:1], 0x10
	s_load_dword s22, s[0:1], 0x50
	s_mov_b32 s12, 0
	s_waitcnt lgkmcnt(0)
	s_mul_hi_i32 s13, s11, s2
	s_cmp_lg_u64 s[12:13], 0
	s_mul_i32 s5, s11, s2
	s_cbranch_scc0 .LBB27_20
; %bb.1:
	s_add_u32 s6, s22, 0
	s_addc_u32 s7, 0, 0
	s_xor_b64 s[6:7], s[6:7], 0
	v_cvt_f32_u32_e32 v1, s6
	v_cvt_f32_u32_e32 v2, s7
	s_sub_u32 s12, 0, s6
	s_subb_u32 s18, 0, s7
	v_fmamk_f32 v1, v2, 0x4f800000, v1
	v_rcp_f32_e32 v1, v1
	s_nop 0
	v_mul_f32_e32 v1, 0x5f7ffffc, v1
	v_mul_f32_e32 v2, 0x2f800000, v1
	v_trunc_f32_e32 v2, v2
	v_fmamk_f32 v1, v2, 0xcf800000, v1
	v_cvt_u32_f32_e32 v2, v2
	v_cvt_u32_f32_e32 v1, v1
	v_readfirstlane_b32 s19, v2
	v_readfirstlane_b32 s14, v1
	s_mul_i32 s15, s12, s19
	s_mul_hi_u32 s21, s12, s14
	s_mul_i32 s20, s18, s14
	s_add_i32 s15, s21, s15
	s_add_i32 s15, s15, s20
	s_mul_i32 s23, s12, s14
	s_mul_i32 s21, s14, s15
	s_mul_hi_u32 s24, s14, s23
	s_mul_hi_u32 s20, s14, s15
	s_add_u32 s21, s24, s21
	s_addc_u32 s20, 0, s20
	s_mul_hi_u32 s25, s19, s23
	s_mul_i32 s23, s19, s23
	s_add_u32 s21, s21, s23
	s_mul_hi_u32 s24, s19, s15
	s_addc_u32 s20, s20, s25
	s_addc_u32 s21, s24, 0
	s_mul_i32 s15, s19, s15
	s_add_u32 s15, s20, s15
	s_addc_u32 s20, 0, s21
	s_add_u32 s21, s14, s15
	s_cselect_b64 s[14:15], -1, 0
	s_cmp_lg_u64 s[14:15], 0
	s_addc_u32 s19, s19, s20
	s_mul_i32 s14, s12, s19
	s_mul_hi_u32 s15, s12, s21
	s_add_i32 s14, s15, s14
	s_mul_i32 s18, s18, s21
	s_add_i32 s14, s14, s18
	s_mul_i32 s12, s12, s21
	s_mul_hi_u32 s18, s19, s12
	s_mul_i32 s20, s19, s12
	s_mul_i32 s24, s21, s14
	s_mul_hi_u32 s12, s21, s12
	s_mul_hi_u32 s23, s21, s14
	s_add_u32 s12, s12, s24
	s_addc_u32 s23, 0, s23
	s_add_u32 s12, s12, s20
	s_mul_hi_u32 s15, s19, s14
	s_addc_u32 s12, s23, s18
	s_addc_u32 s15, s15, 0
	s_mul_i32 s14, s19, s14
	s_add_u32 s12, s12, s14
	s_addc_u32 s18, 0, s15
	s_add_u32 s20, s21, s12
	s_cselect_b64 s[14:15], -1, 0
	s_cmp_lg_u64 s[14:15], 0
	s_addc_u32 s18, s19, s18
	s_ashr_i32 s14, s13, 31
	s_add_u32 s12, s5, s14
	s_mov_b32 s15, s14
	s_addc_u32 s13, s13, s14
	s_xor_b64 s[12:13], s[12:13], s[14:15]
	s_mul_i32 s21, s12, s18
	s_mul_hi_u32 s23, s12, s20
	s_mul_hi_u32 s19, s12, s18
	s_add_u32 s21, s23, s21
	s_addc_u32 s19, 0, s19
	s_mul_hi_u32 s24, s13, s20
	s_mul_i32 s20, s13, s20
	s_add_u32 s20, s21, s20
	s_mul_hi_u32 s23, s13, s18
	s_addc_u32 s19, s19, s24
	s_addc_u32 s20, s23, 0
	s_mul_i32 s18, s13, s18
	s_add_u32 s23, s19, s18
	s_addc_u32 s24, 0, s20
	s_mul_i32 s18, s6, s24
	s_mul_hi_u32 s19, s6, s23
	s_add_i32 s18, s19, s18
	s_mul_i32 s19, s7, s23
	s_add_i32 s25, s18, s19
	s_sub_i32 s20, s13, s25
	s_mul_i32 s18, s6, s23
	s_sub_u32 s12, s12, s18
	s_cselect_b64 s[18:19], -1, 0
	s_cmp_lg_u64 s[18:19], 0
	s_subb_u32 s26, s20, s7
	s_sub_u32 s27, s12, s6
	s_cselect_b64 s[20:21], -1, 0
	s_cmp_lg_u64 s[20:21], 0
	s_subb_u32 s20, s26, 0
	s_cmp_ge_u32 s20, s7
	s_cselect_b32 s21, -1, 0
	s_cmp_ge_u32 s27, s6
	s_cselect_b32 s26, -1, 0
	s_cmp_eq_u32 s20, s7
	s_cselect_b32 s20, s26, s21
	s_add_u32 s21, s23, 1
	s_addc_u32 s26, s24, 0
	s_add_u32 s27, s23, 2
	s_addc_u32 s28, s24, 0
	s_cmp_lg_u32 s20, 0
	s_cselect_b32 s20, s27, s21
	s_cselect_b32 s21, s28, s26
	s_cmp_lg_u64 s[18:19], 0
	s_subb_u32 s13, s13, s25
	s_cmp_ge_u32 s13, s7
	s_cselect_b32 s18, -1, 0
	s_cmp_ge_u32 s12, s6
	s_cselect_b32 s6, -1, 0
	s_cmp_eq_u32 s13, s7
	s_cselect_b32 s6, s6, s18
	s_cmp_lg_u32 s6, 0
	s_cselect_b32 s7, s21, s24
	s_cselect_b32 s6, s20, s23
	s_xor_b64 s[12:13], s[14:15], 0
	s_xor_b64 s[6:7], s[6:7], s[12:13]
	s_sub_u32 s6, s6, s12
	s_load_dwordx4 s[12:15], s[0:1], 0x44
	s_cbranch_execnz .LBB27_3
.LBB27_2:
	v_cvt_f32_u32_e32 v1, s22
	s_sub_i32 s6, 0, s22
	v_rcp_iflag_f32_e32 v1, v1
	s_nop 0
	v_mul_f32_e32 v1, 0x4f7ffffe, v1
	v_cvt_u32_f32_e32 v1, v1
	s_nop 0
	v_readfirstlane_b32 s7, v1
	s_mul_i32 s6, s6, s7
	s_mul_hi_u32 s6, s7, s6
	s_add_i32 s7, s7, s6
	s_mul_hi_u32 s6, s5, s7
	s_waitcnt lgkmcnt(0)
	s_mul_i32 s15, s6, s22
	s_sub_i32 s5, s5, s15
	s_add_i32 s7, s6, 1
	s_sub_i32 s15, s5, s22
	s_cmp_ge_u32 s5, s22
	s_cselect_b32 s6, s7, s6
	s_cselect_b32 s5, s15, s5
	s_add_i32 s7, s6, 1
	s_cmp_ge_u32 s5, s22
	s_cselect_b32 s6, s7, s6
.LBB27_3:
	s_add_i32 s5, s2, 1
	s_mul_hi_i32 s21, s11, s5
	s_mov_b32 s20, 0
	s_cmp_lg_u64 s[20:21], 0
	s_mul_i32 s5, s11, s5
	s_cbranch_scc0 .LBB27_21
; %bb.4:
	s_add_u32 s16, s22, 0
	s_addc_u32 s17, 0, 0
	s_xor_b64 s[18:19], s[16:17], 0
	v_cvt_f32_u32_e32 v1, s18
	v_cvt_f32_u32_e32 v2, s19
	s_sub_u32 s7, 0, s18
	s_waitcnt lgkmcnt(0)
	s_subb_u32 s15, 0, s19
	v_fmamk_f32 v1, v2, 0x4f800000, v1
	v_rcp_f32_e32 v1, v1
	s_nop 0
	v_mul_f32_e32 v1, 0x5f7ffffc, v1
	v_mul_f32_e32 v2, 0x2f800000, v1
	v_trunc_f32_e32 v2, v2
	v_fmamk_f32 v1, v2, 0xcf800000, v1
	v_cvt_u32_f32_e32 v2, v2
	v_cvt_u32_f32_e32 v1, v1
	v_readfirstlane_b32 s20, v2
	v_readfirstlane_b32 s23, v1
	s_mul_i32 s24, s7, s20
	s_mul_hi_u32 s26, s7, s23
	s_mul_i32 s25, s15, s23
	s_add_i32 s24, s26, s24
	s_add_i32 s24, s24, s25
	s_mul_i32 s27, s7, s23
	s_mul_i32 s26, s23, s24
	s_mul_hi_u32 s28, s23, s27
	s_mul_hi_u32 s25, s23, s24
	s_add_u32 s26, s28, s26
	s_addc_u32 s25, 0, s25
	s_mul_hi_u32 s29, s20, s27
	s_mul_i32 s27, s20, s27
	s_add_u32 s26, s26, s27
	s_mul_hi_u32 s28, s20, s24
	s_addc_u32 s25, s25, s29
	s_addc_u32 s26, s28, 0
	s_mul_i32 s24, s20, s24
	s_add_u32 s24, s25, s24
	s_addc_u32 s26, 0, s26
	s_add_u32 s23, s23, s24
	s_cselect_b64 s[24:25], -1, 0
	s_cmp_lg_u64 s[24:25], 0
	s_addc_u32 s20, s20, s26
	s_mul_i32 s24, s7, s20
	s_mul_hi_u32 s25, s7, s23
	s_add_i32 s24, s25, s24
	s_mul_i32 s15, s15, s23
	s_add_i32 s24, s24, s15
	s_mul_i32 s7, s7, s23
	s_mul_hi_u32 s25, s20, s7
	s_mul_i32 s26, s20, s7
	s_mul_i32 s28, s23, s24
	s_mul_hi_u32 s7, s23, s7
	s_mul_hi_u32 s27, s23, s24
	s_add_u32 s7, s7, s28
	s_addc_u32 s27, 0, s27
	s_add_u32 s7, s7, s26
	s_mul_hi_u32 s15, s20, s24
	s_addc_u32 s7, s27, s25
	s_addc_u32 s15, s15, 0
	s_mul_i32 s24, s20, s24
	s_add_u32 s7, s7, s24
	s_addc_u32 s15, 0, s15
	s_add_u32 s7, s23, s7
	s_cselect_b64 s[24:25], -1, 0
	s_cmp_lg_u64 s[24:25], 0
	s_addc_u32 s15, s20, s15
	s_ashr_i32 s24, s21, 31
	s_add_u32 s20, s5, s24
	s_mov_b32 s25, s24
	s_addc_u32 s21, s21, s24
	s_xor_b64 s[20:21], s[20:21], s[24:25]
	s_mul_i32 s26, s20, s15
	s_mul_hi_u32 s27, s20, s7
	s_mul_hi_u32 s23, s20, s15
	s_add_u32 s26, s27, s26
	s_addc_u32 s23, 0, s23
	s_mul_hi_u32 s28, s21, s7
	s_mul_i32 s7, s21, s7
	s_add_u32 s7, s26, s7
	s_mul_hi_u32 s27, s21, s15
	s_addc_u32 s7, s23, s28
	s_addc_u32 s23, s27, 0
	s_mul_i32 s15, s21, s15
	s_add_u32 s7, s7, s15
	s_addc_u32 s15, 0, s23
	s_mul_i32 s23, s18, s15
	s_mul_hi_u32 s26, s18, s7
	s_add_i32 s23, s26, s23
	s_mul_i32 s26, s19, s7
	s_add_i32 s23, s23, s26
	s_sub_i32 s28, s21, s23
	s_mul_i32 s26, s18, s7
	s_sub_u32 s20, s20, s26
	s_cselect_b64 s[26:27], -1, 0
	s_cmp_lg_u64 s[26:27], 0
	s_subb_u32 s30, s28, s19
	s_sub_u32 s31, s20, s18
	s_cselect_b64 s[28:29], -1, 0
	s_cmp_lg_u64 s[28:29], 0
	s_subb_u32 s28, s30, 0
	s_cmp_ge_u32 s28, s19
	s_cselect_b32 s29, -1, 0
	s_cmp_ge_u32 s31, s18
	s_cselect_b32 s30, -1, 0
	s_cmp_eq_u32 s28, s19
	s_cselect_b32 s28, s30, s29
	s_add_u32 s29, s7, 1
	s_addc_u32 s30, s15, 0
	s_add_u32 s31, s7, 2
	s_addc_u32 s33, s15, 0
	s_cmp_lg_u32 s28, 0
	s_cselect_b32 s28, s31, s29
	s_cselect_b32 s29, s33, s30
	s_cmp_lg_u64 s[26:27], 0
	s_subb_u32 s21, s21, s23
	s_cmp_ge_u32 s21, s19
	s_cselect_b32 s23, -1, 0
	s_cmp_ge_u32 s20, s18
	s_cselect_b32 s18, -1, 0
	s_cmp_eq_u32 s21, s19
	s_cselect_b32 s18, s18, s23
	s_cmp_lg_u32 s18, 0
	s_cselect_b32 s19, s29, s15
	s_cselect_b32 s18, s28, s7
	s_xor_b64 s[20:21], s[24:25], 0
	s_xor_b64 s[18:19], s[18:19], s[20:21]
	s_sub_u32 s18, s18, s20
	s_cbranch_execnz .LBB27_6
.LBB27_5:
	v_cvt_f32_u32_e32 v1, s22
	s_sub_i32 s7, 0, s22
	v_rcp_iflag_f32_e32 v1, v1
	s_nop 0
	v_mul_f32_e32 v1, 0x4f7ffffe, v1
	v_cvt_u32_f32_e32 v1, v1
	s_waitcnt lgkmcnt(0)
	v_readfirstlane_b32 s15, v1
	s_mul_i32 s7, s7, s15
	s_mul_hi_u32 s7, s15, s7
	s_add_i32 s15, s15, s7
	s_mul_hi_u32 s7, s5, s15
	s_mul_i32 s16, s7, s22
	s_sub_i32 s5, s5, s16
	s_add_i32 s15, s7, 1
	s_sub_i32 s16, s5, s22
	s_cmp_ge_u32 s5, s22
	s_cselect_b32 s7, s15, s7
	s_cselect_b32 s5, s16, s5
	s_add_i32 s15, s7, 1
	s_cmp_ge_u32 s5, s22
	s_cselect_b32 s18, s15, s7
.LBB27_6:
	s_cmp_eq_u32 s6, s18
	s_waitcnt lgkmcnt(0)
	s_mul_hi_u32 s5, s6, s12
	s_cselect_b64 s[16:17], -1, 0
	s_add_i32 s5, s5, s6
	s_lshr_b32 s7, s5, s13
	s_mul_i32 s5, s7, s14
	s_cmp_eq_u32 s5, s6
	s_mul_hi_u32 s5, s18, s12
	s_cselect_b64 s[20:21], -1, 0
	s_add_i32 s5, s5, s18
	s_lshr_b32 s5, s5, s13
	s_cmp_eq_u32 s7, s5
	s_mul_i32 s5, s5, s14
	s_cselect_b64 s[24:25], -1, 0
	s_cmp_lg_u32 s5, s18
	s_cselect_b64 s[18:19], -1, 0
	s_and_b64 s[18:19], s[24:25], s[18:19]
	s_or_b64 s[16:17], s[16:17], s[20:21]
	s_or_b64 s[16:17], s[16:17], s[18:19]
	s_and_b64 vcc, exec, s[16:17]
	s_cbranch_vccnz .LBB27_23
; %bb.7:
	s_load_dwordx8 s[24:31], s[0:1], 0x20
	s_load_dword s15, s[0:1], 0x40
	s_waitcnt lgkmcnt(0)
	s_mul_hi_u32 s5, s6, s24
	s_add_i32 s5, s5, s6
	s_lshr_b32 s5, s5, s25
	s_mul_i32 s16, s5, s26
	s_sub_i32 s16, s6, s16
	s_mul_hi_u32 s17, s16, s27
	s_add_i32 s17, s16, s17
	s_lshr_b32 s21, s17, s28
	s_mul_i32 s17, s21, s29
	s_sub_i32 s16, s16, s17
	;; [unrolled: 5-line block ×3, first 2 shown]
	s_mul_hi_u32 s16, s15, s12
	s_add_i32 s15, s15, s16
	s_lshr_b32 s23, s15, s13
	s_lshl_b32 s15, s23, 4
	s_add_i32 s15, s15, s3
	s_cmp_lt_i32 s15, s8
	s_cselect_b64 s[16:17], -1, 0
	s_add_i32 s15, s20, s4
	s_cmp_lt_i32 s15, s10
	s_cselect_b64 s[18:19], -1, 0
	s_and_b64 s[16:17], s[16:17], s[18:19]
	s_andn2_b64 vcc, exec, s[16:17]
	s_cbranch_vccnz .LBB27_23
; %bb.8:
	s_load_dwordx4 s[16:19], s[0:1], 0x0
	s_mov_b32 s0, 0
	s_lshl_b32 s24, s22, 6
	s_mov_b32 s25, s0
	s_add_i32 s15, s3, s4
	s_waitcnt lgkmcnt(0)
	v_mov_b32_e32 v2, s16
	v_mov_b32_e32 v3, s17
	s_lshl_b64 s[16:17], s[24:25], 2
	s_add_u32 s16, s18, s16
	s_mul_i32 s1, s5, s8
	s_addc_u32 s17, s19, s17
	s_add_i32 s1, s1, s3
	s_mul_i32 s1, s1, s9
	s_mul_i32 s21, s21, s10
	s_add_i32 s1, s1, s4
	s_add_i32 s1, s1, s21
	s_mul_i32 s5, s9, s23
	s_add_i32 s1, s1, s20
	s_lshl_b32 s5, s5, 11
	s_lshl_b32 s1, s1, 7
	s_add_i32 s5, s5, s1
	v_or_b32_e32 v4, s5, v0
	v_ashrrev_i32_e32 v5, 31, v4
	v_lshl_add_u64 v[2:3], v[4:5], 2, v[2:3]
	global_load_dword v1, v[2:3], off
	v_cvt_f32_u32_e32 v4, s22
	s_lshl_b32 s1, s2, 4
	s_add_i32 s4, s1, s15
	s_ashr_i32 s5, s4, 31
	s_lshl_b64 s[4:5], s[4:5], 3
	v_rcp_iflag_f32_e32 v4, v4
	s_add_u32 s4, s18, s4
	s_addc_u32 s5, s19, s5
	s_load_dwordx2 s[4:5], s[4:5], 0x0
	v_mul_f32_e32 v4, 0x4f7ffffe, v4
	v_cvt_u32_f32_e32 v7, v4
	s_add_i32 s24, s2, -1
	v_lshl_or_b32 v6, s15, 7, v0
	s_waitcnt lgkmcnt(0)
	v_mov_b32_e32 v0, s5
	v_mov_b32_e32 v9, s4
	s_mov_b32 s10, 0x3fb8aa3b
	s_mov_b32 s20, 0xc2ce8ed0
	;; [unrolled: 1-line block ×4, first 2 shown]
	v_mov_b32_e32 v8, 0x7f800000
	s_mul_hi_i32 s1, s24, s11
	s_cmp_lg_u64 s[0:1], 0
	s_mul_i32 s8, s24, s11
	s_cbranch_scc0 .LBB27_19
.LBB27_9:
	s_add_u32 s2, s22, 0
	s_addc_u32 s3, 0, 0
	s_xor_b64 s[2:3], s[2:3], 0
	v_cvt_f32_u32_e32 v4, s2
	v_cvt_f32_u32_e32 v5, s3
	s_sub_u32 s9, 0, s2
	s_subb_u32 s25, 0, s3
	v_fmac_f32_e32 v4, 0x4f800000, v5
	v_rcp_f32_e32 v4, v4
	s_nop 0
	v_mul_f32_e32 v4, 0x5f7ffffc, v4
	v_mul_f32_e32 v5, 0x2f800000, v4
	v_trunc_f32_e32 v5, v5
	v_fmac_f32_e32 v4, 0xcf800000, v5
	v_cvt_u32_f32_e32 v5, v5
	v_cvt_u32_f32_e32 v4, v4
	v_readfirstlane_b32 s26, v5
	v_readfirstlane_b32 s4, v4
	s_mul_i32 s5, s9, s26
	s_mul_hi_u32 s28, s9, s4
	s_mul_i32 s27, s25, s4
	s_add_i32 s5, s28, s5
	s_mul_i32 s29, s9, s4
	s_add_i32 s5, s5, s27
	s_mul_i32 s28, s4, s5
	s_mul_hi_u32 s30, s4, s29
	s_mul_hi_u32 s27, s4, s5
	s_add_u32 s28, s30, s28
	s_addc_u32 s27, 0, s27
	s_mul_hi_u32 s31, s26, s29
	s_mul_i32 s29, s26, s29
	s_add_u32 s28, s28, s29
	s_mul_hi_u32 s30, s26, s5
	s_addc_u32 s27, s27, s31
	s_addc_u32 s28, s30, 0
	s_mul_i32 s5, s26, s5
	s_add_u32 s5, s27, s5
	s_addc_u32 s27, 0, s28
	s_add_u32 s28, s4, s5
	s_cselect_b64 s[4:5], -1, 0
	s_cmp_lg_u64 s[4:5], 0
	s_addc_u32 s26, s26, s27
	s_mul_i32 s4, s9, s26
	s_mul_hi_u32 s5, s9, s28
	s_add_i32 s4, s5, s4
	s_mul_i32 s25, s25, s28
	s_add_i32 s4, s4, s25
	s_mul_i32 s9, s9, s28
	s_mul_hi_u32 s25, s26, s9
	s_mul_i32 s27, s26, s9
	s_mul_i32 s30, s28, s4
	s_mul_hi_u32 s9, s28, s9
	s_mul_hi_u32 s29, s28, s4
	s_add_u32 s9, s9, s30
	s_addc_u32 s29, 0, s29
	s_add_u32 s9, s9, s27
	s_mul_hi_u32 s5, s26, s4
	s_addc_u32 s9, s29, s25
	s_addc_u32 s5, s5, 0
	s_mul_i32 s4, s26, s4
	s_add_u32 s4, s9, s4
	s_addc_u32 s9, 0, s5
	s_add_u32 s25, s28, s4
	s_cselect_b64 s[4:5], -1, 0
	s_cmp_lg_u64 s[4:5], 0
	s_addc_u32 s9, s26, s9
	s_ashr_i32 s4, s1, 31
	s_add_u32 s26, s8, s4
	s_mov_b32 s5, s4
	s_addc_u32 s27, s1, s4
	s_xor_b64 s[26:27], s[26:27], s[4:5]
	s_mul_i32 s28, s26, s9
	s_mul_hi_u32 s29, s26, s25
	s_mul_hi_u32 s1, s26, s9
	s_add_u32 s28, s29, s28
	s_addc_u32 s1, 0, s1
	s_mul_hi_u32 s30, s27, s25
	s_mul_i32 s25, s27, s25
	s_add_u32 s25, s28, s25
	s_mul_hi_u32 s29, s27, s9
	s_addc_u32 s1, s1, s30
	s_addc_u32 s25, s29, 0
	s_mul_i32 s9, s27, s9
	s_add_u32 s1, s1, s9
	s_addc_u32 s9, 0, s25
	s_mul_i32 s25, s2, s9
	s_mul_hi_u32 s28, s2, s1
	s_add_i32 s25, s28, s25
	s_mul_i32 s28, s3, s1
	s_add_i32 s25, s25, s28
	s_sub_i32 s30, s27, s25
	s_mul_i32 s28, s2, s1
	s_sub_u32 s26, s26, s28
	s_cselect_b64 s[28:29], -1, 0
	s_cmp_lg_u64 s[28:29], 0
	s_subb_u32 s33, s30, s3
	s_sub_u32 s34, s26, s2
	s_cselect_b64 s[30:31], -1, 0
	s_cmp_lg_u64 s[30:31], 0
	s_subb_u32 s30, s33, 0
	s_cmp_ge_u32 s30, s3
	s_cselect_b32 s31, -1, 0
	s_cmp_ge_u32 s34, s2
	s_cselect_b32 s33, -1, 0
	s_cmp_eq_u32 s30, s3
	s_cselect_b32 s30, s33, s31
	s_add_u32 s31, s1, 1
	s_addc_u32 s33, s9, 0
	s_add_u32 s34, s1, 2
	s_addc_u32 s35, s9, 0
	s_cmp_lg_u32 s30, 0
	s_cselect_b32 s30, s34, s31
	s_cselect_b32 s31, s35, s33
	s_cmp_lg_u64 s[28:29], 0
	s_subb_u32 s25, s27, s25
	s_cmp_ge_u32 s25, s3
	s_cselect_b32 s27, -1, 0
	s_cmp_ge_u32 s26, s2
	s_cselect_b32 s2, -1, 0
	s_cmp_eq_u32 s25, s3
	s_cselect_b32 s2, s2, s27
	s_cmp_lg_u32 s2, 0
	s_cselect_b32 s3, s31, s9
	s_cselect_b32 s2, s30, s1
	s_xor_b64 s[4:5], s[4:5], 0
	s_xor_b64 s[2:3], s[2:3], s[4:5]
	s_sub_u32 s4, s2, s4
	s_cbranch_execnz .LBB27_11
.LBB27_10:
	s_sub_i32 s1, 0, s22
	v_readfirstlane_b32 s2, v7
	s_mul_i32 s1, s1, s2
	s_mul_hi_u32 s1, s2, s1
	s_add_i32 s2, s2, s1
	s_mul_hi_u32 s1, s8, s2
	s_mul_i32 s3, s1, s22
	s_sub_i32 s3, s8, s3
	s_add_i32 s2, s1, 1
	s_sub_i32 s4, s3, s22
	s_cmp_ge_u32 s3, s22
	s_cselect_b32 s1, s2, s1
	s_cselect_b32 s3, s4, s3
	s_add_i32 s2, s1, 1
	s_cmp_ge_u32 s3, s22
	s_cselect_b32 s4, s2, s1
.LBB27_11:
	s_cmp_lg_u32 s6, s4
	s_cbranch_scc0 .LBB27_15
; %bb.12:
	s_add_i32 s1, s24, s22
	s_lshl_b32 s1, s1, 4
	s_add_i32 s2, s1, s15
	s_mov_b32 s3, s0
	s_lshl_b64 s[2:3], s[2:3], 3
	s_add_u32 s8, s18, s2
	s_mul_hi_u32 s1, s4, s12
	s_addc_u32 s9, s19, s3
	s_add_i32 s1, s1, s4
	s_lshr_b32 s1, s1, s13
	s_mul_i32 s2, s1, s14
	s_cmp_eq_u32 s2, s4
	s_cselect_b64 s[2:3], -1, 0
	s_cmp_lt_u32 s1, s7
	s_cselect_b64 s[26:27], -1, 0
	s_or_b64 s[26:27], s[26:27], s[2:3]
	s_mov_b64 s[2:3], -1
	s_and_b64 vcc, exec, s[26:27]
	s_mov_b32 s1, s24
	s_mov_b32 s25, s6
	s_cbranch_vccnz .LBB27_14
; %bb.13:
	s_add_i32 s1, s24, -1
	s_mov_b64 s[2:3], 0
	s_mov_b32 s25, s4
.LBB27_14:
	v_lshl_add_u32 v4, s24, 11, v6
	v_ashrrev_i32_e32 v5, 31, v4
	v_lshl_add_u64 v[4:5], v[4:5], 2, s[16:17]
	global_load_dword v5, v[4:5], off
	s_load_dwordx2 s[4:5], s[8:9], 0x0
	v_max_f32_e32 v4, v9, v9
	s_waitcnt lgkmcnt(0)
	v_max_f32_e64 v10, s4, s4
	v_max_f32_e32 v10, v4, v10
	v_sub_f32_e32 v11, v9, v10
	v_sub_f32_e32 v13, s4, v10
	v_mul_f32_e32 v4, 0x3fb8aa3b, v11
	v_mul_f32_e32 v12, 0x3fb8aa3b, v13
	v_fma_f32 v14, v11, s10, -v4
	v_rndne_f32_e32 v15, v4
	v_fma_f32 v16, v13, s10, -v12
	v_rndne_f32_e32 v17, v12
	v_fmac_f32_e32 v14, 0x32a5705f, v11
	v_sub_f32_e32 v4, v4, v15
	v_fmac_f32_e32 v16, 0x32a5705f, v13
	v_sub_f32_e32 v12, v12, v17
	v_add_f32_e32 v4, v4, v14
	v_cvt_i32_f32_e32 v15, v15
	v_add_f32_e32 v12, v12, v16
	v_exp_f32_e32 v14, v4
	v_cvt_i32_f32_e32 v17, v17
	v_exp_f32_e32 v12, v12
	v_cmp_ngt_f32_e32 vcc, s20, v11
	v_ldexp_f32 v14, v14, v15
	v_mov_b32_e32 v4, s5
	v_ldexp_f32 v12, v12, v17
	v_cndmask_b32_e32 v14, 0, v14, vcc
	v_cmp_ngt_f32_e32 vcc, s20, v13
	s_nop 1
	v_cndmask_b32_e32 v12, 0, v12, vcc
	v_cmp_nlt_f32_e32 vcc, s21, v11
	s_nop 1
	v_cndmask_b32_e32 v14, v8, v14, vcc
	v_cmp_nlt_f32_e32 vcc, s21, v13
	s_nop 1
	v_cndmask_b32_e32 v15, v8, v12, vcc
	v_cmp_le_f32_e32 vcc, s23, v11
	s_nop 1
	v_cndmask_b32_e32 v12, 0, v14, vcc
	v_cmp_le_f32_e32 vcc, s23, v13
	s_nop 1
	v_cndmask_b32_e32 v14, 0, v15, vcc
	s_waitcnt vmcnt(0)
	v_pk_mul_f32 v[4:5], v[4:5], v[14:15] op_sel_hi:[1,0]
	s_nop 0
	v_pk_fma_f32 v[4:5], v[0:1], v[12:13], v[4:5] op_sel_hi:[1,0,1]
	s_cbranch_execz .LBB27_16
	s_branch .LBB27_17
.LBB27_15:
                                        ; implicit-def: $vgpr4_vgpr5
                                        ; implicit-def: $sgpr2_sgpr3
                                        ; implicit-def: $vgpr10
                                        ; implicit-def: $sgpr1
                                        ; implicit-def: $sgpr25
.LBB27_16:
	s_add_i32 s1, s24, -1
	s_mov_b64 s[2:3], 0
	s_mov_b32 s25, s6
	v_mov_b32_e32 v10, v9
	s_waitcnt vmcnt(0)
	v_mov_b64_e32 v[4:5], v[0:1]
.LBB27_17:
	s_andn2_b64 vcc, exec, s[2:3]
	s_cbranch_vccz .LBB27_22
; %bb.18:
	s_mov_b32 s6, s25
	s_mov_b32 s24, s1
	v_mov_b32_e32 v9, v10
	s_waitcnt vmcnt(0)
	v_mov_b64_e32 v[0:1], v[4:5]
	s_mul_hi_i32 s1, s24, s11
	s_cmp_lg_u64 s[0:1], 0
	s_mul_i32 s8, s24, s11
	s_cbranch_scc1 .LBB27_9
.LBB27_19:
                                        ; implicit-def: $sgpr4_sgpr5
	s_branch .LBB27_10
.LBB27_20:
                                        ; implicit-def: $sgpr6_sgpr7
	s_load_dwordx4 s[12:15], s[0:1], 0x44
	s_branch .LBB27_2
.LBB27_21:
                                        ; implicit-def: $sgpr18_sgpr19
	s_branch .LBB27_5
.LBB27_22:
	v_div_scale_f32 v0, s[0:1], v4, v4, v5
	s_waitcnt vmcnt(0)
	v_rcp_f32_e32 v1, v0
	v_div_scale_f32 v6, vcc, v5, v4, v5
	v_fma_f32 v7, -v0, v1, 1.0
	v_fmac_f32_e32 v1, v7, v1
	v_mul_f32_e32 v7, v6, v1
	v_fma_f32 v8, -v0, v7, v6
	v_fmac_f32_e32 v7, v8, v1
	v_fma_f32 v0, -v0, v7, v6
	v_div_fmas_f32 v0, v0, v1, v7
	v_div_fixup_f32 v0, v0, v4, v5
	global_store_dword v[2:3], v0, off
.LBB27_23:
	s_endpgm
	.section	.rodata,"a",@progbits
	.p2align	6, 0x0
	.amdhsa_kernel _ZL33flash_attn_stream_k_fixup_generalILi128ELi16ELi1EEvPfPK15HIP_vector_typeIfLj2EEiiiiS1_IjLj3EES5_S5_S5_
		.amdhsa_group_segment_fixed_size 0
		.amdhsa_private_segment_fixed_size 0
		.amdhsa_kernarg_size 336
		.amdhsa_user_sgpr_count 2
		.amdhsa_user_sgpr_dispatch_ptr 0
		.amdhsa_user_sgpr_queue_ptr 0
		.amdhsa_user_sgpr_kernarg_segment_ptr 1
		.amdhsa_user_sgpr_dispatch_id 0
		.amdhsa_user_sgpr_kernarg_preload_length 0
		.amdhsa_user_sgpr_kernarg_preload_offset 0
		.amdhsa_user_sgpr_private_segment_size 0
		.amdhsa_uses_dynamic_stack 0
		.amdhsa_enable_private_segment 0
		.amdhsa_system_sgpr_workgroup_id_x 1
		.amdhsa_system_sgpr_workgroup_id_y 1
		.amdhsa_system_sgpr_workgroup_id_z 1
		.amdhsa_system_sgpr_workgroup_info 0
		.amdhsa_system_vgpr_workitem_id 0
		.amdhsa_next_free_vgpr 18
		.amdhsa_next_free_sgpr 36
		.amdhsa_accum_offset 20
		.amdhsa_reserve_vcc 1
		.amdhsa_float_round_mode_32 0
		.amdhsa_float_round_mode_16_64 0
		.amdhsa_float_denorm_mode_32 3
		.amdhsa_float_denorm_mode_16_64 3
		.amdhsa_dx10_clamp 1
		.amdhsa_ieee_mode 1
		.amdhsa_fp16_overflow 0
		.amdhsa_tg_split 0
		.amdhsa_exception_fp_ieee_invalid_op 0
		.amdhsa_exception_fp_denorm_src 0
		.amdhsa_exception_fp_ieee_div_zero 0
		.amdhsa_exception_fp_ieee_overflow 0
		.amdhsa_exception_fp_ieee_underflow 0
		.amdhsa_exception_fp_ieee_inexact 0
		.amdhsa_exception_int_div_zero 0
	.end_amdhsa_kernel
	.section	.text._ZL33flash_attn_stream_k_fixup_generalILi128ELi16ELi1EEvPfPK15HIP_vector_typeIfLj2EEiiiiS1_IjLj3EES5_S5_S5_,"axG",@progbits,_ZL33flash_attn_stream_k_fixup_generalILi128ELi16ELi1EEvPfPK15HIP_vector_typeIfLj2EEiiiiS1_IjLj3EES5_S5_S5_,comdat
.Lfunc_end27:
	.size	_ZL33flash_attn_stream_k_fixup_generalILi128ELi16ELi1EEvPfPK15HIP_vector_typeIfLj2EEiiiiS1_IjLj3EES5_S5_S5_, .Lfunc_end27-_ZL33flash_attn_stream_k_fixup_generalILi128ELi16ELi1EEvPfPK15HIP_vector_typeIfLj2EEiiiiS1_IjLj3EES5_S5_S5_
                                        ; -- End function
	.set _ZL33flash_attn_stream_k_fixup_generalILi128ELi16ELi1EEvPfPK15HIP_vector_typeIfLj2EEiiiiS1_IjLj3EES5_S5_S5_.num_vgpr, 18
	.set _ZL33flash_attn_stream_k_fixup_generalILi128ELi16ELi1EEvPfPK15HIP_vector_typeIfLj2EEiiiiS1_IjLj3EES5_S5_S5_.num_agpr, 0
	.set _ZL33flash_attn_stream_k_fixup_generalILi128ELi16ELi1EEvPfPK15HIP_vector_typeIfLj2EEiiiiS1_IjLj3EES5_S5_S5_.numbered_sgpr, 36
	.set _ZL33flash_attn_stream_k_fixup_generalILi128ELi16ELi1EEvPfPK15HIP_vector_typeIfLj2EEiiiiS1_IjLj3EES5_S5_S5_.num_named_barrier, 0
	.set _ZL33flash_attn_stream_k_fixup_generalILi128ELi16ELi1EEvPfPK15HIP_vector_typeIfLj2EEiiiiS1_IjLj3EES5_S5_S5_.private_seg_size, 0
	.set _ZL33flash_attn_stream_k_fixup_generalILi128ELi16ELi1EEvPfPK15HIP_vector_typeIfLj2EEiiiiS1_IjLj3EES5_S5_S5_.uses_vcc, 1
	.set _ZL33flash_attn_stream_k_fixup_generalILi128ELi16ELi1EEvPfPK15HIP_vector_typeIfLj2EEiiiiS1_IjLj3EES5_S5_S5_.uses_flat_scratch, 0
	.set _ZL33flash_attn_stream_k_fixup_generalILi128ELi16ELi1EEvPfPK15HIP_vector_typeIfLj2EEiiiiS1_IjLj3EES5_S5_S5_.has_dyn_sized_stack, 0
	.set _ZL33flash_attn_stream_k_fixup_generalILi128ELi16ELi1EEvPfPK15HIP_vector_typeIfLj2EEiiiiS1_IjLj3EES5_S5_S5_.has_recursion, 0
	.set _ZL33flash_attn_stream_k_fixup_generalILi128ELi16ELi1EEvPfPK15HIP_vector_typeIfLj2EEiiiiS1_IjLj3EES5_S5_S5_.has_indirect_call, 0
	.section	.AMDGPU.csdata,"",@progbits
; Kernel info:
; codeLenInByte = 2932
; TotalNumSgprs: 42
; NumVgprs: 18
; NumAgprs: 0
; TotalNumVgprs: 18
; ScratchSize: 0
; MemoryBound: 0
; FloatMode: 240
; IeeeMode: 1
; LDSByteSize: 0 bytes/workgroup (compile time only)
; SGPRBlocks: 5
; VGPRBlocks: 2
; NumSGPRsForWavesPerEU: 42
; NumVGPRsForWavesPerEU: 18
; AccumOffset: 20
; Occupancy: 8
; WaveLimiterHint : 0
; COMPUTE_PGM_RSRC2:SCRATCH_EN: 0
; COMPUTE_PGM_RSRC2:USER_SGPR: 2
; COMPUTE_PGM_RSRC2:TRAP_HANDLER: 0
; COMPUTE_PGM_RSRC2:TGID_X_EN: 1
; COMPUTE_PGM_RSRC2:TGID_Y_EN: 1
; COMPUTE_PGM_RSRC2:TGID_Z_EN: 1
; COMPUTE_PGM_RSRC2:TIDIG_COMP_CNT: 0
; COMPUTE_PGM_RSRC3_GFX90A:ACCUM_OFFSET: 4
; COMPUTE_PGM_RSRC3_GFX90A:TG_SPLIT: 0
	.section	.text._ZL26flash_attn_combine_resultsILi128EEvPKfPK15HIP_vector_typeIfLj2EEPfi,"axG",@progbits,_ZL26flash_attn_combine_resultsILi128EEvPKfPK15HIP_vector_typeIfLj2EEPfi,comdat
	.globl	_ZL26flash_attn_combine_resultsILi128EEvPKfPK15HIP_vector_typeIfLj2EEPfi ; -- Begin function _ZL26flash_attn_combine_resultsILi128EEvPKfPK15HIP_vector_typeIfLj2EEPfi
	.p2align	8
	.type	_ZL26flash_attn_combine_resultsILi128EEvPKfPK15HIP_vector_typeIfLj2EEPfi,@function
_ZL26flash_attn_combine_resultsILi128EEvPKfPK15HIP_vector_typeIfLj2EEPfi: ; @_ZL26flash_attn_combine_resultsILi128EEvPKfPK15HIP_vector_typeIfLj2EEPfi
; %bb.0:
	s_load_dwordx2 s[6:7], s[0:1], 0x20
	s_load_dword s19, s[0:1], 0x18
	s_load_dwordx4 s[8:11], s[0:1], 0x0
	s_load_dwordx2 s[14:15], s[0:1], 0x10
	s_waitcnt lgkmcnt(0)
	s_mul_i32 s0, s6, s4
	s_add_i32 s0, s0, s2
	s_mul_i32 s18, s0, s7
	s_add_i32 s18, s18, s3
	s_lshl_b32 s20, s19, 1
	s_mul_i32 s2, s18, s19
	v_cmp_gt_i32_e32 vcc, s20, v0
	s_and_saveexec_b64 s[0:1], vcc
	s_cbranch_execz .LBB28_13
; %bb.1:
	v_xad_u32 v1, v0, -1, s20
	s_movk_i32 s4, 0x7f
	s_ashr_i32 s3, s2, 31
	v_cmp_lt_u32_e32 vcc, s4, v1
	s_mov_b64 s[6:7], -1
	v_mov_b32_e32 v2, v0
	s_and_saveexec_b64 s[4:5], vcc
	s_cbranch_execz .LBB28_10
; %bb.2:
	v_lshrrev_b32_e32 v6, 7, v1
	s_lshl_b64 s[6:7], s[2:3], 3
	v_add_u32_e32 v2, -1, v6
	s_add_u32 s6, s10, s6
	v_or_b32_e32 v1, 0x80, v0
	v_lshrrev_b32_e32 v3, 1, v2
	s_addc_u32 s7, s11, s7
	s_mov_b32 s21, 0
	v_add_u32_e32 v7, 1, v3
	v_cmp_lt_u32_e32 vcc, 13, v2
	v_mov_b32_e32 v4, 0
	v_mov_b64_e32 v[2:3], v[0:1]
	s_and_saveexec_b64 s[12:13], vcc
	s_cbranch_execz .LBB28_6
; %bb.3:
	v_and_b32_e32 v8, -8, v7
	v_lshl_add_u32 v9, v0, 2, 0
	s_mov_b64 s[16:17], 0
	v_mov_b32_e32 v5, 0
	v_mov_b64_e32 v[2:3], v[0:1]
.LBB28_4:                               ; =>This Inner Loop Header: Depth=1
	v_mov_b32_e32 v4, v2
	v_lshl_add_u64 v[24:25], v[4:5], 2, s[6:7]
	v_mov_b32_e32 v4, v3
	v_add_u32_e32 v10, 0x100, v3
	v_mov_b32_e32 v11, v5
	v_lshl_add_u64 v[26:27], v[4:5], 2, s[6:7]
	v_add_u32_e32 v4, 0x100, v2
	v_lshl_add_u64 v[10:11], v[10:11], 2, s[6:7]
	global_load_dword v1, v[24:25], off
	v_lshl_add_u64 v[24:25], v[4:5], 2, s[6:7]
	v_add_u32_e32 v4, 0x200, v2
	global_load_dword v28, v[26:27], off
	global_load_dword v29, v[24:25], off
	;; [unrolled: 1-line block ×3, first 2 shown]
	v_lshl_add_u64 v[10:11], v[4:5], 2, s[6:7]
	v_add_u32_e32 v4, 0x300, v2
	v_add_u32_e32 v12, 0x200, v3
	v_mov_b32_e32 v13, v5
	v_add_u32_e32 v14, 0x300, v3
	v_mov_b32_e32 v15, v5
	v_lshl_add_u64 v[24:25], v[4:5], 2, s[6:7]
	v_add_u32_e32 v4, 0x400, v2
	v_lshl_add_u64 v[12:13], v[12:13], 2, s[6:7]
	v_lshl_add_u64 v[14:15], v[14:15], 2, s[6:7]
	global_load_dword v26, v[10:11], off
	global_load_dword v27, v[12:13], off
	;; [unrolled: 1-line block ×4, first 2 shown]
	v_lshl_add_u64 v[10:11], v[4:5], 2, s[6:7]
	v_add_u32_e32 v4, 0x500, v2
	v_add_u32_e32 v16, 0x400, v3
	v_mov_b32_e32 v17, v5
	v_add_u32_e32 v18, 0x500, v3
	v_mov_b32_e32 v19, v5
	v_lshl_add_u64 v[12:13], v[4:5], 2, s[6:7]
	v_add_u32_e32 v4, 0x600, v2
	v_add_u32_e32 v20, 0x600, v3
	v_mov_b32_e32 v21, v5
	v_add_u32_e32 v22, 0x700, v3
	v_mov_b32_e32 v23, v5
	v_lshl_add_u64 v[16:17], v[16:17], 2, s[6:7]
	v_lshl_add_u64 v[18:19], v[18:19], 2, s[6:7]
	global_load_dword v14, v[10:11], off
	global_load_dword v15, v[16:17], off
	;; [unrolled: 1-line block ×4, first 2 shown]
	v_lshl_add_u64 v[10:11], v[4:5], 2, s[6:7]
	v_add_u32_e32 v4, 0x700, v2
	v_lshl_add_u64 v[20:21], v[20:21], 2, s[6:7]
	v_lshl_add_u64 v[22:23], v[22:23], 2, s[6:7]
	;; [unrolled: 1-line block ×3, first 2 shown]
	global_load_dword v16, v[10:11], off
	global_load_dword v17, v[20:21], off
	;; [unrolled: 1-line block ×4, first 2 shown]
	v_add_u32_e32 v8, -8, v8
	s_add_i32 s21, s21, 16
	v_cmp_eq_u32_e32 vcc, 0, v8
	v_add_u32_e32 v3, 0x800, v3
	v_mov_b32_e32 v4, s21
	s_or_b64 s[16:17], vcc, s[16:17]
	v_add_u32_e32 v2, 0x800, v2
	s_waitcnt vmcnt(14)
	ds_write2st64_b32 v9, v1, v28 offset1:2
	s_waitcnt vmcnt(12)
	ds_write2st64_b32 v9, v29, v30 offset0:4 offset1:6
	s_waitcnt vmcnt(10)
	ds_write2st64_b32 v9, v26, v27 offset0:8 offset1:10
	;; [unrolled: 2-line block ×7, first 2 shown]
	v_add_u32_e32 v9, 0x2000, v9
	s_andn2_b64 exec, exec, s[16:17]
	s_cbranch_execnz .LBB28_4
; %bb.5:
	s_or_b64 exec, exec, s[16:17]
.LBB28_6:
	s_or_b64 exec, exec, s[12:13]
	v_and_b32_e32 v1, 7, v7
	v_cmp_ne_u32_e32 vcc, 0, v1
	s_and_saveexec_b64 s[12:13], vcc
	s_cbranch_execz .LBB28_9
; %bb.7:
	v_lshlrev_b32_e32 v5, 2, v0
	v_lshl_or_b32 v4, v4, 9, v5
	v_add_u32_e32 v7, 0, v4
	s_mov_b64 s[16:17], 0
	v_mov_b32_e32 v5, 0
.LBB28_8:                               ; =>This Inner Loop Header: Depth=1
	v_mov_b32_e32 v4, v2
	v_lshl_add_u64 v[8:9], v[4:5], 2, s[6:7]
	v_mov_b32_e32 v4, v3
	v_lshl_add_u64 v[10:11], v[4:5], 2, s[6:7]
	global_load_dword v4, v[8:9], off
	global_load_dword v12, v[10:11], off
	v_add_u32_e32 v1, -1, v1
	v_cmp_eq_u32_e32 vcc, 0, v1
	v_add_u32_e32 v2, 0x100, v2
	v_add_u32_e32 v3, 0x100, v3
	s_or_b64 s[16:17], vcc, s[16:17]
	s_waitcnt vmcnt(0)
	ds_write2st64_b32 v7, v4, v12 offset1:2
	v_add_u32_e32 v7, 0x400, v7
	s_andn2_b64 exec, exec, s[16:17]
	s_cbranch_execnz .LBB28_8
.LBB28_9:
	s_or_b64 exec, exec, s[12:13]
	v_add_u32_e32 v1, 1, v6
	v_and_b32_e32 v3, 0x3fffffe, v1
	v_cmp_ne_u32_e32 vcc, v1, v3
	v_lshl_or_b32 v2, v3, 7, v0
	s_orn2_b64 s[6:7], vcc, exec
.LBB28_10:
	s_or_b64 exec, exec, s[4:5]
	s_and_b64 exec, exec, s[6:7]
	s_cbranch_execz .LBB28_13
; %bb.11:
	s_lshl_b64 s[4:5], s[2:3], 3
	s_add_u32 s4, s10, s4
	v_mov_b32_e32 v3, 0
	s_addc_u32 s5, s11, s5
	v_lshl_add_u64 v[4:5], v[2:3], 2, s[4:5]
	v_lshl_add_u32 v1, v2, 2, 0
	s_mov_b64 s[4:5], 0
	s_mov_b64 s[6:7], 0x200
.LBB28_12:                              ; =>This Inner Loop Header: Depth=1
	global_load_dword v3, v[4:5], off
	v_add_u32_e32 v2, 0x80, v2
	v_cmp_le_i32_e32 vcc, s20, v2
	v_lshl_add_u64 v[4:5], v[4:5], 0, s[6:7]
	s_or_b64 s[4:5], vcc, s[4:5]
	s_waitcnt vmcnt(0)
	ds_write_b32 v1, v3
	v_add_u32_e32 v1, 0x200, v1
	s_andn2_b64 exec, exec, s[4:5]
	s_cbranch_execnz .LBB28_12
.LBB28_13:
	s_or_b64 exec, exec, s[0:1]
	v_mov_b32_e32 v1, 0
	s_waitcnt lgkmcnt(0)
	s_barrier
	ds_read_b32 v1, v1
	s_cmp_lt_i32 s19, 2
	s_cbranch_scc1 .LBB28_21
; %bb.14:
	s_cmp_eq_u32 s19, 2
	s_cbranch_scc1 .LBB28_18
; %bb.15:
	s_add_i32 s3, s19, -1
	s_and_b32 s4, s3, -2
	s_add_i32 s6, 0, 8
	s_mov_b32 s5, 2
	s_waitcnt lgkmcnt(0)
	v_mov_b32_e32 v4, v1
.LBB28_16:                              ; =>This Inner Loop Header: Depth=1
	v_mov_b32_e32 v2, v1
	v_mov_b32_e32 v1, s6
	;; [unrolled: 1-line block ×3, first 2 shown]
	ds_read2_b32 v[4:5], v1 offset1:2
	s_cmp_lg_u32 s4, s5
	s_cselect_b64 s[10:11], -1, 0
	v_max_f32_e32 v1, v3, v3
	v_max_f32_e32 v6, v2, v2
	s_waitcnt lgkmcnt(0)
	v_cmp_u_f32_e32 vcc, v5, v5
	v_max_f32_e32 v7, v5, v5
	v_max_f32_e32 v8, v4, v4
	v_cndmask_b32_e64 v5, 0, 1, vcc
	v_cmp_u_f32_e32 vcc, v4, v4
	v_readfirstlane_b32 s0, v5
	s_lshl_b32 s0, s0, 1
	v_cndmask_b32_e64 v9, 0, 1, vcc
	v_max_f32_e32 v4, v1, v7
	v_readfirstlane_b32 s1, v9
	s_or_b32 s0, s1, s0
	s_and_b32 s7, s0, 3
	s_cmp_lg_u32 s7, 0
	s_cselect_b64 s[0:1], -1, 0
	s_cmp_eq_u32 s7, 0
	s_cselect_b64 s[12:13], -1, 0
	s_and_b64 s[10:11], s[12:13], s[10:11]
	v_max_f32_e32 v1, v6, v8
	s_add_i32 s5, s5, 2
	s_add_i32 s6, s6, 16
	s_and_b64 vcc, exec, s[10:11]
	s_cbranch_vccnz .LBB28_16
; %bb.17:
	s_add_i32 s5, s5, -4
	s_and_b64 s[6:7], s[0:1], exec
	s_cselect_b32 s5, s5, s3
	s_or_b32 s5, s5, 1
	v_cndmask_b32_e64 v1, v1, v2, s[0:1]
	v_cndmask_b32_e64 v2, v4, v3, s[0:1]
	s_cmp_lg_u32 s3, s4
	v_max_f32_e32 v2, v2, v2
	v_max_f32_e32 v1, v1, v1
	s_cselect_b64 s[6:7], -1, 0
	v_max_f32_e32 v1, v1, v2
	s_or_b64 s[0:1], s[6:7], s[0:1]
	s_and_b64 vcc, exec, s[0:1]
	s_cbranch_vccnz .LBB28_19
	s_branch .LBB28_21
.LBB28_18:
	s_mov_b32 s5, 1
	s_cbranch_execz .LBB28_21
.LBB28_19:
	s_lshl_b32 s1, s5, 3
	s_sub_i32 s0, s19, s5
	s_add_i32 s1, s1, 0
.LBB28_20:                              ; =>This Inner Loop Header: Depth=1
	v_mov_b32_e32 v2, s1
	ds_read_b32 v2, v2
	s_waitcnt lgkmcnt(1)
	v_max_f32_e32 v1, v1, v1
	s_add_i32 s0, s0, -1
	s_add_i32 s1, s1, 8
	s_cmp_eq_u32 s0, 0
	s_waitcnt lgkmcnt(0)
	v_max_f32_e32 v2, v2, v2
	v_max_f32_e32 v1, v1, v2
	s_cbranch_scc0 .LBB28_20
.LBB28_21:
	s_cmp_lt_i32 s19, 1
	s_cbranch_scc1 .LBB28_26
; %bb.22:
	s_lshl_b32 s0, s2, 7
	s_ashr_i32 s1, s0, 31
	s_lshl_b64 s[0:1], s[0:1], 2
	s_add_u32 s16, s8, s0
	s_addc_u32 s17, s9, s1
	s_cmp_lt_u32 s19, 8
	s_cbranch_scc1 .LBB28_27
; %bb.23:
	v_mov_b32_e32 v7, 0
	s_and_b32 s20, s19, 0x7ffffff8
	v_or_b32_e32 v4, 0x380, v0
	s_mov_b32 s21, 0
	s_mov_b32 s22, 0x3fb8aa3b
	;; [unrolled: 1-line block ×4, first 2 shown]
	v_mov_b32_e32 v8, 0x7f800000
	s_mov_b32 s25, 0
	v_mov_b32_e32 v2, v7
	v_mov_b32_e32 v3, v7
.LBB28_24:                              ; =>This Inner Loop Header: Depth=1
	v_add_u32_e32 v6, 0xfffffc80, v4
	v_lshl_add_u64 v[26:27], v[6:7], 2, s[16:17]
	v_add_u32_e32 v6, 0xfffffd00, v4
	v_mov_b32_e32 v9, s21
	v_lshl_add_u64 v[30:31], v[6:7], 2, s[16:17]
	v_add_u32_e32 v6, 0xfffffd80, v4
	ds_read2_b64 v[10:13], v9 offset1:1
	ds_read2_b64 v[14:17], v9 offset0:2 offset1:3
	ds_read2_b64 v[18:21], v9 offset0:4 offset1:5
	;; [unrolled: 1-line block ×3, first 2 shown]
	global_load_dword v33, v[26:27], off
	global_load_dword v35, v[30:31], off
	v_lshl_add_u64 v[26:27], v[6:7], 2, s[16:17]
	v_add_u32_e32 v6, 0xfffffe00, v4
	v_lshl_add_u64 v[30:31], v[6:7], 2, s[16:17]
	v_add_u32_e32 v6, 0xfffffe80, v4
	global_load_dword v37, v[26:27], off
	global_load_dword v39, v[30:31], off
	v_lshl_add_u64 v[26:27], v[6:7], 2, s[16:17]
	v_add_u32_e32 v6, 0xffffff00, v4
	s_waitcnt lgkmcnt(3)
	v_mov_b32_e32 v32, v11
	v_sub_f32_e32 v9, v12, v1
	v_mov_b32_e32 v34, v13
	global_load_dword v11, v[26:27], off
	v_lshl_add_u64 v[12:13], v[6:7], 2, s[16:17]
	s_waitcnt lgkmcnt(2)
	v_mov_b32_e32 v36, v15
	v_add_u32_e32 v6, 0xffffff80, v4
	global_load_dword v15, v[12:13], off
	v_mov_b32_e32 v5, v7
	v_lshl_add_u64 v[12:13], v[6:7], 2, s[16:17]
	v_lshl_add_u64 v[28:29], v[4:5], 2, s[16:17]
	v_sub_f32_e32 v5, v10, v1
	v_mov_b32_e32 v38, v17
	s_waitcnt lgkmcnt(1)
	v_mov_b32_e32 v10, v19
	global_load_dword v17, v[12:13], off
	global_load_dword v19, v[28:29], off
	v_sub_f32_e32 v30, v14, v1
	v_sub_f32_e32 v31, v16, v1
	;; [unrolled: 1-line block ×3, first 2 shown]
	v_mov_b32_e32 v14, v21
	s_waitcnt lgkmcnt(0)
	v_sub_f32_e32 v21, v22, v1
	v_mov_b32_e32 v16, v23
	v_sub_f32_e32 v22, v24, v1
	v_mul_f32_e32 v23, 0x3fb8aa3b, v5
	v_mov_b32_e32 v18, v25
	v_mul_f32_e32 v24, 0x3fb8aa3b, v9
	v_mul_f32_e32 v25, 0x3fb8aa3b, v30
	;; [unrolled: 1-line block ×5, first 2 shown]
	v_fma_f32 v43, v5, s22, -v23
	v_rndne_f32_e32 v44, v23
	v_sub_f32_e32 v20, v20, v1
	v_fma_f32 v45, v9, s22, -v24
	v_rndne_f32_e32 v46, v24
	v_fma_f32 v47, v30, s22, -v25
	v_rndne_f32_e32 v48, v25
	v_fma_f32 v51, v40, s22, -v27
	v_rndne_f32_e32 v52, v27
	v_fma_f32 v55, v21, s22, -v42
	v_rndne_f32_e32 v56, v42
	v_fma_f32 v57, v22, s22, -v6
	v_rndne_f32_e32 v58, v6
	v_fmac_f32_e32 v43, 0x32a5705f, v5
	v_sub_f32_e32 v12, v23, v44
	v_mul_f32_e32 v26, 0x3fb8aa3b, v31
	v_mul_f32_e32 v41, 0x3fb8aa3b, v20
	v_fmac_f32_e32 v45, 0x32a5705f, v9
	v_sub_f32_e32 v23, v24, v46
	v_fmac_f32_e32 v47, 0x32a5705f, v30
	v_sub_f32_e32 v25, v25, v48
	;; [unrolled: 2-line block ×5, first 2 shown]
	v_add_f32_e32 v12, v12, v43
	v_fma_f32 v49, v31, s22, -v26
	v_rndne_f32_e32 v50, v26
	v_fma_f32 v53, v20, s22, -v41
	v_rndne_f32_e32 v54, v41
	v_cvt_i32_f32_e32 v13, v44
	v_add_f32_e32 v23, v23, v45
	v_add_f32_e32 v25, v25, v47
	v_add_f32_e32 v27, v27, v51
	v_add_f32_e32 v42, v42, v55
	v_add_f32_e32 v6, v6, v57
	v_exp_f32_e32 v12, v12
	v_cvt_i32_f32_e32 v24, v46
	v_cvt_i32_f32_e32 v28, v48
	v_fmac_f32_e32 v49, 0x32a5705f, v31
	v_sub_f32_e32 v26, v26, v50
	v_cvt_i32_f32_e32 v29, v50
	v_cvt_i32_f32_e32 v44, v52
	v_fmac_f32_e32 v53, 0x32a5705f, v20
	v_sub_f32_e32 v41, v41, v54
	v_cvt_i32_f32_e32 v48, v56
	v_cvt_i32_f32_e32 v50, v58
	v_exp_f32_e32 v23, v23
	v_exp_f32_e32 v25, v25
	;; [unrolled: 1-line block ×5, first 2 shown]
	v_add_f32_e32 v26, v26, v49
	v_add_f32_e32 v41, v41, v53
	v_cvt_i32_f32_e32 v46, v54
	v_exp_f32_e32 v26, v26
	v_exp_f32_e32 v41, v41
	v_ldexp_f32 v12, v12, v13
	v_cmp_ngt_f32_e64 s[12:13], s23, v5
	v_ldexp_f32 v13, v23, v24
	v_cmp_ngt_f32_e32 vcc, s23, v9
	v_ldexp_f32 v23, v25, v28
	v_ldexp_f32 v25, v27, v44
	;; [unrolled: 1-line block ×3, first 2 shown]
	v_cmp_ngt_f32_e64 s[8:9], s23, v21
	v_ldexp_f32 v6, v6, v50
	v_cmp_ngt_f32_e64 s[10:11], s23, v22
	v_cndmask_b32_e64 v12, 0, v12, s[12:13]
	v_cmp_nlt_f32_e64 s[12:13], s24, v5
	v_cmp_ngt_f32_e64 s[0:1], s23, v30
	v_cndmask_b32_e32 v13, 0, v13, vcc
	v_cmp_nlt_f32_e32 vcc, s24, v9
	v_cndmask_b32_e64 v27, 0, v27, s[8:9]
	v_cmp_nlt_f32_e64 s[8:9], s24, v21
	v_cndmask_b32_e64 v21, 0, v6, s[10:11]
	v_cndmask_b32_e64 v6, v8, v12, s[12:13]
	v_ldexp_f32 v24, v26, v29
	v_cmp_ngt_f32_e64 s[2:3], s23, v31
	v_cmp_ngt_f32_e64 s[4:5], s23, v40
	v_ldexp_f32 v26, v41, v46
	v_cmp_ngt_f32_e64 s[6:7], s23, v20
	v_cndmask_b32_e64 v9, 0, v23, s[0:1]
	v_cmp_nlt_f32_e64 s[0:1], s24, v30
	v_cndmask_b32_e32 v12, v8, v13, vcc
	s_waitcnt vmcnt(7)
	v_pk_fma_f32 v[2:3], v[6:7], v[32:33], v[2:3] op_sel_hi:[0,1,1]
	v_cndmask_b32_e64 v23, 0, v24, s[2:3]
	v_cmp_nlt_f32_e64 s[2:3], s24, v31
	v_cndmask_b32_e64 v24, 0, v25, s[4:5]
	v_cndmask_b32_e64 v25, 0, v26, s[6:7]
	v_cmp_nlt_f32_e64 s[6:7], s24, v20
	v_cndmask_b32_e64 v20, v8, v9, s[0:1]
	s_waitcnt vmcnt(6)
	v_pk_fma_f32 v[2:3], v[12:13], v[34:35], v[2:3] op_sel_hi:[0,1,1]
	v_cmp_nlt_f32_e64 s[4:5], s24, v40
	v_cmp_nlt_f32_e64 s[10:11], s24, v22
	v_cndmask_b32_e64 v22, v8, v23, s[2:3]
	s_waitcnt vmcnt(5)
	v_pk_fma_f32 v[2:3], v[20:21], v[36:37], v[2:3] op_sel_hi:[0,1,1]
	v_cndmask_b32_e64 v24, v8, v24, s[4:5]
	s_waitcnt vmcnt(4)
	v_pk_fma_f32 v[2:3], v[22:23], v[38:39], v[2:3] op_sel_hi:[0,1,1]
	;; [unrolled: 3-line block ×4, first 2 shown]
	s_add_i32 s25, s25, 8
	s_add_i32 s21, s21, 64
	v_cndmask_b32_e64 v30, v8, v21, s[10:11]
	s_waitcnt vmcnt(1)
	v_pk_fma_f32 v[2:3], v[28:29], v[16:17], v[2:3] op_sel_hi:[0,1,1]
	s_cmp_eq_u32 s20, s25
	v_add_u32_e32 v4, 0x400, v4
	s_waitcnt vmcnt(0)
	v_pk_fma_f32 v[2:3], v[30:31], v[18:19], v[2:3] op_sel_hi:[0,1,1]
	s_cbranch_scc0 .LBB28_24
; %bb.25:
	s_and_b32 s0, s19, 7
	s_cmp_eq_u32 s0, 0
	s_cbranch_scc0 .LBB28_28
	s_branch .LBB28_30
.LBB28_26:
	s_waitcnt lgkmcnt(0)
	v_mov_b32_e32 v1, 0x7fc00000
	s_branch .LBB28_31
.LBB28_27:
	v_mov_b32_e32 v2, 0
	s_mov_b32 s20, 0
	v_mov_b32_e32 v3, v2
	s_and_b32 s0, s19, 7
	s_cmp_eq_u32 s0, 0
	s_cbranch_scc1 .LBB28_30
.LBB28_28:
	s_lshl_b32 s1, s20, 3
	v_lshl_or_b32 v4, s20, 7, v0
	s_add_i32 s1, s1, 0
	s_mov_b32 s2, 0x3fb8aa3b
	s_mov_b32 s3, 0xc2ce8ed0
	;; [unrolled: 1-line block ×3, first 2 shown]
	v_mov_b32_e32 v6, 0x7f800000
	v_mov_b32_e32 v5, 0
.LBB28_29:                              ; =>This Inner Loop Header: Depth=1
	v_lshl_add_u64 v[8:9], v[4:5], 2, s[16:17]
	global_load_dword v9, v[8:9], off
	v_mov_b32_e32 v7, s1
	ds_read_b64 v[10:11], v7
	s_add_i32 s1, s1, 8
	s_add_i32 s0, s0, -1
	v_add_u32_e32 v4, 0x80, v4
	s_cmp_lg_u32 s0, 0
	s_waitcnt lgkmcnt(0)
	v_sub_f32_e32 v7, v10, v1
	v_mul_f32_e32 v8, 0x3fb8aa3b, v7
	v_fma_f32 v10, v7, s2, -v8
	v_rndne_f32_e32 v12, v8
	v_fmac_f32_e32 v10, 0x32a5705f, v7
	v_sub_f32_e32 v8, v8, v12
	v_add_f32_e32 v8, v8, v10
	v_cvt_i32_f32_e32 v12, v12
	v_exp_f32_e32 v10, v8
	v_cmp_ngt_f32_e32 vcc, s3, v7
	v_mov_b32_e32 v8, v11
	v_ldexp_f32 v10, v10, v12
	v_cndmask_b32_e32 v10, 0, v10, vcc
	v_cmp_nlt_f32_e32 vcc, s4, v7
	s_nop 1
	v_cndmask_b32_e32 v10, v6, v10, vcc
	s_waitcnt vmcnt(0)
	v_pk_fma_f32 v[2:3], v[10:11], v[8:9], v[2:3] op_sel_hi:[0,1,1]
	s_cbranch_scc1 .LBB28_29
.LBB28_30:
	s_waitcnt lgkmcnt(0)
	v_div_scale_f32 v1, s[0:1], v2, v2, v3
	v_rcp_f32_e32 v4, v1
	v_div_scale_f32 v5, vcc, v3, v2, v3
	v_fma_f32 v6, -v1, v4, 1.0
	v_fmac_f32_e32 v4, v6, v4
	v_mul_f32_e32 v6, v5, v4
	v_fma_f32 v7, -v1, v6, v5
	v_fmac_f32_e32 v6, v7, v4
	v_fma_f32 v1, -v1, v6, v5
	v_div_fmas_f32 v1, v1, v4, v6
	v_div_fixup_f32 v1, v1, v2, v3
.LBB28_31:
	s_lshl_b32 s0, s18, 7
	s_ashr_i32 s1, s0, 31
	s_lshl_b64 s[0:1], s[0:1], 2
	s_add_u32 s0, s14, s0
	s_addc_u32 s1, s15, s1
	v_lshlrev_b32_e32 v0, 2, v0
	global_store_dword v0, v1, s[0:1]
	s_endpgm
	.section	.rodata,"a",@progbits
	.p2align	6, 0x0
	.amdhsa_kernel _ZL26flash_attn_combine_resultsILi128EEvPKfPK15HIP_vector_typeIfLj2EEPfi
		.amdhsa_group_segment_fixed_size 0
		.amdhsa_private_segment_fixed_size 0
		.amdhsa_kernarg_size 288
		.amdhsa_user_sgpr_count 2
		.amdhsa_user_sgpr_dispatch_ptr 0
		.amdhsa_user_sgpr_queue_ptr 0
		.amdhsa_user_sgpr_kernarg_segment_ptr 1
		.amdhsa_user_sgpr_dispatch_id 0
		.amdhsa_user_sgpr_kernarg_preload_length 0
		.amdhsa_user_sgpr_kernarg_preload_offset 0
		.amdhsa_user_sgpr_private_segment_size 0
		.amdhsa_uses_dynamic_stack 0
		.amdhsa_enable_private_segment 0
		.amdhsa_system_sgpr_workgroup_id_x 1
		.amdhsa_system_sgpr_workgroup_id_y 1
		.amdhsa_system_sgpr_workgroup_id_z 1
		.amdhsa_system_sgpr_workgroup_info 0
		.amdhsa_system_vgpr_workitem_id 0
		.amdhsa_next_free_vgpr 59
		.amdhsa_next_free_sgpr 26
		.amdhsa_accum_offset 60
		.amdhsa_reserve_vcc 1
		.amdhsa_float_round_mode_32 0
		.amdhsa_float_round_mode_16_64 0
		.amdhsa_float_denorm_mode_32 3
		.amdhsa_float_denorm_mode_16_64 3
		.amdhsa_dx10_clamp 1
		.amdhsa_ieee_mode 1
		.amdhsa_fp16_overflow 0
		.amdhsa_tg_split 0
		.amdhsa_exception_fp_ieee_invalid_op 0
		.amdhsa_exception_fp_denorm_src 0
		.amdhsa_exception_fp_ieee_div_zero 0
		.amdhsa_exception_fp_ieee_overflow 0
		.amdhsa_exception_fp_ieee_underflow 0
		.amdhsa_exception_fp_ieee_inexact 0
		.amdhsa_exception_int_div_zero 0
	.end_amdhsa_kernel
	.section	.text._ZL26flash_attn_combine_resultsILi128EEvPKfPK15HIP_vector_typeIfLj2EEPfi,"axG",@progbits,_ZL26flash_attn_combine_resultsILi128EEvPKfPK15HIP_vector_typeIfLj2EEPfi,comdat
.Lfunc_end28:
	.size	_ZL26flash_attn_combine_resultsILi128EEvPKfPK15HIP_vector_typeIfLj2EEPfi, .Lfunc_end28-_ZL26flash_attn_combine_resultsILi128EEvPKfPK15HIP_vector_typeIfLj2EEPfi
                                        ; -- End function
	.set _ZL26flash_attn_combine_resultsILi128EEvPKfPK15HIP_vector_typeIfLj2EEPfi.num_vgpr, 59
	.set _ZL26flash_attn_combine_resultsILi128EEvPKfPK15HIP_vector_typeIfLj2EEPfi.num_agpr, 0
	.set _ZL26flash_attn_combine_resultsILi128EEvPKfPK15HIP_vector_typeIfLj2EEPfi.numbered_sgpr, 26
	.set _ZL26flash_attn_combine_resultsILi128EEvPKfPK15HIP_vector_typeIfLj2EEPfi.num_named_barrier, 0
	.set _ZL26flash_attn_combine_resultsILi128EEvPKfPK15HIP_vector_typeIfLj2EEPfi.private_seg_size, 0
	.set _ZL26flash_attn_combine_resultsILi128EEvPKfPK15HIP_vector_typeIfLj2EEPfi.uses_vcc, 1
	.set _ZL26flash_attn_combine_resultsILi128EEvPKfPK15HIP_vector_typeIfLj2EEPfi.uses_flat_scratch, 0
	.set _ZL26flash_attn_combine_resultsILi128EEvPKfPK15HIP_vector_typeIfLj2EEPfi.has_dyn_sized_stack, 0
	.set _ZL26flash_attn_combine_resultsILi128EEvPKfPK15HIP_vector_typeIfLj2EEPfi.has_recursion, 0
	.set _ZL26flash_attn_combine_resultsILi128EEvPKfPK15HIP_vector_typeIfLj2EEPfi.has_indirect_call, 0
	.section	.AMDGPU.csdata,"",@progbits
; Kernel info:
; codeLenInByte = 2924
; TotalNumSgprs: 32
; NumVgprs: 59
; NumAgprs: 0
; TotalNumVgprs: 59
; ScratchSize: 0
; MemoryBound: 0
; FloatMode: 240
; IeeeMode: 1
; LDSByteSize: 0 bytes/workgroup (compile time only)
; SGPRBlocks: 3
; VGPRBlocks: 7
; NumSGPRsForWavesPerEU: 32
; NumVGPRsForWavesPerEU: 59
; AccumOffset: 60
; Occupancy: 8
; WaveLimiterHint : 0
; COMPUTE_PGM_RSRC2:SCRATCH_EN: 0
; COMPUTE_PGM_RSRC2:USER_SGPR: 2
; COMPUTE_PGM_RSRC2:TRAP_HANDLER: 0
; COMPUTE_PGM_RSRC2:TGID_X_EN: 1
; COMPUTE_PGM_RSRC2:TGID_Y_EN: 1
; COMPUTE_PGM_RSRC2:TGID_Z_EN: 1
; COMPUTE_PGM_RSRC2:TIDIG_COMP_CNT: 0
; COMPUTE_PGM_RSRC3_GFX90A:ACCUM_OFFSET: 14
; COMPUTE_PGM_RSRC3_GFX90A:TG_SPLIT: 0
	.section	.text._ZL18flash_attn_ext_f16ILi256ELi256ELi16ELi1ELb0ELb0EEvPKcS1_S1_S1_S1_PKiPfP15HIP_vector_typeIfLj2EEffffjfiS5_IjLj3EEiiiiiiiiiiiliiliiiiil,"axG",@progbits,_ZL18flash_attn_ext_f16ILi256ELi256ELi16ELi1ELb0ELb0EEvPKcS1_S1_S1_S1_PKiPfP15HIP_vector_typeIfLj2EEffffjfiS5_IjLj3EEiiiiiiiiiiiliiliiiiil,comdat
	.globl	_ZL18flash_attn_ext_f16ILi256ELi256ELi16ELi1ELb0ELb0EEvPKcS1_S1_S1_S1_PKiPfP15HIP_vector_typeIfLj2EEffffjfiS5_IjLj3EEiiiiiiiiiiiliiliiiiil ; -- Begin function _ZL18flash_attn_ext_f16ILi256ELi256ELi16ELi1ELb0ELb0EEvPKcS1_S1_S1_S1_PKiPfP15HIP_vector_typeIfLj2EEffffjfiS5_IjLj3EEiiiiiiiiiiiliiliiiiil
	.p2align	8
	.type	_ZL18flash_attn_ext_f16ILi256ELi256ELi16ELi1ELb0ELb0EEvPKcS1_S1_S1_S1_PKiPfP15HIP_vector_typeIfLj2EEffffjfiS5_IjLj3EEiiiiiiiiiiiliiliiiiil,@function
_ZL18flash_attn_ext_f16ILi256ELi256ELi16ELi1ELb0ELb0EEvPKcS1_S1_S1_S1_PKiPfP15HIP_vector_typeIfLj2EEffffjfiS5_IjLj3EEiiiiiiiiiiiliiliiiiil: ; @_ZL18flash_attn_ext_f16ILi256ELi256ELi16ELi1ELb0ELb0EEvPKcS1_S1_S1_S1_PKiPfP15HIP_vector_typeIfLj2EEffffjfiS5_IjLj3EEiiiiiiiiiiiliiliiiiil
; %bb.0:
	s_load_dwordx2 s[10:11], s[0:1], 0x80
	s_load_dwordx4 s[76:79], s[0:1], 0x64
                                        ; implicit-def: $vgpr255 : SGPR spill to VGPR lane
	s_load_dword s52, s[0:1], 0xd0
	s_mov_b32 s49, s2
	s_mov_b32 s2, 0
	s_waitcnt lgkmcnt(0)
	s_abs_i32 s3, s11
	v_cvt_f32_u32_e32 v1, s3
	s_sub_i32 s6, 0, s3
	s_abs_i32 s5, s77
	s_xor_b32 s4, s77, s11
	v_rcp_iflag_f32_e32 v1, v1
	s_ashr_i32 s4, s4, 31
	v_mov_b32_e32 v23, v0
	v_mul_f32_e32 v1, 0x4f7ffffe, v1
	v_cvt_u32_f32_e32 v1, v1
	s_nop 0
	v_readfirstlane_b32 s7, v1
	s_mul_i32 s6, s6, s7
	s_mul_hi_u32 s6, s7, s6
	s_add_i32 s7, s7, s6
	s_mul_hi_u32 s6, s5, s7
	s_mul_i32 s7, s6, s3
	s_sub_i32 s5, s5, s7
	s_add_i32 s8, s6, 1
	s_sub_i32 s7, s5, s3
	s_cmp_ge_u32 s5, s3
	s_cselect_b32 s6, s8, s6
	s_cselect_b32 s5, s7, s5
	s_add_i32 s7, s6, 1
	s_cmp_ge_u32 s5, s3
	s_cselect_b32 s3, s7, s6
	s_add_i32 s5, s10, 63
	s_xor_b32 s3, s3, s4
	s_ashr_i32 s6, s5, 31
	s_sub_i32 s4, s3, s4
	s_lshr_b32 s3, s6, 26
	s_add_i32 s5, s5, s3
	s_add_i32 s3, s76, 15
	s_lshr_b32 s3, s3, 4
	s_ashr_i32 s5, s5, 6
	v_writelane_b32 v255, s3, 0
	v_writelane_b32 v255, s5, 1
	s_mul_i32 s3, s3, s5
	v_writelane_b32 v255, s4, 2
	v_writelane_b32 v255, s3, 3
	s_mul_i32 s3, s3, s4
	s_mov_b32 s4, s10
	v_writelane_b32 v255, s4, 4
	s_nop 1
	v_writelane_b32 v255, s5, 5
	v_writelane_b32 v255, s3, 6
	s_mul_i32 s3, s3, s11
	s_mul_i32 s10, s3, s78
	s_ashr_i32 s8, s10, 31
	v_writelane_b32 v255, s3, 7
	s_mul_i32 s3, s8, s49
	s_mul_hi_u32 s4, s10, s49
	s_add_i32 s3, s4, s3
	s_cmp_lg_u64 s[2:3], 0
	s_mul_i32 s9, s10, s49
	s_cbranch_scc0 .LBB29_2
; %bb.1:
	s_add_u32 s4, s52, 0
	s_addc_u32 s5, 0, 0
	s_xor_b64 s[6:7], s[4:5], 0
	v_cvt_f32_u32_e32 v1, s6
	v_cvt_f32_u32_e32 v2, s7
	s_sub_u32 s2, 0, s6
	s_subb_u32 s11, 0, s7
	s_mov_b64 s[4:5], 0
	v_fmamk_f32 v1, v2, 0x4f800000, v1
	v_rcp_f32_e32 v1, v1
	s_nop 0
	v_mul_f32_e32 v1, 0x5f7ffffc, v1
	v_mul_f32_e32 v2, 0x2f800000, v1
	v_trunc_f32_e32 v2, v2
	v_fmamk_f32 v1, v2, 0xcf800000, v1
	v_cvt_u32_f32_e32 v2, v2
	v_cvt_u32_f32_e32 v1, v1
	v_readfirstlane_b32 s14, v2
	v_readfirstlane_b32 s12, v1
	s_mul_i32 s13, s2, s14
	s_mul_hi_u32 s16, s2, s12
	s_mul_i32 s15, s11, s12
	s_add_i32 s13, s16, s13
	s_add_i32 s13, s13, s15
	s_mul_i32 s17, s2, s12
	s_mul_i32 s16, s12, s13
	s_mul_hi_u32 s18, s12, s17
	s_mul_hi_u32 s15, s12, s13
	s_add_u32 s16, s18, s16
	s_addc_u32 s15, 0, s15
	s_mul_hi_u32 s19, s14, s17
	s_mul_i32 s17, s14, s17
	s_add_u32 s16, s16, s17
	s_mul_hi_u32 s18, s14, s13
	s_addc_u32 s15, s15, s19
	s_addc_u32 s16, s18, 0
	s_mul_i32 s13, s14, s13
	s_add_u32 s13, s15, s13
	s_addc_u32 s15, 0, s16
	s_add_u32 s16, s12, s13
	s_cselect_b64 s[12:13], -1, 0
	s_cmp_lg_u64 s[12:13], 0
	s_addc_u32 s14, s14, s15
	s_mul_i32 s12, s2, s14
	s_mul_hi_u32 s13, s2, s16
	s_add_i32 s12, s13, s12
	s_mul_i32 s11, s11, s16
	s_add_i32 s12, s12, s11
	s_mul_i32 s2, s2, s16
	s_mul_hi_u32 s13, s14, s2
	s_mul_i32 s15, s14, s2
	s_mul_i32 s18, s16, s12
	s_mul_hi_u32 s2, s16, s2
	s_mul_hi_u32 s17, s16, s12
	s_add_u32 s2, s2, s18
	s_addc_u32 s17, 0, s17
	s_add_u32 s2, s2, s15
	s_mul_hi_u32 s11, s14, s12
	s_addc_u32 s2, s17, s13
	s_addc_u32 s11, s11, 0
	s_mul_i32 s12, s14, s12
	s_add_u32 s2, s2, s12
	s_addc_u32 s11, 0, s11
	s_add_u32 s15, s16, s2
	s_cselect_b64 s[12:13], -1, 0
	s_cmp_lg_u64 s[12:13], 0
	s_addc_u32 s11, s14, s11
	s_ashr_i32 s12, s3, 31
	s_add_u32 s2, s9, s12
	s_mov_b32 s13, s12
	s_addc_u32 s3, s3, s12
	s_xor_b64 s[2:3], s[2:3], s[12:13]
	s_mul_i32 s16, s2, s11
	s_mul_hi_u32 s17, s2, s15
	s_mul_hi_u32 s14, s2, s11
	s_add_u32 s16, s17, s16
	s_addc_u32 s14, 0, s14
	s_mul_hi_u32 s18, s3, s15
	s_mul_i32 s15, s3, s15
	s_add_u32 s15, s16, s15
	s_mul_hi_u32 s17, s3, s11
	s_addc_u32 s14, s14, s18
	s_addc_u32 s15, s17, 0
	s_mul_i32 s11, s3, s11
	s_add_u32 s11, s14, s11
	s_addc_u32 s18, 0, s15
	s_mul_i32 s14, s6, s18
	s_mul_hi_u32 s15, s6, s11
	s_add_i32 s14, s15, s14
	s_mul_i32 s15, s7, s11
	s_add_i32 s19, s14, s15
	s_sub_i32 s16, s3, s19
	s_mul_i32 s14, s6, s11
	s_sub_u32 s2, s2, s14
	s_cselect_b64 s[14:15], -1, 0
	s_cmp_lg_u64 s[14:15], 0
	s_subb_u32 s20, s16, s7
	s_sub_u32 s21, s2, s6
	s_cselect_b64 s[16:17], -1, 0
	s_cmp_lg_u64 s[16:17], 0
	s_subb_u32 s16, s20, 0
	s_cmp_ge_u32 s16, s7
	s_cselect_b32 s17, -1, 0
	s_cmp_ge_u32 s21, s6
	s_cselect_b32 s20, -1, 0
	s_cmp_eq_u32 s16, s7
	s_cselect_b32 s16, s20, s17
	s_add_u32 s17, s11, 1
	s_addc_u32 s20, s18, 0
	s_add_u32 s21, s11, 2
	s_addc_u32 s22, s18, 0
	s_cmp_lg_u32 s16, 0
	s_cselect_b32 s16, s21, s17
	s_cselect_b32 s17, s22, s20
	s_cmp_lg_u64 s[14:15], 0
	s_subb_u32 s3, s3, s19
	s_cmp_ge_u32 s3, s7
	s_cselect_b32 s14, -1, 0
	s_cmp_ge_u32 s2, s6
	s_cselect_b32 s2, -1, 0
	s_cmp_eq_u32 s3, s7
	s_cselect_b32 s2, s2, s14
	s_cmp_lg_u32 s2, 0
	s_cselect_b32 s3, s17, s18
	s_cselect_b32 s2, s16, s11
	s_xor_b64 s[6:7], s[12:13], 0
	s_xor_b64 s[2:3], s[2:3], s[6:7]
	s_sub_u32 s2, s2, s6
	s_branch .LBB29_3
.LBB29_2:
	s_mov_b64 s[4:5], -1
                                        ; implicit-def: $sgpr2_sgpr3
.LBB29_3:
	s_load_dwordx2 s[6:7], s[0:1], 0x74
	v_cvt_f32_u32_e32 v1, s52
	s_andn2_b64 vcc, exec, s[4:5]
	s_waitcnt lgkmcnt(0)
	v_writelane_b32 v255, s6, 8
	s_nop 1
	v_writelane_b32 v255, s7, 9
	s_cbranch_vccnz .LBB29_5
; %bb.4:
	v_rcp_iflag_f32_e32 v2, v1
	s_sub_i32 s2, 0, s52
	v_mul_f32_e32 v2, 0x4f7ffffe, v2
	v_cvt_u32_f32_e32 v2, v2
	s_nop 0
	v_readfirstlane_b32 s3, v2
	s_mul_i32 s2, s2, s3
	s_mul_hi_u32 s2, s3, s2
	s_add_i32 s3, s3, s2
	s_mul_hi_u32 s2, s9, s3
	s_mul_i32 s4, s2, s52
	s_sub_i32 s4, s9, s4
	s_add_i32 s3, s2, 1
	s_sub_i32 s5, s4, s52
	s_cmp_ge_u32 s4, s52
	s_cselect_b32 s2, s3, s2
	s_cselect_b32 s4, s5, s4
	s_add_i32 s3, s2, 1
	s_cmp_ge_u32 s4, s52
	s_cselect_b32 s2, s3, s2
.LBB29_5:
	s_add_i32 s3, s49, 1
	s_mul_i32 s4, s8, s3
	s_mul_hi_u32 s5, s10, s3
	s_add_i32 s9, s5, s4
	s_mov_b32 s8, 0
	s_cmp_lg_u64 s[8:9], 0
	s_mul_i32 s3, s10, s3
	s_cbranch_scc0 .LBB29_301
; %bb.6:
	s_add_u32 s4, s52, 0
	s_addc_u32 s5, 0, 0
	s_xor_b64 s[6:7], s[4:5], 0
	v_cvt_f32_u32_e32 v2, s6
	v_cvt_f32_u32_e32 v3, s7
	s_sub_u32 s8, 0, s6
	s_subb_u32 s12, 0, s7
	v_fmamk_f32 v2, v3, 0x4f800000, v2
	v_rcp_f32_e32 v2, v2
	s_nop 0
	v_mul_f32_e32 v2, 0x5f7ffffc, v2
	v_mul_f32_e32 v3, 0x2f800000, v2
	v_trunc_f32_e32 v3, v3
	v_fmamk_f32 v2, v3, 0xcf800000, v2
	v_cvt_u32_f32_e32 v3, v3
	v_cvt_u32_f32_e32 v2, v2
	v_readfirstlane_b32 s13, v3
	v_readfirstlane_b32 s10, v2
	s_mul_i32 s11, s8, s13
	s_mul_hi_u32 s15, s8, s10
	s_mul_i32 s14, s12, s10
	s_add_i32 s11, s15, s11
	s_add_i32 s11, s11, s14
	s_mul_i32 s16, s8, s10
	s_mul_i32 s15, s10, s11
	s_mul_hi_u32 s17, s10, s16
	s_mul_hi_u32 s14, s10, s11
	s_add_u32 s15, s17, s15
	s_addc_u32 s14, 0, s14
	s_mul_hi_u32 s18, s13, s16
	s_mul_i32 s16, s13, s16
	s_add_u32 s15, s15, s16
	s_mul_hi_u32 s17, s13, s11
	s_addc_u32 s14, s14, s18
	s_addc_u32 s15, s17, 0
	s_mul_i32 s11, s13, s11
	s_add_u32 s11, s14, s11
	s_addc_u32 s14, 0, s15
	s_add_u32 s15, s10, s11
	s_cselect_b64 s[10:11], -1, 0
	s_cmp_lg_u64 s[10:11], 0
	s_addc_u32 s13, s13, s14
	s_mul_i32 s10, s8, s13
	s_mul_hi_u32 s11, s8, s15
	s_add_i32 s10, s11, s10
	s_mul_i32 s12, s12, s15
	s_add_i32 s10, s10, s12
	s_mul_i32 s8, s8, s15
	s_mul_hi_u32 s12, s13, s8
	s_mul_i32 s14, s13, s8
	s_mul_i32 s17, s15, s10
	s_mul_hi_u32 s8, s15, s8
	s_mul_hi_u32 s16, s15, s10
	s_add_u32 s8, s8, s17
	s_addc_u32 s16, 0, s16
	s_add_u32 s8, s8, s14
	s_mul_hi_u32 s11, s13, s10
	s_addc_u32 s8, s16, s12
	s_addc_u32 s11, s11, 0
	s_mul_i32 s10, s13, s10
	s_add_u32 s8, s8, s10
	s_addc_u32 s12, 0, s11
	s_add_u32 s14, s15, s8
	s_cselect_b64 s[10:11], -1, 0
	s_cmp_lg_u64 s[10:11], 0
	s_addc_u32 s12, s13, s12
	s_ashr_i32 s10, s9, 31
	s_add_u32 s8, s3, s10
	s_mov_b32 s11, s10
	s_addc_u32 s9, s9, s10
	s_xor_b64 s[8:9], s[8:9], s[10:11]
	s_mul_i32 s15, s8, s12
	s_mul_hi_u32 s16, s8, s14
	s_mul_hi_u32 s13, s8, s12
	s_add_u32 s15, s16, s15
	s_addc_u32 s13, 0, s13
	s_mul_hi_u32 s17, s9, s14
	s_mul_i32 s14, s9, s14
	s_add_u32 s14, s15, s14
	s_mul_hi_u32 s16, s9, s12
	s_addc_u32 s13, s13, s17
	s_addc_u32 s14, s16, 0
	s_mul_i32 s12, s9, s12
	s_add_u32 s16, s13, s12
	s_addc_u32 s17, 0, s14
	s_mul_i32 s12, s6, s17
	s_mul_hi_u32 s13, s6, s16
	s_add_i32 s12, s13, s12
	s_mul_i32 s13, s7, s16
	s_add_i32 s18, s12, s13
	s_sub_i32 s14, s9, s18
	s_mul_i32 s12, s6, s16
	s_sub_u32 s8, s8, s12
	s_cselect_b64 s[12:13], -1, 0
	s_cmp_lg_u64 s[12:13], 0
	s_subb_u32 s19, s14, s7
	s_sub_u32 s20, s8, s6
	s_cselect_b64 s[14:15], -1, 0
	s_cmp_lg_u64 s[14:15], 0
	s_subb_u32 s14, s19, 0
	s_cmp_ge_u32 s14, s7
	s_cselect_b32 s15, -1, 0
	s_cmp_ge_u32 s20, s6
	s_cselect_b32 s19, -1, 0
	s_cmp_eq_u32 s14, s7
	s_cselect_b32 s14, s19, s15
	s_add_u32 s15, s16, 1
	s_addc_u32 s19, s17, 0
	s_add_u32 s20, s16, 2
	s_addc_u32 s21, s17, 0
	s_cmp_lg_u32 s14, 0
	s_cselect_b32 s14, s20, s15
	s_cselect_b32 s15, s21, s19
	s_cmp_lg_u64 s[12:13], 0
	s_subb_u32 s9, s9, s18
	s_cmp_ge_u32 s9, s7
	s_cselect_b32 s12, -1, 0
	s_cmp_ge_u32 s8, s6
	s_cselect_b32 s6, -1, 0
	s_cmp_eq_u32 s9, s7
	s_cselect_b32 s6, s6, s12
	s_cmp_lg_u32 s6, 0
	s_cselect_b32 s7, s15, s17
	s_cselect_b32 s6, s14, s16
	s_xor_b64 s[8:9], s[10:11], 0
	s_xor_b64 s[6:7], s[6:7], s[8:9]
	s_sub_u32 s6, s6, s8
	s_subb_u32 s7, s7, s9
	s_load_dwordx2 s[92:93], s[0:1], 0x5c
	v_mov_b64_e32 v[38:39], s[6:7]
	s_cbranch_execnz .LBB29_8
.LBB29_7:
	v_rcp_iflag_f32_e32 v1, v1
	s_sub_i32 s4, 0, s52
	v_mul_f32_e32 v1, 0x4f7ffffe, v1
	v_cvt_u32_f32_e32 v1, v1
	v_mul_lo_u32 v2, s4, v1
	v_mul_hi_u32 v2, v1, v2
	v_add_u32_e32 v1, v1, v2
	v_mul_hi_u32 v1, s3, v1
	v_mul_lo_u32 v3, v1, s52
	v_sub_u32_e32 v3, s3, v3
	v_add_u32_e32 v2, 1, v1
	v_subrev_u32_e32 v4, s52, v3
	v_cmp_le_u32_e32 vcc, s52, v3
	s_nop 1
	v_cndmask_b32_e32 v3, v3, v4, vcc
	v_cndmask_b32_e32 v1, v1, v2, vcc
	v_add_u32_e32 v2, 1, v1
	v_cmp_le_u32_e32 vcc, s52, v3
	s_nop 1
	v_cndmask_b32_e32 v38, v1, v2, vcc
.LBB29_8:
	s_load_dwordx16 s[60:75], s[0:1], 0x0
	s_load_dwordx4 s[12:15], s[0:1], 0x40
	s_load_dword s3, s[0:1], 0x50
	s_load_dwordx2 s[4:5], s[0:1], 0x8c
	s_load_dwordx4 s[80:83], s[0:1], 0x98
	s_load_dwordx2 s[98:99], s[0:1], 0xa8
	s_load_dwordx2 s[16:17], s[0:1], 0xb8
	s_nop 0
	s_load_dwordx2 s[0:1], s[0:1], 0xc8
	s_waitcnt lgkmcnt(0)
	s_ashr_i32 s90, s4, 2
	s_ashr_i32 s53, s79, 3
	;; [unrolled: 1-line block ×3, first 2 shown]
	v_writelane_b32 v255, s3, 10
	v_writelane_b32 v255, s0, 11
	s_ashr_i32 s54, s17, 1
	v_cvt_f16_f32_e32 v24, s12
	v_writelane_b32 v255, s1, 12
	s_mov_b32 s1, s5
	v_readlane_b32 s6, v255, 1
	s_abs_i32 s33, s6
	v_cvt_f32_u32_e32 v1, s33
	s_sub_i32 s3, 0, s33
	v_writelane_b32 v255, s0, 13
	v_cmp_ge_i32_e32 vcc, s2, v38
	v_rcp_iflag_f32_e32 v1, v1
	v_writelane_b32 v255, s1, 14
	s_ashr_i32 s1, s6, 31
	v_writelane_b32 v255, s1, 15
	v_mul_f32_e32 v1, 0x4f7ffffe, v1
	v_cvt_u32_f32_e32 v1, v1
	s_abs_i32 s1, s2
	s_ashr_i32 s0, s2, 31
	v_bfe_u32 v170, v23, 10, 10
	v_readfirstlane_b32 s4, v1
	s_mul_i32 s3, s3, s4
	s_mul_hi_u32 s3, s4, s3
	s_add_i32 s94, s4, s3
	s_mul_hi_u32 s3, s1, s94
	s_mul_i32 s3, s3, s33
	s_sub_i32 s1, s1, s3
	s_sub_i32 s3, s1, s33
	s_cmp_ge_u32 s1, s33
	s_cselect_b32 s1, s3, s1
	s_sub_i32 s3, s1, s33
	s_cmp_ge_u32 s1, s33
	s_cselect_b32 s1, s3, s1
	s_xor_b32 s1, s1, s0
	s_sub_i32 s42, s1, s0
	v_subrev_u32_e32 v1, s2, v38
	v_add_u32_e32 v1, s42, v1
	v_cmp_gt_i32_e64 s[0:1], s6, v1
	s_or_b64 s[0:1], s[0:1], vcc
	s_mov_b32 s85, 0
	v_min_i32_e32 v150, s6, v1
	v_cmp_lt_i32_e64 s[34:35], s2, v38
	s_and_b64 vcc, exec, s[0:1]
	v_lshlrev_b32_e32 v193, 2, v170
	v_add_u32_e32 v173, 4, v170
	v_add_u32_e32 v45, 8, v170
	;; [unrolled: 1-line block ×3, first 2 shown]
	v_lshlrev_b32_e32 v192, 4, v170
	s_cbranch_vccz .LBB29_11
; %bb.9:
	s_andn2_b64 vcc, exec, s[34:35]
	s_cbranch_vccz .LBB29_269
.LBB29_10:
	s_endpgm
.LBB29_11:
	s_cmp_lg_u64 s[66:67], 0
	v_writelane_b32 v255, s52, 16
	s_cselect_b64 s[0:1], -1, 0
	v_writelane_b32 v255, s0, 17
	s_cmp_eq_u64 s[68:69], 0
	v_and_b32_e32 v40, 0x3ff, v23
	v_writelane_b32 v255, s1, 18
	s_mul_i32 s0, s76, s77
	v_writelane_b32 v255, s0, 19
	s_cselect_b64 s[0:1], -1, 0
	v_writelane_b32 v255, s0, 20
	v_lshlrev_b32_e32 v1, 2, v40
	v_and_b32_e32 v2, 0x3f0, v193
	s_movk_i32 s22, 0x210
	v_and_b32_e32 v4, 15, v23
	v_lshrrev_b32_e32 v6, 1, v23
	v_and_b32_e32 v7, 48, v192
	v_bfe_u32 v9, v23, 5, 5
	v_writelane_b32 v255, s1, 21
	s_mov_b64 s[6:7], s[14:15]
	s_mov_b32 s5, s13
	v_mad_u32_u24 v3, v2, s22, 0
	v_mul_u32_u24_e32 v5, 0x210, v4
	v_and_b32_e32 v6, 0x78, v6
	v_mad_u32_u24 v8, v7, s22, 0
	v_lshl_add_u32 v176, v170, 1, v9
	v_and_b32_e32 v44, 0x7c, v1
	v_writelane_b32 v255, s4, 22
	v_add3_u32 v175, v3, v5, v6
	v_mul_u32_u24_e32 v9, 0x210, v176
	v_lshlrev_b32_e32 v10, 2, v44
	v_add3_u32 v178, v8, v5, v6
	v_bfe_u32 v5, v23, 2, 8
	v_writelane_b32 v255, s5, 23
	v_add3_u32 v177, 0, v9, v10
	v_and_b32_e32 v9, 60, v5
	v_writelane_b32 v255, s6, 24
	v_add_u32_e32 v179, v9, v7
	v_add_u16_e32 v7, v9, v7
	v_writelane_b32 v255, s7, 25
	v_cmp_nle_f32_e64 s[0:1], s13, 0
	v_or_b32_e32 v2, v2, v4
	v_lshrrev_b16_e32 v7, 1, v7
	v_writelane_b32 v255, s0, 26
	s_cmp_lg_u64 s[70:71], 0
	v_mul_u32_u24_e32 v2, 0x90, v2
	v_lshlrev_b32_e32 v7, 2, v7
	v_writelane_b32 v255, s1, 27
	s_cselect_b64 s[0:1], -1, 0
	v_add3_u32 v180, 0, v2, v7
	v_mul_u32_u24_e32 v2, 0x210, v9
	v_lshlrev_b32_e32 v7, 1, v4
	v_writelane_b32 v255, s0, 28
	v_add3_u32 v181, v8, v2, v7
	v_bfe_u32 v2, v23, 10, 2
	v_writelane_b32 v255, s1, 29
	v_cmp_eq_u32_e64 s[6:7], 0, v2
	s_lshl_b32 s84, s49, 4
	s_ashr_i32 s55, s54, 31
	v_writelane_b32 v255, s6, 30
	s_ashr_i32 s91, s90, 31
	s_ashr_i32 s79, s78, 31
	v_writelane_b32 v255, s7, 31
	v_cmp_ne_u32_e64 s[6:7], 0, v2
	v_or_b32_e32 v2, v193, v40
	v_lshlrev_b32_e32 v42, 3, v2
	v_or_b32_e32 v2, v192, v4
	v_mul_u32_u24_e32 v2, 0x210, v2
	v_writelane_b32 v255, s6, 32
	v_add3_u32 v183, 0, v2, v6
	v_lshrrev_b32_e32 v2, 10, v23
	s_lshl_b32 s3, s90, 3
	s_lshl_b32 s4, s78, 3
	v_or_b32_e32 v5, 3, v5
	v_writelane_b32 v255, s7, 33
	s_lshl_b64 s[6:7], s[84:85], 3
	v_bfe_u32 v184, v2, 2, 8
	v_mul_u32_u24_e32 v5, 0x210, v5
	s_add_u32 s20, s74, s6
	v_bfe_u32 v4, v170, 2, 4
	s_movk_i32 s6, 0xc0
	v_add_u32_e32 v0, 1, v184
	v_add3_u32 v182, v8, v5, v7
	v_and_or_b32 v2, v2, s6, v4
	v_lshlrev_b32_e32 v4, 2, v0
	v_accvgpr_write_b32 a12, v0
	v_and_b32_e32 v5, 15, v0
	s_movk_i32 s6, 0x1c0
	v_add_u32_e32 v0, 2, v184
	v_and_or_b32 v4, v4, s6, v5
	v_lshlrev_b32_e32 v5, 2, v0
	v_accvgpr_write_b32 a13, v0
	v_and_b32_e32 v6, 15, v0
	v_add_u32_e32 v0, 3, v184
	v_and_or_b32 v5, v5, s6, v6
	v_lshlrev_b32_e32 v6, 2, v0
	v_accvgpr_write_b32 a14, v0
	v_and_b32_e32 v7, 15, v0
	;; [unrolled: 5-line block ×9, first 2 shown]
	v_add_u32_e32 v0, 11, v184
	v_writelane_b32 v255, s49, 34
	v_and_or_b32 v13, v13, s6, v14
	v_lshlrev_b32_e32 v14, 2, v0
	v_accvgpr_write_b32 a22, v0
	v_and_b32_e32 v15, 15, v0
	v_add_u32_e32 v0, 12, v184
	v_and_or_b32 v14, v14, s6, v15
	v_lshlrev_b32_e32 v15, 2, v0
	v_accvgpr_write_b32 a23, v0
	v_and_b32_e32 v16, 15, v0
	v_add_u32_e32 v0, 13, v184
	v_readlane_b32 s26, v255, 7
	s_addc_u32 s21, s75, s7
	v_and_or_b32 v15, v15, s6, v16
	v_lshlrev_b32_e32 v16, 2, v0
	v_and_b32_e32 v17, 15, v0
	s_abs_i32 s84, s26
	v_and_or_b32 v16, v16, s6, v17
	v_cvt_f32_u32_e32 v17, s84
	v_readlane_b32 s25, v255, 6
	s_abs_i32 s95, s25
	v_cvt_f32_u32_e32 v21, s95
	v_rcp_iflag_f32_e32 v17, v17
	s_mov_b64 s[86:87], src_private_base
	v_accvgpr_write_b32 a24, v0
	v_add_u32_e32 v0, 14, v184
	v_mul_f32_e32 v17, 0x4f7ffffe, v17
	v_cvt_u32_f32_e32 v17, v17
	v_readlane_b32 s24, v255, 3
	v_lshlrev_b32_e32 v18, 2, v0
	v_accvgpr_write_b32 a25, v0
	v_and_b32_e32 v19, 15, v0
	v_add_u32_e32 v0, 15, v184
	s_abs_i32 s86, s24
	v_and_or_b32 v18, v18, s6, v19
	v_lshlrev_b32_e32 v19, 2, v0
	v_and_b32_e32 v20, 15, v0
	v_rcp_iflag_f32_e32 v21, v21
	v_cvt_f32_u32_e32 v22, s86
	v_and_or_b32 v19, v19, s6, v20
	s_sub_i32 s6, 0, s84
	v_mul_lo_u32 v20, s6, v17
	v_mul_hi_u32 v20, v17, v20
	v_mul_f32_e32 v21, 0x4f7ffffe, v21
	v_add_u32_e32 v200, v17, v20
	v_rcp_iflag_f32_e32 v17, v22
	v_cvt_u32_f32_e32 v21, v21
	s_abs_i32 s27, s16
	v_cvt_f32_u32_e32 v22, s27
	s_sub_i32 s6, 0, s95
	v_mul_f32_e32 v17, 0x4f7ffffe, v17
	v_mul_lo_u32 v20, s6, v21
	v_cvt_u32_f32_e32 v17, v17
	v_mul_hi_u32 v20, v21, v20
	s_mov_b32 s6, s16
	v_writelane_b32 v255, s6, 35
	v_add_u32_e32 v201, v21, v20
	v_rcp_iflag_f32_e32 v20, v22
	v_writelane_b32 v255, s7, 36
	s_sub_i32 s6, 0, s86
	v_mul_lo_u32 v21, s6, v17
	v_mul_hi_u32 v21, v17, v21
	v_mul_u32_u24_e32 v3, 0x90, v170
	v_add_u32_e32 v202, v17, v21
	v_mul_f32_e32 v17, 0x4f7ffffe, v20
	v_lshlrev_b32_e32 v20, 1, v40
	v_add3_u32 v203, 0, v3, v20
	v_add_u32_e32 v3, v192, v40
	v_mad_u32_u24 v205, v2, s22, 0
	v_mad_u32_u24 v2, v5, s22, 0
	v_mul_u32_u24_e32 v204, 0x210, v3
	v_mad_u32_u24 v3, v6, s22, 0
	v_accvgpr_write_b32 a27, v2
	v_add_u32_e32 v2, v2, v1
	v_accvgpr_write_b32 a26, v0
	v_mad_u32_u24 v0, v4, s22, 0
	v_mad_u32_u24 v4, v7, s22, 0
	v_accvgpr_write_b32 a43, v2
	v_add_u32_e32 v2, v3, v1
	v_mad_u32_u24 v5, v8, s22, 0
	v_accvgpr_write_b32 a44, v2
	v_add_u32_e32 v2, v4, v1
	;; [unrolled: 3-line block ×11, first 2 shown]
	v_mov_b32_e32 v43, 0
	v_accvgpr_write_b32 a54, v2
	v_add_u32_e32 v2, v14, v1
	v_mul_lo_u32 v64, s78, v176
	v_accvgpr_write_b32 a30, v3
	v_accvgpr_write_b32 a55, v2
	v_lshl_add_u64 v[2:3], s[20:21], 0, v[42:43]
	v_ashrrev_i32_e32 v65, 31, v64
	v_accvgpr_write_b32 a59, v3
	v_add_u32_e32 v66, s4, v64
	v_accvgpr_write_b32 a58, v2
	v_lshl_add_u64 v[2:3], v[64:65], 2, s[64:65]
	v_ashrrev_i32_e32 v67, 31, v66
	v_accvgpr_write_b32 a63, v3
	v_add_u32_e32 v68, s4, v66
	;; [unrolled: 5-line block ×5, first 2 shown]
	v_accvgpr_write_b32 a68, v2
	v_lshl_add_u64 v[2:3], v[72:73], 2, s[64:65]
	v_ashrrev_i32_e32 v75, 31, v74
	v_accvgpr_write_b32 a71, v3
	v_mul_lo_u32 v48, s90, v176
	v_add_u32_e32 v76, s4, v74
	v_accvgpr_write_b32 a70, v2
	v_lshl_add_u64 v[2:3], v[74:75], 2, s[64:65]
	v_add_u32_e32 v50, s3, v48
	v_ashrrev_i32_e32 v77, 31, v76
	v_accvgpr_write_b32 a73, v3
	v_add_u32_e32 v52, s3, v50
	v_add_u32_e32 v78, s4, v76
	v_accvgpr_write_b32 a72, v2
	v_lshl_add_u64 v[2:3], v[76:77], 2, s[64:65]
	v_add_u32_e32 v54, s3, v52
	v_ashrrev_i32_e32 v79, 31, v78
	v_accvgpr_write_b32 a75, v3
	v_add_u32_e32 v56, s3, v54
	v_accvgpr_write_b32 a74, v2
	v_lshl_add_u64 v[2:3], v[78:79], 2, s[64:65]
	v_ashrrev_i32_e32 v49, 31, v48
	v_add_u32_e32 v58, s3, v56
	v_accvgpr_write_b32 a77, v3
	v_add_u32_e32 v60, s3, v58
	v_accvgpr_write_b32 a76, v2
	v_lshl_add_u64 v[2:3], v[48:49], 2, s[62:63]
	v_cvt_u32_f32_e32 v17, v17
	v_ashrrev_i32_e32 v51, 31, v50
	v_add_u32_e32 v62, s3, v60
	s_lshl_b32 s3, s77, 7
	v_accvgpr_write_b32 a79, v3
	v_writelane_b32 v255, s3, 37
	s_ashr_i32 s3, s26, 31
	v_accvgpr_write_b32 a78, v2
	v_lshl_add_u64 v[2:3], v[50:51], 2, s[62:63]
	v_ashrrev_i32_e32 v53, 31, v52
	v_writelane_b32 v255, s3, 38
	s_ashr_i32 s3, s25, 31
	v_accvgpr_write_b32 a81, v3
	v_writelane_b32 v255, s3, 39
	s_ashr_i32 s3, s24, 31
	v_accvgpr_write_b32 a80, v2
	v_lshl_add_u64 v[2:3], v[52:53], 2, s[62:63]
	v_readfirstlane_b32 s23, v17
	v_ashrrev_i32_e32 v55, 31, v54
	v_writelane_b32 v255, s3, 40
	s_sub_i32 s3, 0, s27
	v_accvgpr_write_b32 a83, v3
	s_mul_i32 s3, s3, s23
	v_accvgpr_write_b32 a82, v2
	v_lshl_add_u64 v[2:3], v[54:55], 2, s[62:63]
	v_ashrrev_i32_e32 v57, 31, v56
	s_mul_hi_u32 s3, s23, s3
	v_accvgpr_write_b32 a85, v3
	v_mad_u32_u24 v15, v19, s22, 0
	v_writelane_b32 v255, s27, 41
	s_add_i32 s3, s23, s3
	v_accvgpr_write_b32 a84, v2
	v_lshl_add_u64 v[2:3], v[56:57], 2, s[62:63]
	v_ashrrev_i32_e32 v59, 31, v58
	v_add_u32_e32 v221, 0, v1
	v_add_u32_e32 v222, v205, v1
	;; [unrolled: 1-line block ×4, first 2 shown]
	v_writelane_b32 v255, s3, 42
	v_accvgpr_write_b32 a87, v3
	v_cmp_gt_u32_e64 s[30:31], 16, v40
	v_accvgpr_write_b32 a56, v1
	v_and_b32_e32 v1, 31, v23
	v_accvgpr_write_b32 a86, v2
	v_lshl_add_u64 v[2:3], v[58:59], 2, s[62:63]
	v_writelane_b32 v255, s30, 43
	v_ashrrev_i32_e32 v61, 31, v60
	v_lshlrev_b32_e32 v80, 4, v1
                                        ; implicit-def: $vgpr1
	v_accvgpr_write_b32 a89, v3
	v_writelane_b32 v255, s31, 44
	s_mov_b32 s30, s54
	v_mbcnt_lo_u32_b32 v1, -1, 0
	v_mad_u32_u24 v240, v170, s22, v221
	v_accvgpr_write_b32 a88, v2
	v_lshl_add_u64 v[2:3], v[60:61], 2, s[62:63]
	v_writelane_b32 v255, s30, 45
	v_ashrrev_i32_e32 v63, 31, v62
	v_mbcnt_hi_u32_b32 v239, -1, v1
	v_add_u32_e32 v1, 0x840, v240
	v_accvgpr_write_b32 a91, v3
	v_writelane_b32 v255, s31, 46
	s_lshl_b64 s[30:31], s[54:55], 1
	v_mov_b32_e32 v21, v43
	v_accvgpr_write_b32 a57, v1
	v_add_u32_e32 v1, 0x1080, v240
	v_accvgpr_write_b32 a90, v2
	v_lshl_add_u64 v[2:3], v[62:63], 2, s[62:63]
	v_writelane_b32 v255, s30, 47
	s_mov_b32 s5, 0x10001
	v_accvgpr_write_b32 a29, v21
	v_accvgpr_write_b32 a60, v1
	v_add_u32_e32 v1, 0x18c0, v240
	v_accvgpr_write_b32 a93, v3
	v_writelane_b32 v255, s31, 48
	v_cmp_gt_u32_e64 s[0:1], 64, v40
	v_mov_b32_e32 v41, v43
	v_accvgpr_write_b32 a9, v193
	v_cmp_gt_u32_e64 s[6:7], 64, v176
	v_cmp_gt_u32_e64 s[8:9], 56, v176
	;; [unrolled: 1-line block ×7, first 2 shown]
	v_accvgpr_write_b32 a8, v192
	v_accvgpr_write_b32 a31, v4
	;; [unrolled: 1-line block ×15, first 2 shown]
	v_mov_b32_e32 v81, v43
	s_mov_b32 s77, 0x42b17218
	s_mov_b32 s3, 0x3fb8aa3b
	;; [unrolled: 1-line block ×3, first 2 shown]
	v_accvgpr_write_b32 a11, v24
	v_mul_lo_u32 v238, v24, s5
	s_mov_b32 s5, 0xc1a00000
	v_accvgpr_write_b32 a4, v43
	v_accvgpr_write_b32 a5, v43
	;; [unrolled: 1-line block ×4, first 2 shown]
	s_mov_b32 s82, 0x5040100
	v_add_u32_e32 v241, 0x240, v203
	v_add_u32_e32 v242, 0x480, v203
	;; [unrolled: 1-line block ×17, first 2 shown]
	v_or_b32_e32 v234, 1, v179
	v_or_b32_e32 v233, 2, v179
	v_or_b32_e32 v232, 3, v179
	v_mul_u32_u24_e32 v231, 0x210, v170
	v_accvgpr_write_b32 a61, v1
	v_mov_b32_e32 v197, 0x7f800000
	v_mov_b32_e32 v199, 0x7fc00000
	;; [unrolled: 1-line block ×3, first 2 shown]
	v_accvgpr_write_b32 a92, v2
	v_cmp_gt_u32_e64 s[20:21], 8, v176
	v_cmp_gt_u32_e64 s[22:23], 64, v179
	v_cmp_gt_u32_e64 s[24:25], 63, v179
	v_cmp_gt_u32_e64 s[26:27], 62, v179
	v_cmp_gt_u32_e64 s[28:29], 61, v179
	s_lshl_b64 s[30:31], s[78:79], 8
	s_lshl_b64 s[88:89], s[90:91], 8
	s_mov_b64 s[96:97], 0x80
	v_writelane_b32 v255, s94, 49
	s_branch .LBB29_14
.LBB29_12:                              ;   in Loop: Header=BB29_14 Depth=1
	s_or_b64 exec, exec, s[34:35]
	s_barrier
.LBB29_13:                              ;   in Loop: Header=BB29_14 Depth=1
	v_readlane_b32 s37, v255, 1
	s_add_i32 s2, s2, s37
	s_abs_i32 s35, s2
	s_mul_hi_u32 s36, s35, s94
	s_mul_i32 s36, s36, s33
	s_sub_i32 s35, s35, s36
	s_ashr_i32 s34, s2, 31
	s_sub_i32 s36, s35, s33
	s_cmp_ge_u32 s35, s33
	s_cselect_b32 s35, s36, s35
	s_sub_i32 s36, s35, s33
	s_cmp_ge_u32 s35, s33
	s_cselect_b32 s35, s36, s35
	s_xor_b32 s35, s35, s34
	s_sub_i32 s34, s34, s35
	s_add_i32 s2, s2, s34
	v_subrev_u32_e32 v1, s2, v38
	v_cmp_lt_i32_e64 s[34:35], s2, v38
	v_cmp_le_i32_e32 vcc, s37, v1
	v_min_i32_e32 v150, s37, v1
	s_and_b64 s[36:37], vcc, s[34:35]
	s_mov_b32 s42, 0
	s_and_b64 vcc, exec, s[36:37]
	s_cbranch_vccz .LBB29_268
.LBB29_14:                              ; =>This Loop Header: Depth=1
                                        ;     Child Loop BB29_168 Depth 2
                                        ;     Child Loop BB29_40 Depth 2
	s_ashr_i32 s34, s2, 31
	v_readlane_b32 s35, v255, 38
	s_xor_b32 s34, s34, s35
	s_abs_i32 s35, s2
	v_mul_hi_u32 v1, s35, v200
	v_mul_lo_u32 v2, v1, s84
	v_sub_u32_e32 v2, s35, v2
	v_add_u32_e32 v3, 1, v1
	v_subrev_u32_e32 v4, s84, v2
	v_cmp_le_u32_e32 vcc, s84, v2
	s_nop 1
	v_cndmask_b32_e32 v1, v1, v3, vcc
	v_cndmask_b32_e32 v2, v2, v4, vcc
	v_add_u32_e32 v3, 1, v1
	v_cmp_le_u32_e32 vcc, s84, v2
	s_nop 1
	v_cndmask_b32_e32 v1, v1, v3, vcc
	v_xor_b32_e32 v1, s34, v1
	v_subrev_u32_e32 v1, s34, v1
	v_readlane_b32 s34, v255, 17
	v_readlane_b32 s35, v255, 18
	s_andn2_b64 vcc, exec, s[34:35]
	v_ashrrev_i32_e32 v4, 31, v1
	s_cbranch_vccnz .LBB29_16
; %bb.15:                               ;   in Loop: Header=BB29_14 Depth=1
	v_sub_u32_e32 v2, 0, v1
	v_max_i32_e32 v2, v1, v2
	v_readlane_b32 s34, v255, 42
	s_nop 1
	v_mul_hi_u32 v3, v2, s34
	v_readlane_b32 s34, v255, 41
	s_nop 1
	v_mul_lo_u32 v3, v3, s34
	v_sub_u32_e32 v2, v2, v3
	v_subrev_u32_e32 v3, s34, v2
	v_cmp_le_u32_e32 vcc, s34, v2
	s_nop 1
	v_cndmask_b32_e32 v2, v2, v3, vcc
	v_subrev_u32_e32 v3, s34, v2
	v_cmp_le_u32_e32 vcc, s34, v2
	v_readlane_b32 s34, v255, 11
	v_readlane_b32 s35, v255, 12
	v_cndmask_b32_e32 v2, v2, v3, vcc
	v_xor_b32_e32 v2, v2, v4
	v_sub_u32_e32 v2, v2, v4
	v_ashrrev_i32_e32 v3, 31, v2
	v_mul_lo_u32 v3, s34, v3
	v_mul_hi_u32 v5, s34, v2
	v_add_u32_e32 v3, v5, v3
	v_mul_lo_u32 v5, s35, v2
	v_add_u32_e32 v3, v3, v5
	v_mul_lo_u32 v2, s34, v2
	v_lshl_add_u64 v[124:125], s[66:67], 0, v[2:3]
	s_branch .LBB29_17
.LBB29_16:                              ;   in Loop: Header=BB29_14 Depth=1
	v_mov_b64_e32 v[124:125], 0
.LBB29_17:                              ;   in Loop: Header=BB29_14 Depth=1
	v_readlane_b32 s34, v255, 7
	v_mov_b32_e32 v122, 1.0
	s_nop 0
	v_mul_lo_u32 v2, v1, s34
	v_sub_u32_e32 v2, s2, v2
	v_sub_u32_e32 v5, 0, v2
	v_max_i32_e32 v5, v2, v5
	v_mul_hi_u32 v6, v5, v201
	v_mul_lo_u32 v7, v6, s95
	v_sub_u32_e32 v5, v5, v7
	v_add_u32_e32 v7, 1, v6
	v_subrev_u32_e32 v8, s95, v5
	v_cmp_le_u32_e32 vcc, s95, v5
	v_ashrrev_i32_e32 v3, 31, v2
	v_readlane_b32 s34, v255, 39
	v_cndmask_b32_e32 v6, v6, v7, vcc
	v_cndmask_b32_e32 v5, v5, v8, vcc
	v_add_u32_e32 v7, 1, v6
	v_cmp_le_u32_e32 vcc, s95, v5
	v_xor_b32_e32 v3, s34, v3
	v_readlane_b32 s34, v255, 6
	v_cndmask_b32_e32 v5, v6, v7, vcc
	v_xor_b32_e32 v5, v5, v3
	v_sub_u32_e32 v5, v5, v3
	v_mul_lo_u32 v3, v5, s34
	v_sub_u32_e32 v3, v2, v3
	v_sub_u32_e32 v6, 0, v3
	v_max_i32_e32 v6, v3, v6
	v_mul_hi_u32 v7, v6, v202
	v_mul_lo_u32 v8, v7, s86
	v_sub_u32_e32 v6, v6, v8
	v_add_u32_e32 v8, 1, v7
	v_subrev_u32_e32 v9, s86, v6
	v_cmp_le_u32_e32 vcc, s86, v6
	v_ashrrev_i32_e32 v2, 31, v3
	v_readlane_b32 s34, v255, 40
	v_cndmask_b32_e32 v7, v7, v8, vcc
	v_cndmask_b32_e32 v6, v6, v9, vcc
	v_add_u32_e32 v8, 1, v7
	v_cmp_le_u32_e32 vcc, s86, v6
	v_xor_b32_e32 v2, s34, v2
	v_readlane_b32 s34, v255, 2
	v_cndmask_b32_e32 v6, v7, v8, vcc
	v_xor_b32_e32 v6, v6, v2
	v_sub_u32_e32 v6, v6, v2
	v_mul_lo_u32 v2, v5, s34
	v_readlane_b32 s34, v255, 26
	v_readlane_b32 s35, v255, 27
	v_add_u32_e32 v2, v2, v6
	s_andn2_b64 vcc, exec, s[34:35]
	s_cbranch_vccnz .LBB29_19
; %bb.18:                               ;   in Loop: Header=BB29_14 Depth=1
	v_readlane_b32 s34, v255, 10
	v_add_u32_e32 v8, 1, v2
	v_readlane_b32 s36, v255, 22
	v_subrev_co_u32_e32 v9, vcc, s34, v2
	v_lshlrev_b32_e32 v9, 1, v9
	v_or_b32_e32 v9, 1, v9
	v_cndmask_b32_e32 v8, v9, v8, vcc
	v_readlane_b32 s38, v255, 24
	v_readlane_b32 s39, v255, 25
	v_cvt_f32_i32_e32 v8, v8
	v_mov_b32_e32 v9, s38
	v_mov_b32_e32 v7, s39
	v_cndmask_b32_e32 v7, v7, v9, vcc
	v_cmp_neq_f32_e32 vcc, 1.0, v7
	s_mov_b32 s34, 0x3f2aaaab
	s_movk_i32 s36, 0x204
	v_cndmask_b32_e32 v24, 1.0, v8, vcc
	v_cmp_neq_f32_e32 vcc, 0, v24
	s_brev_b32 s40, -2
	v_readlane_b32 s37, v255, 23
	v_cndmask_b32_e32 v7, 1.0, v7, vcc
	v_frexp_mant_f32_e64 v8, |v7|
	v_cmp_gt_f32_e32 vcc, s34, v8
	s_mov_b32 s34, 0x3f317218
	v_cmp_class_f32_e64 s[38:39], v7, s36
	v_cndmask_b32_e64 v9, 1.0, 2.0, vcc
	v_mul_f32_e32 v8, v8, v9
	v_add_f32_e32 v11, 1.0, v8
	v_rcp_f32_e32 v16, v11
	v_add_f32_e32 v9, -1.0, v11
	v_sub_f32_e32 v13, v8, v9
	v_add_f32_e32 v9, -1.0, v8
	v_mul_f32_e32 v17, v9, v16
	v_mul_f32_e32 v10, v11, v17
	v_fma_f32 v12, v17, v11, -v10
	v_fmac_f32_e32 v12, v17, v13
	v_add_f32_e32 v8, v10, v12
	v_sub_f32_e32 v11, v9, v8
	v_pk_add_f32 v[14:15], v[8:9], v[10:11] neg_lo:[0,1] neg_hi:[0,1]
	v_mov_b32_e32 v13, v8
	v_pk_add_f32 v[8:9], v[14:15], v[12:13] neg_lo:[0,1] neg_hi:[0,1]
	v_mov_b32_e32 v12, 0x3e91f4c4
	v_add_f32_e32 v8, v8, v9
	v_add_f32_e32 v8, v11, v8
	v_mul_f32_e32 v9, v16, v8
	v_add_f32_e32 v8, v17, v9
	v_sub_f32_e32 v10, v8, v17
	v_sub_f32_e32 v18, v9, v10
	v_mul_f32_e32 v9, v8, v8
	v_fma_f32 v11, v8, v8, -v9
	v_add_f32_e32 v10, v18, v18
	v_fmac_f32_e32 v11, v8, v10
	v_add_f32_e32 v10, v9, v11
	v_fmamk_f32 v12, v10, 0x3e76c4e1, v12
	v_fmaak_f32 v12, v10, v12, 0x3ecccdef
	v_sub_f32_e32 v9, v10, v9
	v_sub_f32_e32 v19, v11, v9
	v_mul_f32_e32 v9, v10, v12
	v_fma_f32 v11, v10, v12, -v9
	v_fmac_f32_e32 v11, v19, v12
	v_add_f32_e32 v12, v9, v11
	v_add_f32_e32 v13, 0x3f2aaaaa, v12
	v_sub_f32_e32 v9, v12, v9
	v_sub_f32_e32 v9, v11, v9
	v_add_f32_e32 v11, 0xbf2aaaaa, v13
	v_add_f32_e32 v9, 0x31739010, v9
	v_sub_f32_e32 v11, v12, v11
	v_pk_mul_f32 v[14:15], v[8:9], v[10:11]
	v_pk_add_f32 v[16:17], v[8:9], v[10:11]
	v_fma_f32 v12, v10, v8, -v14
	v_fmac_f32_e32 v12, v10, v18
	v_mov_b32_e32 v15, v17
	v_fmac_f32_e32 v12, v19, v8
	v_pk_add_f32 v[10:11], v[14:15], v[12:13]
	v_ldexp_f32 v20, v18, 1
	v_sub_f32_e32 v9, v10, v14
	v_sub_f32_e32 v9, v12, v9
	;; [unrolled: 1-line block ×3, first 2 shown]
	v_add_f32_e32 v16, v17, v12
	v_pk_mul_f32 v[12:13], v[10:11], v[10:11] op_sel:[0,1] op_sel_hi:[1,0]
	v_cvt_f64_f32_e64 v[14:15], |v7|
	v_frexp_exp_i32_f64_e32 v13, v[14:15]
	v_subbrev_co_u32_e32 v13, vcc, 0, v13, vcc
	v_cvt_f32_i32_e32 v13, v13
	v_fma_f32 v14, v10, v11, -v12
	v_fmac_f32_e32 v14, v10, v16
	v_fmac_f32_e32 v14, v9, v11
	v_mul_f32_e32 v10, 0x3f317218, v13
	v_fma_f32 v16, v13, s34, -v10
	v_fmac_f32_e32 v16, 0xb102e308, v13
	v_ldexp_f32 v17, v8, 1
	v_add_f32_e32 v11, v12, v14
	v_pk_add_f32 v[8:9], v[10:11], v[16:17]
	v_mov_b32_e32 v18, v11
	v_mov_b32_e32 v19, v9
	;; [unrolled: 1-line block ×3, first 2 shown]
	v_pk_add_f32 v[12:13], v[18:19], v[12:13] neg_lo:[0,1] neg_hi:[0,1]
	v_mov_b32_e32 v15, v11
	v_pk_add_f32 v[12:13], v[14:15], v[12:13] neg_lo:[0,1] neg_hi:[0,1]
	v_mov_b32_e32 v17, v8
	v_add_f32_e32 v11, v20, v12
	v_add_f32_e32 v11, v11, v13
	v_pk_add_f32 v[12:13], v[8:9], v[10:11] neg_lo:[0,1] neg_hi:[0,1]
	v_pk_add_f32 v[14:15], v[8:9], v[10:11]
	v_mov_b32_e32 v22, v9
	v_mov_b32_e32 v13, v15
	v_pk_add_f32 v[18:19], v[16:17], v[12:13] neg_lo:[0,1] neg_hi:[0,1]
	v_pk_add_f32 v[12:13], v[16:17], v[12:13]
	v_mov_b32_e32 v10, v11
	v_pk_add_f32 v[16:17], v[12:13], v[8:9] op_sel:[1,0] op_sel_hi:[0,1] neg_lo:[0,1] neg_hi:[0,1]
	v_pk_add_f32 v[20:21], v[14:15], v[16:17] op_sel_hi:[1,0] neg_lo:[0,1] neg_hi:[0,1]
	v_mov_b32_e32 v14, v15
	v_mov_b32_e32 v15, v13
	;; [unrolled: 1-line block ×3, first 2 shown]
	v_pk_add_f32 v[14:15], v[14:15], v[22:23] neg_lo:[0,1] neg_hi:[0,1]
	v_mov_b32_e32 v11, v8
	v_pk_add_f32 v[8:9], v[10:11], v[14:15] neg_lo:[0,1] neg_hi:[0,1]
	v_mov_b32_e32 v20, v18
	v_pk_add_f32 v[10:11], v[20:21], v[8:9]
	v_mov_b32_e32 v19, v13
	v_pk_add_f32 v[14:15], v[10:11], v[10:11] op_sel:[0,1] op_sel_hi:[1,0]
	s_mov_b32 s34, 0x7f800000
	v_pk_add_f32 v[12:13], v[12:13], v[14:15] op_sel:[1,0] op_sel_hi:[0,1]
	v_mov_b32_e32 v11, v12
	v_pk_add_f32 v[16:17], v[10:11], v[18:19] neg_lo:[0,1] neg_hi:[0,1]
	v_mov_b32_e32 v9, v14
	v_sub_f32_e32 v10, v10, v16
	v_pk_add_f32 v[8:9], v[8:9], v[16:17] neg_lo:[0,1] neg_hi:[0,1]
	v_sub_f32_e32 v10, v18, v10
	v_add_f32_e32 v8, v8, v10
	v_add_f32_e32 v8, v8, v9
	;; [unrolled: 1-line block ×3, first 2 shown]
	v_sub_f32_e32 v10, v9, v12
	v_sub_f32_e32 v8, v8, v10
	v_mul_f32_e32 v10, v24, v9
	v_fma_f32 v9, v24, v9, -v10
	v_fmac_f32_e32 v9, v24, v8
	v_add_f32_e32 v8, v10, v9
	v_cmp_class_f32_e64 vcc, v10, s36
	v_sub_f32_e32 v11, v8, v10
	v_sub_f32_e32 v9, v9, v11
	v_cndmask_b32_e32 v8, v8, v10, vcc
	v_mov_b32_e32 v10, 0x37000000
	v_cmp_eq_f32_e32 vcc, s77, v8
	s_nop 1
	v_cndmask_b32_e32 v10, 0, v10, vcc
	v_sub_f32_e32 v11, v8, v10
	v_mul_f32_e32 v12, 0x3fb8aa3b, v11
	v_fma_f32 v13, v11, s3, -v12
	v_rndne_f32_e32 v14, v12
	v_fmac_f32_e32 v13, 0x32a5705f, v11
	v_sub_f32_e32 v12, v12, v14
	v_add_f32_e32 v12, v12, v13
	v_exp_f32_e32 v12, v12
	v_cvt_i32_f32_e32 v13, v14
	v_cmp_neq_f32_e64 vcc, |v8|, s34
	s_nop 1
	v_cndmask_b32_e32 v8, 0, v9, vcc
	v_ldexp_f32 v9, v12, v13
	v_cmp_ngt_f32_e32 vcc, s4, v11
	v_add_f32_e32 v8, v10, v8
	s_nop 0
	v_cndmask_b32_e32 v9, 0, v9, vcc
	v_cmp_nlt_f32_e32 vcc, s77, v11
	s_nop 1
	v_cndmask_b32_e32 v9, v197, v9, vcc
	v_fma_f32 v8, v9, v8, v9
	v_cmp_class_f32_e64 vcc, v9, s36
	v_cmp_gt_f32_e64 s[36:37], 0, v24
	s_nop 0
	v_cndmask_b32_e32 v8, v8, v9, vcc
	v_trunc_f32_e32 v9, v24
	v_cmp_eq_f32_e32 vcc, v9, v24
	v_mul_f32_e32 v9, 0.5, v24
	v_trunc_f32_e32 v10, v9
	v_cmp_neq_f32_e64 s[34:35], v10, v9
	s_and_b64 s[34:35], vcc, s[34:35]
	s_nop 0
	v_cndmask_b32_e64 v9, 1.0, v7, s[34:35]
	v_bfi_b32 v8, s40, v8, v9
	v_cndmask_b32_e32 v9, v199, v8, vcc
	v_cmp_gt_f32_e32 vcc, 0, v7
	v_cndmask_b32_e64 v10, 0, v7, s[34:35]
	s_nop 0
	v_cndmask_b32_e32 v8, v8, v9, vcc
	v_cmp_eq_f32_e32 vcc, 0, v7
	s_xor_b64 s[36:37], s[36:37], vcc
	v_cndmask_b32_e64 v9, v197, 0, s[36:37]
	v_bfi_b32 v9, s40, v9, v10
	s_or_b64 vcc, vcc, s[38:39]
	v_cndmask_b32_e32 v8, v8, v9, vcc
	v_cmp_o_f32_e32 vcc, v7, v7
	s_nop 1
	v_cndmask_b32_e32 v122, v199, v8, vcc
.LBB29_19:                              ;   in Loop: Header=BB29_14 Depth=1
	v_readlane_b32 s34, v255, 3
	s_nop 1
	v_mul_lo_u32 v6, v6, s34
	v_sub_u32_e32 v3, v3, v6
	v_sub_u32_e32 v7, 0, v3
	v_ashrrev_i32_e32 v6, 31, v3
	v_max_i32_e32 v3, v3, v7
	v_mul_hi_u32 v7, v3, s94
	v_mul_lo_u32 v8, v7, s33
	v_sub_u32_e32 v3, v3, v8
	v_add_u32_e32 v8, 1, v7
	v_subrev_u32_e32 v9, s33, v3
	v_cmp_le_u32_e32 vcc, s33, v3
	v_readlane_b32 s34, v255, 15
	s_nop 0
	v_cndmask_b32_e32 v7, v7, v8, vcc
	v_cndmask_b32_e32 v3, v3, v9, vcc
	v_add_u32_e32 v8, 1, v7
	v_cmp_le_u32_e32 vcc, s33, v3
	v_xor_b32_e32 v6, s34, v6
	v_readlane_b32 s34, v255, 28
	v_cndmask_b32_e32 v3, v7, v8, vcc
	v_xor_b32_e32 v3, v3, v6
	v_readlane_b32 s35, v255, 29
	s_andn2_b64 vcc, exec, s[34:35]
	v_sub_u32_e32 v6, v3, v6
	s_cbranch_vccnz .LBB29_21
; %bb.20:                               ;   in Loop: Header=BB29_14 Depth=1
	v_readlane_b32 s34, v255, 0
	s_nop 1
	v_mul_lo_u32 v3, v1, s34
	v_add_u32_e32 v8, v6, v3
	v_ashrrev_i32_e32 v9, 31, v8
	v_lshlrev_b64 v[8:9], 2, v[8:9]
	v_lshl_add_u64 v[8:9], s[70:71], 0, v[8:9]
	global_load_dword v3, v[8:9], off
	s_waitcnt vmcnt(0)
	v_ashrrev_i32_e32 v7, 31, v3
	v_lshrrev_b32_e32 v7, 26, v7
	v_add_u32_e32 v3, v3, v7
	v_ashrrev_i32_e32 v3, 6, v3
	v_min_i32_e32 v150, v150, v3
.LBB29_21:                              ;   in Loop: Header=BB29_14 Depth=1
	v_readlane_b32 s34, v255, 19
	v_mul_hi_u32 v7, s98, v1
	v_mul_lo_u32 v128, s98, v1
	v_mul_lo_u32 v3, s34, v1
	v_add_u32_e32 v3, v2, v3
	v_lshlrev_b32_e32 v42, 7, v3
	v_mul_lo_u32 v3, s98, v4
	v_add_u32_e32 v3, v7, v3
	v_mul_lo_u32 v7, s99, v1
	v_lshlrev_b64 v[8:9], 3, v[42:43]
	v_add_u32_e32 v129, v3, v7
	v_mul_lo_u32 v130, v5, s83
	v_lshl_add_u64 v[116:117], s[72:73], 0, v[8:9]
	v_lshl_add_u64 v[8:9], s[64:65], 0, v[128:129]
	v_ashrrev_i32_e32 v131, 31, v130
	v_ashrrev_i32_e32 v3, 31, v2
	v_lshl_add_u64 v[120:121], v[8:9], 0, v[130:131]
	v_lshlrev_b64 v[8:9], 2, v[2:3]
	v_readlane_b32 s34, v255, 20
	v_lshl_add_u64 v[8:9], s[68:69], 0, v[8:9]
	v_readlane_b32 s35, v255, 21
	v_mul_lo_u32 v132, s80, v1
	v_lshlrev_b32_e32 v195, 4, v6
	v_cndmask_b32_e64 v119, v9, 0, s[34:35]
	v_cndmask_b32_e64 v118, v8, 0, s[34:35]
	v_readlane_b32 s34, v255, 8
	v_readlane_b32 s35, v255, 9
	s_cmp_lg_u32 s42, 0
	v_mul_lo_u32 v2, v2, s34
	v_mul_lo_u32 v8, v1, s35
	v_ashrrev_i32_e32 v9, 31, v8
	v_lshl_add_u64 v[8:9], s[60:61], 0, v[8:9]
	v_ashrrev_i32_e32 v3, 31, v2
	v_lshl_add_u64 v[136:137], v[8:9], 0, v[2:3]
	v_mul_lo_u32 v2, s80, v4
	v_mul_hi_u32 v3, s80, v1
	v_readlane_b32 s34, v255, 13
	v_add_u32_e32 v2, v3, v2
	v_mul_lo_u32 v3, s81, v1
	v_readlane_b32 s35, v255, 14
	v_add_u32_e32 v133, v2, v3
	v_lshl_add_u64 v[2:3], s[62:63], 0, v[132:133]
	v_mul_lo_u32 v134, v5, s35
	v_ashrrev_i32_e32 v135, 31, v134
	v_lshl_add_u64 v[126:127], v[2:3], 0, v[134:135]
	v_add_u32_e32 v194, v170, v195
	s_cbranch_scc0 .LBB29_48
; %bb.22:                               ;   in Loop: Header=BB29_14 Depth=1
	v_cmp_le_i32_e32 vcc, s76, v194
	s_and_saveexec_b64 s[34:35], vcc
	s_xor_b64 s[34:35], exec, s[34:35]
; %bb.23:                               ;   in Loop: Header=BB29_14 Depth=1
	v_add_u32_e32 v1, v221, v231
	ds_write2st64_b32 v1, v43, v43 offset1:1
; %bb.24:                               ;   in Loop: Header=BB29_14 Depth=1
	s_andn2_saveexec_b64 s[34:35], s[34:35]
	s_cbranch_execz .LBB29_26
; %bb.25:                               ;   in Loop: Header=BB29_14 Depth=1
	v_mad_u64_u32 v[2:3], s[36:37], v194, s53, v[40:41]
	v_ashrrev_i32_e32 v3, 31, v2
	v_lshl_add_u64 v[2:3], v[2:3], 3, v[136:137]
	global_load_dwordx2 v[4:5], v[2:3], off
	s_waitcnt vmcnt(0)
	v_cvt_pk_f16_f32 v1, v4, v5
	global_load_dwordx2 v[2:3], v[2:3], off offset:512
	v_pk_mul_f16 v1, v1, v238
	s_waitcnt vmcnt(0)
	v_cvt_pk_f16_f32 v2, v2, v3
	v_pk_mul_f16 v2, v2, v238
	ds_write2st64_b32 v240, v1, v2 offset1:1
.LBB29_26:                              ;   in Loop: Header=BB29_14 Depth=1
	s_or_b64 exec, exec, s[34:35]
	v_add_u32_e32 v151, v173, v195
	v_cmp_le_i32_e32 vcc, s76, v151
	s_and_saveexec_b64 s[34:35], vcc
	s_xor_b64 s[34:35], exec, s[34:35]
; %bb.27:                               ;   in Loop: Header=BB29_14 Depth=1
	v_add_u32_e32 v1, v221, v231
	v_add_u32_e32 v1, 64, v1
	ds_write2st64_b32 v1, v43, v43 offset0:8 offset1:9
; %bb.28:                               ;   in Loop: Header=BB29_14 Depth=1
	s_andn2_saveexec_b64 s[34:35], s[34:35]
	s_cbranch_execz .LBB29_30
; %bb.29:                               ;   in Loop: Header=BB29_14 Depth=1
	v_mad_u64_u32 v[2:3], s[36:37], v151, s53, v[40:41]
	v_ashrrev_i32_e32 v3, 31, v2
	v_lshl_add_u64 v[2:3], v[2:3], 3, v[136:137]
	global_load_dwordx2 v[4:5], v[2:3], off
	s_waitcnt vmcnt(0)
	v_cvt_pk_f16_f32 v1, v4, v5
	global_load_dwordx2 v[2:3], v[2:3], off offset:512
	v_pk_mul_f16 v1, v1, v238
	s_waitcnt vmcnt(0)
	v_cvt_pk_f16_f32 v2, v2, v3
	v_pk_mul_f16 v2, v2, v238
	v_accvgpr_read_b32 v3, a57
	ds_write2st64_b32 v3, v1, v2 offset1:1
.LBB29_30:                              ;   in Loop: Header=BB29_14 Depth=1
	s_or_b64 exec, exec, s[34:35]
	v_add_u32_e32 v152, v45, v195
	v_cmp_le_i32_e32 vcc, s76, v152
	s_and_saveexec_b64 s[34:35], vcc
	s_xor_b64 s[34:35], exec, s[34:35]
; %bb.31:                               ;   in Loop: Header=BB29_14 Depth=1
	v_add_u32_e32 v1, v221, v231
	v_add_u32_e32 v1, 0x80, v1
	ds_write2st64_b32 v1, v43, v43 offset0:16 offset1:17
; %bb.32:                               ;   in Loop: Header=BB29_14 Depth=1
	s_andn2_saveexec_b64 s[34:35], s[34:35]
	s_cbranch_execz .LBB29_34
; %bb.33:                               ;   in Loop: Header=BB29_14 Depth=1
	v_mad_u64_u32 v[2:3], s[36:37], v152, s53, v[40:41]
	v_ashrrev_i32_e32 v3, 31, v2
	v_lshl_add_u64 v[2:3], v[2:3], 3, v[136:137]
	global_load_dwordx2 v[4:5], v[2:3], off
	s_waitcnt vmcnt(0)
	v_cvt_pk_f16_f32 v1, v4, v5
	global_load_dwordx2 v[2:3], v[2:3], off offset:512
	v_pk_mul_f16 v1, v1, v238
	s_waitcnt vmcnt(0)
	v_cvt_pk_f16_f32 v2, v2, v3
	v_pk_mul_f16 v2, v2, v238
	v_accvgpr_read_b32 v3, a60
	ds_write2st64_b32 v3, v1, v2 offset1:1
.LBB29_34:                              ;   in Loop: Header=BB29_14 Depth=1
	;; [unrolled: 27-line block ×3, first 2 shown]
	s_or_b64 exec, exec, s[34:35]
	s_waitcnt lgkmcnt(0)
	s_barrier
	ds_read2_b64 v[30:33], v175 offset1:4
	ds_read2_b64 v[26:29], v175 offset0:8 offset1:12
	ds_read2_b64 v[22:25], v175 offset0:16 offset1:20
	;; [unrolled: 1-line block ×7, first 2 shown]
	v_add_u32_e32 v154, -1, v150
	v_cmp_ge_i32_e32 vcc, s42, v154
	s_waitcnt lgkmcnt(0)
	s_barrier
	s_cbranch_vccnz .LBB29_49
; %bb.39:                               ;   in Loop: Header=BB29_14 Depth=1
	v_mul_hi_u32 v1, s92, v194
	v_add_u32_e32 v1, v194, v1
	v_lshrrev_b32_e32 v1, s93, v1
	v_mul_lo_u32 v1, v1, s76
	v_readlane_b32 s36, v255, 45
	v_sub_u32_e32 v1, v194, v1
	v_readlane_b32 s37, v255, 46
	s_mov_b32 s38, s36
	v_mad_i64_i32 v[140:141], s[36:37], v1, s38, 0
	v_mul_hi_u32 v1, s92, v151
	v_add_u32_e32 v1, v151, v1
	v_lshrrev_b32_e32 v1, s93, v1
	v_mul_lo_u32 v1, v1, s76
	v_sub_u32_e32 v1, v151, v1
	v_mad_i64_i32 v[142:143], s[36:37], v1, s38, 0
	v_mul_hi_u32 v1, s92, v152
	v_add_u32_e32 v1, v152, v1
	v_lshrrev_b32_e32 v1, s93, v1
	v_mul_lo_u32 v1, v1, s76
	v_sub_u32_e32 v1, v152, v1
	;; [unrolled: 6-line block ×3, first 2 shown]
	v_mad_i64_i32 v[146:147], s[36:37], v1, s38, 0
	v_and_b32_e32 v1, 64, v239
	v_add_u32_e32 v1, 64, v1
	v_xor_b32_e32 v34, 32, v239
	v_cmp_lt_i32_e32 vcc, v34, v1
	v_lshlrev_b32_e32 v42, 1, v40
	v_cmp_ne_u64_e64 s[34:35], 0, v[124:125]
	v_cndmask_b32_e32 v34, v239, v34, vcc
	v_lshlrev_b32_e32 v155, 2, v34
	v_xor_b32_e32 v34, 16, v239
	v_cmp_lt_i32_e32 vcc, v34, v1
	v_lshl_add_u64 v[138:139], v[124:125], 0, v[42:43]
	v_mov_b32_e32 v148, v122
	v_cndmask_b32_e32 v1, v239, v34, vcc
	v_lshlrev_b32_e32 v156, 2, v1
	v_mov_b32_e32 v149, v122
	s_lshl_b32 s38, s42, 6
	v_mov_b32_e32 v82, 0
	v_mov_b32_e32 v91, 0xfeffffff
	;; [unrolled: 1-line block ×34, first 2 shown]
.LBB29_40:                              ;   Parent Loop BB29_14 Depth=1
                                        ; =>  This Inner Loop Header: Depth=2
	v_cndmask_b32_e64 v1, 0, 1, s[34:35]
	v_cmp_ne_u32_e64 s[36:37], 1, v1
	s_andn2_b64 vcc, exec, s[34:35]
	s_ashr_i32 s39, s38, 31
	s_cbranch_vccnz .LBB29_44
; %bb.41:                               ;   in Loop: Header=BB29_40 Depth=2
	v_mov_b32_e32 v1, 0
	v_mov_b32_e32 v34, 0
	;; [unrolled: 1-line block ×4, first 2 shown]
	s_and_saveexec_b64 s[40:41], s[0:1]
	s_cbranch_execz .LBB29_43
; %bb.42:                               ;   in Loop: Header=BB29_40 Depth=2
	v_lshl_add_u64 v[36:37], s[38:39], 1, v[138:139]
	v_lshl_add_u64 v[34:35], v[140:141], 1, v[36:37]
	global_load_ushort v1, v[34:35], off
	v_lshl_add_u64 v[34:35], v[142:143], 1, v[36:37]
	v_lshl_add_u64 v[92:93], v[144:145], 1, v[36:37]
	v_lshl_add_u64 v[36:37], v[146:147], 1, v[36:37]
	global_load_ushort v34, v[34:35], off
	s_nop 0
	global_load_ushort v36, v[36:37], off
	s_nop 0
	global_load_ushort v35, v[92:93], off
.LBB29_43:                              ;   in Loop: Header=BB29_40 Depth=2
	s_or_b64 exec, exec, s[40:41]
	s_waitcnt vmcnt(3)
	ds_write_b16 v203, v1 offset:33792
	s_waitcnt vmcnt(2)
	ds_write_b16 v241, v34 offset:33792
	;; [unrolled: 2-line block ×3, first 2 shown]
	ds_write_b16 v243, v36 offset:33792
.LBB29_44:                              ;   in Loop: Header=BB29_40 Depth=2
	s_mul_hi_i32 s41, s38, s90
	s_mul_i32 s40, s38, s90
	s_lshl_b64 s[40:41], s[40:41], 2
	v_lshl_add_u64 v[92:93], v[126:127], 0, s[40:41]
	v_lshl_add_u64 v[34:35], v[48:49], 2, v[92:93]
	v_lshlrev_b32_e32 v42, 2, v44
	v_lshl_add_u64 v[34:35], v[34:35], 0, v[42:43]
	v_mov_b32_e32 v1, s87
	v_cndmask_b32_e64 v35, v1, v35, s[6:7]
	v_cndmask_b32_e64 v34, v196, v34, s[6:7]
	scratch_store_dwordx4 off, a[4:7], off
	flat_load_dwordx4 v[34:37], v[34:35]
	v_lshl_add_u64 v[94:95], v[50:51], 2, v[92:93]
	v_lshl_add_u64 v[94:95], v[94:95], 0, v[42:43]
	v_cndmask_b32_e64 v95, v1, v95, s[8:9]
	v_cndmask_b32_e64 v94, v196, v94, s[8:9]
	s_and_b64 vcc, exec, s[36:37]
	s_waitcnt vmcnt(0) lgkmcnt(0)
	ds_write_b128 v177, v[34:37]
	flat_load_dwordx4 v[34:37], v[94:95]
	v_lshl_add_u64 v[94:95], v[52:53], 2, v[92:93]
	v_lshl_add_u64 v[94:95], v[94:95], 0, v[42:43]
	v_cndmask_b32_e64 v95, v1, v95, s[10:11]
	v_cndmask_b32_e64 v94, v196, v94, s[10:11]
	s_waitcnt vmcnt(0) lgkmcnt(0)
	ds_write_b128 v245, v[34:37]
	flat_load_dwordx4 v[34:37], v[94:95]
	v_lshl_add_u64 v[94:95], v[54:55], 2, v[92:93]
	v_lshl_add_u64 v[94:95], v[94:95], 0, v[42:43]
	v_cndmask_b32_e64 v95, v1, v95, s[12:13]
	v_cndmask_b32_e64 v94, v196, v94, s[12:13]
	;; [unrolled: 7-line block ×5, first 2 shown]
	v_lshl_add_u64 v[92:93], v[62:63], 2, v[92:93]
	v_lshl_add_u64 v[92:93], v[92:93], 0, v[42:43]
	v_cndmask_b32_e64 v93, v1, v93, s[20:21]
	v_cndmask_b32_e64 v92, v196, v92, s[20:21]
	s_waitcnt vmcnt(0) lgkmcnt(0)
	ds_write_b128 v253, v[34:37]
	flat_load_dwordx4 v[34:37], v[94:95]
	s_waitcnt vmcnt(0) lgkmcnt(0)
	ds_write_b128 v237, v[34:37]
	flat_load_dwordx4 v[34:37], v[92:93]
	s_waitcnt vmcnt(0) lgkmcnt(0)
	ds_write_b128 v235, v[34:37]
	s_waitcnt lgkmcnt(0)
	s_barrier
	ds_read2_b64 v[34:37], v178 offset1:4
	s_waitcnt lgkmcnt(0)
	v_mfma_f32_16x16x16_f16 a[0:3], v[34:35], v[30:31], 0
	v_mfma_f32_16x16x16_f16 a[0:3], v[36:37], v[32:33], a[0:3]
	ds_read2_b64 v[34:37], v178 offset0:8 offset1:12
	s_waitcnt lgkmcnt(0)
	v_mfma_f32_16x16x16_f16 a[0:3], v[34:35], v[26:27], a[0:3]
	v_mfma_f32_16x16x16_f16 a[0:3], v[36:37], v[28:29], a[0:3]
	ds_read2_b64 v[34:37], v178 offset0:16 offset1:20
	;; [unrolled: 4-line block ×7, first 2 shown]
	s_waitcnt lgkmcnt(0)
	s_barrier
	v_mfma_f32_16x16x16_f16 a[0:3], v[34:35], v[2:3], a[0:3]
	v_mfma_f32_16x16x16_f16 a[0:3], v[36:37], v[4:5], a[0:3]
	s_cbranch_vccnz .LBB29_46
; %bb.45:                               ;   in Loop: Header=BB29_40 Depth=2
	v_add_u32_e32 v1, 0x8400, v180
	ds_read2_b32 v[92:93], v1 offset1:1
	s_nop 4
	v_accvgpr_read_b32 v37, a3
	v_accvgpr_read_b32 v35, a1
	;; [unrolled: 1-line block ×4, first 2 shown]
	s_waitcnt lgkmcnt(0)
	v_cvt_f32_f16_e32 v94, v92
	v_cvt_f32_f16_sdwa v95, v92 dst_sel:DWORD dst_unused:UNUSED_PAD src0_sel:WORD_1
	v_cvt_f32_f16_e32 v96, v93
	v_cvt_f32_f16_sdwa v97, v93 dst_sel:DWORD dst_unused:UNUSED_PAD src0_sel:WORD_1
	v_mov_b32_e32 v123, v122
	v_pk_fma_f32 v[34:35], v[148:149], v[94:95], v[34:35]
	v_pk_fma_f32 v[36:37], v[122:123], v[96:97], v[36:37]
	s_nop 0
	v_accvgpr_write_b32 a0, v34
	v_accvgpr_write_b32 a1, v35
	;; [unrolled: 1-line block ×4, first 2 shown]
.LBB29_46:                              ;   in Loop: Header=BB29_40 Depth=2
	s_nop 6
	v_accvgpr_read_b32 v95, a3
	v_accvgpr_read_b32 v92, a0
	v_add_f32_e32 v1, 0x40051340, v92
	v_max_f32_e32 v34, v91, v91
	v_max_f32_e32 v1, v34, v1
	v_accvgpr_read_b32 v93, a1
	v_cndmask_b32_e64 v1, v91, v1, s[22:23]
	v_add_f32_e32 v34, 0x40051340, v93
	v_max_f32_e32 v35, v1, v1
	v_max_f32_e32 v34, v35, v34
	v_accvgpr_read_b32 v94, a2
	v_cndmask_b32_e64 v1, v1, v34, s[24:25]
	v_add_f32_e32 v34, 0x40051340, v94
	v_max_f32_e32 v35, v1, v1
	v_max_f32_e32 v34, v35, v34
	v_cndmask_b32_e64 v1, v1, v34, s[26:27]
	v_add_f32_e32 v34, 0x40051340, v95
	v_max_f32_e32 v35, v1, v1
	v_max_f32_e32 v34, v35, v34
	v_cndmask_b32_e64 v1, v1, v34, s[28:29]
	ds_bpermute_b32 v34, v155, v1
	v_max_f32_e32 v1, v1, v1
	s_mul_hi_i32 s37, s38, s78
	s_mul_i32 s36, s38, s78
	s_lshl_b64 s[36:37], s[36:37], 2
	s_waitcnt lgkmcnt(0)
	v_max_f32_e32 v34, v34, v34
	v_max_f32_e32 v1, v1, v34
	ds_bpermute_b32 v34, v156, v1
	v_lshl_add_u64 v[102:103], v[120:121], 0, s[36:37]
	v_lshl_add_u64 v[104:105], v[64:65], 2, v[102:103]
	;; [unrolled: 1-line block ×4, first 2 shown]
	s_waitcnt lgkmcnt(0)
	v_max_f32_e32 v34, v34, v34
	v_max_f32_e32 v37, v1, v34
	v_sub_f32_e32 v1, v92, v37
	v_mul_f32_e32 v34, 0x3fb8aa3b, v1
	v_fma_f32 v35, v1, s3, -v34
	v_rndne_f32_e32 v36, v34
	v_fmac_f32_e32 v35, 0x32a5705f, v1
	v_sub_f32_e32 v34, v34, v36
	v_add_f32_e32 v34, v34, v35
	v_exp_f32_e32 v34, v34
	v_cvt_i32_f32_e32 v35, v36
	v_cmp_ngt_f32_e32 vcc, s4, v1
	v_lshl_add_u64 v[108:109], v[68:69], 2, v[102:103]
	v_lshl_add_u64 v[110:111], v[70:71], 2, v[102:103]
	v_ldexp_f32 v34, v34, v35
	v_cndmask_b32_e32 v34, 0, v34, vcc
	v_cmp_nlt_f32_e32 vcc, s77, v1
	v_lshl_add_u64 v[112:113], v[72:73], 2, v[102:103]
	v_cndmask_b32_e64 v104, v196, v104, s[6:7]
	v_cndmask_b32_e32 v1, v197, v34, vcc
	v_cndmask_b32_e64 v34, 0, v1, s[22:23]
	v_sub_f32_e32 v1, v93, v37
	v_mul_f32_e32 v35, 0x3fb8aa3b, v1
	v_fma_f32 v36, v1, s3, -v35
	v_rndne_f32_e32 v46, v35
	v_fmac_f32_e32 v36, 0x32a5705f, v1
	v_sub_f32_e32 v35, v35, v46
	v_add_f32_e32 v35, v35, v36
	v_exp_f32_e32 v35, v35
	v_cvt_i32_f32_e32 v36, v46
	v_cmp_ngt_f32_e32 vcc, s4, v1
	scratch_store_dwordx4 off, a[4:7], off
	v_lshl_add_u64 v[106:107], v[106:107], 0, v[42:43]
	v_ldexp_f32 v35, v35, v36
	v_cndmask_b32_e32 v35, 0, v35, vcc
	v_cmp_nlt_f32_e32 vcc, s77, v1
	v_mov_b32_e32 v1, s85
	v_cndmask_b32_e64 v106, v196, v106, s[8:9]
	v_cndmask_b32_e32 v35, v197, v35, vcc
	v_add_f32_e32 v36, v35, v34
	v_cndmask_b32_e64 v1, v1, v35, s[24:25]
	v_cndmask_b32_e64 v35, v34, v36, s[24:25]
	v_sub_f32_e32 v36, v94, v37
	v_mul_f32_e32 v46, 0x3fb8aa3b, v36
	v_fma_f32 v47, v36, s3, -v46
	v_rndne_f32_e32 v92, v46
	v_fmac_f32_e32 v47, 0x32a5705f, v36
	v_sub_f32_e32 v46, v46, v92
	v_add_f32_e32 v46, v46, v47
	v_exp_f32_e32 v46, v46
	v_cvt_i32_f32_e32 v47, v92
	v_cmp_ngt_f32_e32 vcc, s4, v36
	v_lshl_add_u64 v[108:109], v[108:109], 0, v[42:43]
	v_cndmask_b32_e64 v108, v196, v108, s[10:11]
	v_ldexp_f32 v46, v46, v47
	v_cndmask_b32_e32 v46, 0, v46, vcc
	v_cmp_nlt_f32_e32 vcc, s77, v36
	v_mov_b32_e32 v36, s85
	v_lshl_add_u64 v[110:111], v[110:111], 0, v[42:43]
	v_cndmask_b32_e32 v46, v197, v46, vcc
	v_add_f32_e32 v47, v35, v46
	v_cndmask_b32_e64 v36, v36, v46, s[26:27]
	v_cndmask_b32_e64 v46, v35, v47, s[26:27]
	v_sub_f32_e32 v35, v95, v37
	v_mul_f32_e32 v47, 0x3fb8aa3b, v35
	v_fma_f32 v92, v35, s3, -v47
	v_rndne_f32_e32 v93, v47
	v_fmac_f32_e32 v92, 0x32a5705f, v35
	v_sub_f32_e32 v47, v47, v93
	v_add_f32_e32 v47, v47, v92
	v_exp_f32_e32 v47, v47
	v_cvt_i32_f32_e32 v92, v93
	v_cmp_ngt_f32_e32 vcc, s4, v35
	v_cndmask_b32_e64 v110, v196, v110, s[12:13]
	v_lshl_add_u64 v[112:113], v[112:113], 0, v[42:43]
	v_ldexp_f32 v47, v47, v92
	v_cndmask_b32_e32 v47, 0, v47, vcc
	v_cmp_nlt_f32_e32 vcc, s77, v35
	v_mov_b32_e32 v35, s85
	v_cndmask_b32_e64 v112, v196, v112, s[14:15]
	v_cndmask_b32_e32 v47, v197, v47, vcc
	v_add_f32_e32 v92, v46, v47
	v_cndmask_b32_e64 v123, v46, v92, s[28:29]
	v_sub_f32_e32 v46, v91, v37
	v_cndmask_b32_e64 v35, v35, v47, s[28:29]
	v_mul_f32_e32 v47, 0x3fb8aa3b, v46
	v_fma_f32 v91, v46, s3, -v47
	v_rndne_f32_e32 v92, v47
	v_fmac_f32_e32 v91, 0x32a5705f, v46
	v_sub_f32_e32 v47, v47, v92
	v_add_f32_e32 v47, v47, v91
	v_exp_f32_e32 v47, v47
	v_cvt_i32_f32_e32 v91, v92
	v_cmp_ngt_f32_e32 vcc, s4, v46
	v_cvt_pk_f16_f32 v35, v36, v35
	v_cvt_pk_f16_f32 v34, v34, v1
	v_ldexp_f32 v47, v47, v91
	v_cndmask_b32_e32 v47, 0, v47, vcc
	v_cmp_nlt_f32_e32 vcc, s77, v46
	s_add_i32 s42, s42, 1
	s_add_i32 s38, s38, 64
	v_cndmask_b32_e32 v47, v197, v47, vcc
	v_cmp_le_f32_e32 vcc, s5, v46
	s_nop 1
	v_cndmask_b32_e32 v46, 0, v47, vcc
	v_fmac_f32_e32 v123, v90, v46
	v_cvt_f16_f32_e32 v46, v46
	v_cmp_lt_i32_e32 vcc, s42, v154
	s_and_b64 vcc, exec, vcc
	v_mul_u32_u24_e32 v46, 0x10001, v46
	v_pk_mul_f16 v101, v192, v46
	v_pk_mul_f16 v100, v191, v46
	;; [unrolled: 1-line block ×32, first 2 shown]
	v_mov_b32_e32 v46, s87
	v_lshl_add_u64 v[158:159], v[74:75], 2, v[102:103]
	v_lshl_add_u64 v[160:161], v[76:77], 2, v[102:103]
	;; [unrolled: 1-line block ×3, first 2 shown]
	v_cndmask_b32_e64 v105, v46, v105, s[6:7]
	v_lshl_add_u64 v[102:103], v[102:103], 0, v[42:43]
	v_cndmask_b32_e64 v163, v46, v103, s[20:21]
	v_cndmask_b32_e64 v162, v196, v102, s[20:21]
	flat_load_dwordx4 v[102:105], v[104:105]
	v_cndmask_b32_e64 v107, v46, v107, s[8:9]
	v_cndmask_b32_e64 v109, v46, v109, s[10:11]
	;; [unrolled: 1-line block ×4, first 2 shown]
	v_lshl_add_u64 v[158:159], v[158:159], 0, v[42:43]
	v_cndmask_b32_e64 v159, v46, v159, s[16:17]
	v_cndmask_b32_e64 v158, v196, v158, s[16:17]
	v_lshl_add_u64 v[160:161], v[160:161], 0, v[42:43]
	v_cndmask_b32_e64 v161, v46, v161, s[18:19]
	v_cndmask_b32_e64 v160, v196, v160, s[18:19]
	v_cvt_f32_f16_sdwa v83, v100 dst_sel:DWORD dst_unused:UNUSED_PAD src0_sel:WORD_1
	v_accvgpr_write_b32 a3, v83
	s_waitcnt vmcnt(0) lgkmcnt(0)
	ds_write_b128 v177, v[102:105]
	flat_load_dwordx4 v[102:105], v[106:107]
	s_waitcnt vmcnt(0) lgkmcnt(0)
	ds_write_b128 v245, v[102:105]
	flat_load_dwordx4 v[102:105], v[108:109]
	;; [unrolled: 3-line block ×7, first 2 shown]
	s_waitcnt vmcnt(0) lgkmcnt(0)
	ds_write_b128 v235, v[102:105]
	s_waitcnt lgkmcnt(0)
	s_barrier
	ds_read_u16 v1, v181 offset:528
	ds_read_u16 v36, v181 offset:1056
	ds_read_u16 v42, v182
	ds_read_u16 v46, v182 offset:32
	s_waitcnt lgkmcnt(1)
	v_perm_b32 v103, v42, v36, s82
	ds_read_u16 v36, v181
	ds_read_u16 v47, v181 offset:32
	v_cvt_f32_f16_e32 v42, v100
	ds_read_u16 v83, v181 offset:560
	ds_read_u16 v100, v181 offset:1088
	s_waitcnt lgkmcnt(3)
	v_perm_b32 v102, v1, v36, s82
	v_cvt_f32_f16_e32 v1, v101
	v_cvt_f32_f16_sdwa v36, v101 dst_sel:DWORD dst_unused:UNUSED_PAD src0_sel:WORD_1
	v_accvgpr_write_b32 a2, v42
	s_waitcnt lgkmcnt(0)
	v_perm_b32 v101, v46, v100, s82
	v_accvgpr_write_b32 a0, v1
	v_accvgpr_write_b32 a1, v36
	v_perm_b32 v100, v83, v47, s82
	v_cvt_f32_f16_e32 v46, v190
	v_mfma_f32_16x16x16_f16 a[0:3], v[102:103], v[34:35], a[0:3]
	v_cvt_f32_f16_sdwa v47, v190 dst_sel:DWORD dst_unused:UNUSED_PAD src0_sel:WORD_1
	v_cvt_f32_f16_e32 v83, v189
	v_cvt_f32_f16_sdwa v102, v189 dst_sel:DWORD dst_unused:UNUSED_PAD src0_sel:WORD_1
	s_nop 4
	v_accvgpr_read_b32 v1, a0
	v_accvgpr_read_b32 v36, a1
	;; [unrolled: 1-line block ×4, first 2 shown]
	v_accvgpr_write_b32 a0, v46
	v_accvgpr_write_b32 a1, v47
	;; [unrolled: 1-line block ×4, first 2 shown]
	v_cvt_f32_f16_sdwa v102, v187 dst_sel:DWORD dst_unused:UNUSED_PAD src0_sel:WORD_1
	v_cvt_pk_f16_f32 v191, v42, v191
	v_mfma_f32_16x16x16_f16 a[0:3], v[100:101], v[34:35], a[0:3]
	ds_read_u16 v46, v181 offset:64
	ds_read_u16 v47, v181 offset:592
	;; [unrolled: 1-line block ×4, first 2 shown]
	s_waitcnt lgkmcnt(0)
	v_perm_b32 v101, v100, v83, s82
	v_perm_b32 v100, v47, v46, s82
	v_cvt_f32_f16_e32 v46, v188
	v_cvt_f32_f16_sdwa v47, v188 dst_sel:DWORD dst_unused:UNUSED_PAD src0_sel:WORD_1
	v_cvt_f32_f16_e32 v83, v187
	v_accvgpr_read_b32 v189, a0
	v_accvgpr_read_b32 v190, a1
	;; [unrolled: 1-line block ×4, first 2 shown]
	v_accvgpr_write_b32 a0, v46
	v_accvgpr_write_b32 a1, v47
	;; [unrolled: 1-line block ×4, first 2 shown]
	v_cvt_f32_f16_sdwa v102, v185 dst_sel:DWORD dst_unused:UNUSED_PAD src0_sel:WORD_1
	v_cvt_pk_f16_f32 v190, v189, v190
	v_mfma_f32_16x16x16_f16 a[0:3], v[100:101], v[34:35], a[0:3]
	ds_read_u16 v46, v181 offset:96
	ds_read_u16 v47, v181 offset:624
	ds_read_u16 v83, v181 offset:1152
	ds_read_u16 v100, v182 offset:96
	v_cvt_pk_f16_f32 v189, v192, v193
	v_cvt_pk_f16_f32 v192, v1, v36
	s_waitcnt lgkmcnt(0)
	v_perm_b32 v101, v100, v83, s82
	v_perm_b32 v100, v47, v46, s82
	v_cvt_f32_f16_e32 v46, v186
	v_cvt_f32_f16_sdwa v47, v186 dst_sel:DWORD dst_unused:UNUSED_PAD src0_sel:WORD_1
	v_cvt_f32_f16_e32 v83, v185
	v_accvgpr_read_b32 v187, a0
	v_accvgpr_read_b32 v188, a1
	v_accvgpr_read_b32 v207, a2
	v_accvgpr_read_b32 v208, a3
	v_accvgpr_write_b32 a0, v46
	v_accvgpr_write_b32 a1, v47
	v_accvgpr_write_b32 a2, v83
	v_accvgpr_write_b32 a3, v102
	v_cvt_f32_f16_sdwa v102, v172 dst_sel:DWORD dst_unused:UNUSED_PAD src0_sel:WORD_1
	v_cvt_pk_f16_f32 v188, v187, v188
	v_mfma_f32_16x16x16_f16 a[0:3], v[100:101], v[34:35], a[0:3]
	ds_read_u16 v46, v181 offset:128
	ds_read_u16 v47, v181 offset:656
	ds_read_u16 v83, v181 offset:1184
	ds_read_u16 v100, v182 offset:128
	v_cvt_pk_f16_f32 v187, v207, v208
	s_waitcnt lgkmcnt(0)
	v_perm_b32 v101, v100, v83, s82
	v_perm_b32 v100, v47, v46, s82
	v_cvt_f32_f16_e32 v46, v174
	v_cvt_f32_f16_sdwa v47, v174 dst_sel:DWORD dst_unused:UNUSED_PAD src0_sel:WORD_1
	v_cvt_f32_f16_e32 v83, v172
	v_accvgpr_read_b32 v185, a0
	v_accvgpr_read_b32 v186, a1
	v_accvgpr_read_b32 v209, a2
	v_accvgpr_read_b32 v210, a3
	v_accvgpr_write_b32 a0, v46
	v_accvgpr_write_b32 a1, v47
	v_accvgpr_write_b32 a2, v83
	v_accvgpr_write_b32 a3, v102
	v_cvt_f32_f16_sdwa v102, v169 dst_sel:DWORD dst_unused:UNUSED_PAD src0_sel:WORD_1
	v_cvt_pk_f16_f32 v186, v185, v186
	v_mfma_f32_16x16x16_f16 a[0:3], v[100:101], v[34:35], a[0:3]
	ds_read_u16 v46, v181 offset:160
	ds_read_u16 v47, v181 offset:688
	ds_read_u16 v83, v181 offset:1216
	ds_read_u16 v100, v182 offset:160
	;; [unrolled: 22-line block ×3, first 2 shown]
	v_cvt_pk_f16_f32 v172, v211, v212
	s_waitcnt lgkmcnt(0)
	v_perm_b32 v101, v100, v83, s82
	v_perm_b32 v100, v47, v46, s82
	v_cvt_f32_f16_e32 v46, v168
	v_cvt_f32_f16_sdwa v47, v168 dst_sel:DWORD dst_unused:UNUSED_PAD src0_sel:WORD_1
	v_cvt_f32_f16_e32 v83, v167
	v_accvgpr_read_b32 v169, a0
	v_accvgpr_read_b32 v171, a1
	;; [unrolled: 1-line block ×4, first 2 shown]
	v_accvgpr_write_b32 a0, v46
	v_accvgpr_write_b32 a1, v47
	;; [unrolled: 1-line block ×4, first 2 shown]
	v_cvt_pk_f16_f32 v171, v169, v171
	v_cvt_pk_f16_f32 v169, v213, v214
	v_mfma_f32_16x16x16_f16 a[0:3], v[100:101], v[34:35], a[0:3]
	ds_read_u16 v46, v181 offset:224
	ds_read_u16 v47, v181 offset:752
	;; [unrolled: 1-line block ×4, first 2 shown]
	s_waitcnt lgkmcnt(0)
	v_perm_b32 v101, v100, v83, s82
	v_perm_b32 v100, v47, v46, s82
	v_cvt_f32_f16_e32 v46, v166
	v_cvt_f32_f16_sdwa v47, v166 dst_sel:DWORD dst_unused:UNUSED_PAD src0_sel:WORD_1
	v_cvt_f32_f16_e32 v83, v99
	v_cvt_f32_f16_sdwa v99, v99 dst_sel:DWORD dst_unused:UNUSED_PAD src0_sel:WORD_1
	v_accvgpr_read_b32 v167, a0
	v_accvgpr_read_b32 v168, a1
	;; [unrolled: 1-line block ×4, first 2 shown]
	v_accvgpr_write_b32 a0, v46
	v_accvgpr_write_b32 a1, v47
	;; [unrolled: 1-line block ×4, first 2 shown]
	ds_read_u16 v46, v181 offset:256
	ds_read_u16 v47, v181 offset:784
	;; [unrolled: 1-line block ×4, first 2 shown]
	v_mfma_f32_16x16x16_f16 a[0:3], v[100:101], v[34:35], a[0:3]
	v_cvt_pk_f16_f32 v168, v167, v168
	s_waitcnt lgkmcnt(2)
	v_perm_b32 v100, v47, v46, s82
	v_cvt_f32_f16_e32 v46, v97
	s_waitcnt lgkmcnt(0)
	v_perm_b32 v101, v99, v83, s82
	v_cvt_f32_f16_sdwa v47, v97 dst_sel:DWORD dst_unused:UNUSED_PAD src0_sel:WORD_1
	v_cvt_f32_f16_e32 v83, v96
	v_cvt_f32_f16_sdwa v96, v96 dst_sel:DWORD dst_unused:UNUSED_PAD src0_sel:WORD_1
	v_cvt_pk_f16_f32 v167, v215, v216
	v_accvgpr_read_b32 v165, a0
	v_accvgpr_read_b32 v166, a1
	v_accvgpr_read_b32 v217, a2
	v_accvgpr_read_b32 v218, a3
	v_accvgpr_write_b32 a0, v46
	v_accvgpr_write_b32 a1, v47
	v_accvgpr_write_b32 a2, v83
	v_accvgpr_write_b32 a3, v96
	ds_read_u16 v46, v181 offset:288
	ds_read_u16 v47, v181 offset:816
	ds_read_u16 v83, v181 offset:1344
	ds_read_u16 v96, v182 offset:288
	v_mfma_f32_16x16x16_f16 a[0:3], v[100:101], v[34:35], a[0:3]
	v_cvt_pk_f16_f32 v166, v165, v166
	v_cvt_pk_f16_f32 v165, v217, v218
	s_waitcnt lgkmcnt(0)
	v_perm_b32 v97, v96, v83, s82
	v_perm_b32 v96, v47, v46, s82
	v_cvt_f32_f16_e32 v46, v95
	v_cvt_f32_f16_sdwa v47, v95 dst_sel:DWORD dst_unused:UNUSED_PAD src0_sel:WORD_1
	v_cvt_f32_f16_e32 v83, v94
	v_cvt_f32_f16_sdwa v94, v94 dst_sel:DWORD dst_unused:UNUSED_PAD src0_sel:WORD_1
	v_accvgpr_read_b32 v163, a0
	v_accvgpr_read_b32 v164, a1
	v_accvgpr_read_b32 v219, a2
	v_accvgpr_read_b32 v220, a3
	v_accvgpr_write_b32 a0, v46
	v_accvgpr_write_b32 a1, v47
	v_accvgpr_write_b32 a2, v83
	v_accvgpr_write_b32 a3, v94
	ds_read_u16 v46, v181 offset:320
	ds_read_u16 v47, v181 offset:848
	ds_read_u16 v83, v181 offset:1376
	ds_read_u16 v94, v182 offset:320
	v_mfma_f32_16x16x16_f16 a[0:3], v[96:97], v[34:35], a[0:3]
	v_cvt_pk_f16_f32 v164, v163, v164
	v_cvt_pk_f16_f32 v163, v219, v220
	s_waitcnt lgkmcnt(0)
	v_perm_b32 v95, v94, v83, s82
	v_perm_b32 v94, v47, v46, s82
	v_cvt_f32_f16_e32 v46, v93
	v_cvt_f32_f16_sdwa v47, v93 dst_sel:DWORD dst_unused:UNUSED_PAD src0_sel:WORD_1
	v_cvt_f32_f16_e32 v83, v92
	v_cvt_f32_f16_sdwa v92, v92 dst_sel:DWORD dst_unused:UNUSED_PAD src0_sel:WORD_1
	;; [unrolled: 22-line block ×3, first 2 shown]
	v_accvgpr_read_b32 v159, a0
	v_accvgpr_read_b32 v160, a1
	;; [unrolled: 1-line block ×4, first 2 shown]
	v_accvgpr_write_b32 a0, v46
	v_accvgpr_write_b32 a1, v47
	;; [unrolled: 1-line block ×4, first 2 shown]
	v_cvt_pk_f16_f32 v160, v159, v160
	v_cvt_pk_f16_f32 v159, v227, v228
	v_mfma_f32_16x16x16_f16 a[0:3], v[92:93], v[34:35], a[0:3]
	ds_read_u16 v46, v181 offset:384
	ds_read_u16 v47, v181 offset:912
	;; [unrolled: 1-line block ×4, first 2 shown]
	s_waitcnt lgkmcnt(0)
	v_perm_b32 v93, v92, v83, s82
	v_perm_b32 v92, v47, v46, s82
	v_cvt_f32_f16_e32 v46, v89
	v_cvt_f32_f16_sdwa v47, v89 dst_sel:DWORD dst_unused:UNUSED_PAD src0_sel:WORD_1
	v_cvt_f32_f16_e32 v83, v88
	v_accvgpr_read_b32 v157, a0
	v_accvgpr_read_b32 v158, a1
	;; [unrolled: 1-line block ×3, first 2 shown]
	v_cvt_f32_f16_sdwa v88, v88 dst_sel:DWORD dst_unused:UNUSED_PAD src0_sel:WORD_1
	v_accvgpr_write_b32 a0, v46
	v_accvgpr_write_b32 a1, v47
	;; [unrolled: 1-line block ×3, first 2 shown]
	ds_read_u16 v46, v181 offset:416
	ds_read_u16 v47, v181 offset:944
	;; [unrolled: 1-line block ×4, first 2 shown]
	v_accvgpr_read_b32 v91, a3
	v_accvgpr_write_b32 a3, v88
	v_cvt_pk_f16_f32 v158, v157, v158
	v_cvt_pk_f16_f32 v157, v90, v91
	v_mfma_f32_16x16x16_f16 a[0:3], v[92:93], v[34:35], a[0:3]
	s_waitcnt lgkmcnt(0)
	v_perm_b32 v95, v94, v83, s82
	v_perm_b32 v94, v47, v46, s82
	v_cvt_f32_f16_e32 v46, v87
	v_cvt_f32_f16_sdwa v47, v87 dst_sel:DWORD dst_unused:UNUSED_PAD src0_sel:WORD_1
	v_cvt_f32_f16_e32 v83, v86
	v_cvt_f32_f16_sdwa v86, v86 dst_sel:DWORD dst_unused:UNUSED_PAD src0_sel:WORD_1
	s_nop 0
	v_accvgpr_read_b32 v88, a0
	v_accvgpr_read_b32 v89, a1
	;; [unrolled: 1-line block ×3, first 2 shown]
	v_accvgpr_write_b32 a0, v46
	v_accvgpr_write_b32 a1, v47
	v_accvgpr_write_b32 a2, v83
	ds_read_u16 v46, v181 offset:448
	ds_read_u16 v47, v181 offset:976
	;; [unrolled: 1-line block ×4, first 2 shown]
	v_accvgpr_read_b32 v93, a3
	v_accvgpr_write_b32 a3, v86
	v_cvt_pk_f16_f32 v89, v88, v89
	v_cvt_pk_f16_f32 v88, v92, v93
	v_mfma_f32_16x16x16_f16 a[0:3], v[94:95], v[34:35], a[0:3]
	s_waitcnt lgkmcnt(0)
	v_perm_b32 v97, v96, v83, s82
	v_perm_b32 v96, v47, v46, s82
	v_cvt_f32_f16_e32 v46, v85
	v_cvt_f32_f16_sdwa v47, v85 dst_sel:DWORD dst_unused:UNUSED_PAD src0_sel:WORD_1
	v_cvt_f32_f16_e32 v83, v84
	v_cvt_f32_f16_sdwa v84, v84 dst_sel:DWORD dst_unused:UNUSED_PAD src0_sel:WORD_1
	s_nop 0
	v_accvgpr_read_b32 v86, a0
	v_accvgpr_read_b32 v87, a1
	;; [unrolled: 1-line block ×3, first 2 shown]
	v_accvgpr_write_b32 a0, v46
	v_accvgpr_write_b32 a1, v47
	;; [unrolled: 1-line block ×3, first 2 shown]
	ds_read_u16 v46, v181 offset:480
	ds_read_u16 v47, v181 offset:1008
	;; [unrolled: 1-line block ×4, first 2 shown]
	v_accvgpr_read_b32 v95, a3
	v_accvgpr_write_b32 a3, v84
	s_waitcnt lgkmcnt(2)
	v_perm_b32 v100, v47, v46, s82
	v_cvt_f32_f16_e32 v46, v98
	v_mfma_f32_16x16x16_f16 a[0:3], v[96:97], v[34:35], a[0:3]
	s_waitcnt lgkmcnt(0)
	v_perm_b32 v101, v99, v83, s82
	v_cvt_f32_f16_sdwa v47, v98 dst_sel:DWORD dst_unused:UNUSED_PAD src0_sel:WORD_1
	v_cvt_f32_f16_e32 v83, v82
	v_cvt_f32_f16_sdwa v82, v82 dst_sel:DWORD dst_unused:UNUSED_PAD src0_sel:WORD_1
	v_cvt_pk_f16_f32 v87, v86, v87
	v_cvt_pk_f16_f32 v86, v94, v95
	s_barrier
	v_accvgpr_read_b32 v84, a0
	v_accvgpr_read_b32 v85, a1
	;; [unrolled: 1-line block ×4, first 2 shown]
	v_accvgpr_write_b32 a0, v46
	v_accvgpr_write_b32 a1, v47
	;; [unrolled: 1-line block ×4, first 2 shown]
	v_cvt_pk_f16_f32 v85, v84, v85
	v_cvt_pk_f16_f32 v84, v96, v97
	v_mfma_f32_16x16x16_f16 a[0:3], v[100:101], v[34:35], a[0:3]
	s_nop 7
	v_accvgpr_read_b32 v34, a0
	v_accvgpr_read_b32 v35, a1
	;; [unrolled: 1-line block ×4, first 2 shown]
	v_cvt_pk_f16_f32 v82, v34, v35
	v_cvt_pk_f16_f32 v83, v83, v98
	s_cbranch_vccz .LBB29_50
; %bb.47:                               ;   in Loop: Header=BB29_40 Depth=2
	v_mov_b32_e32 v90, v123
	v_mov_b32_e32 v91, v37
	s_branch .LBB29_40
.LBB29_48:                              ;   in Loop: Header=BB29_14 Depth=1
	s_cbranch_execz .LBB29_13
	s_branch .LBB29_147
.LBB29_49:                              ;   in Loop: Header=BB29_14 Depth=1
	v_mov_b32_e32 v37, 0xfeffffff
	v_mov_b32_e32 v123, 0
	;; [unrolled: 1-line block ×34, first 2 shown]
.LBB29_50:                              ;   in Loop: Header=BB29_14 Depth=1
	s_lshl_b32 s52, s42, 6
	v_readlane_b32 s34, v255, 4
	v_cmp_eq_u64_e32 vcc, 0, v[124:125]
	s_mov_b32 s94, s53
	s_sub_i32 s56, s34, s52
	v_cmp_ne_u64_e64 s[50:51], 0, v[124:125]
	s_ashr_i32 s53, s52, 31
	v_readlane_b32 s35, v255, 5
	s_cbranch_vccnz .LBB29_56
; %bb.51:                               ;   in Loop: Header=BB29_14 Depth=1
	v_cmp_le_i32_e32 vcc, s56, v40
	s_and_saveexec_b64 s[34:35], vcc
	s_xor_b64 s[34:35], exec, s[34:35]
	s_cbranch_execz .LBB29_53
; %bb.52:                               ;   in Loop: Header=BB29_14 Depth=1
	ds_write_b16 v203, v43 offset:33792
	ds_write_b16 v241, v43 offset:33792
                                        ; implicit-def: $vgpr151
                                        ; implicit-def: $vgpr152
                                        ; implicit-def: $vgpr153
.LBB29_53:                              ;   in Loop: Header=BB29_14 Depth=1
	s_or_saveexec_b64 s[34:35], s[34:35]
	v_mov_b32_e32 v1, 0
	v_mov_b32_e32 v34, 0
	s_xor_b64 exec, exec, s[34:35]
	s_cbranch_execz .LBB29_55
; %bb.54:                               ;   in Loop: Header=BB29_14 Depth=1
	v_mul_hi_u32 v1, s92, v194
	v_add_u32_e32 v1, v194, v1
	s_lshl_b64 s[36:37], s[52:53], 1
	v_lshrrev_b32_e32 v1, s93, v1
	v_mul_hi_u32 v36, s92, v151
	v_lshl_add_u64 v[34:35], v[124:125], 0, s[36:37]
	v_mul_lo_u32 v1, v1, s76
	v_readlane_b32 s36, v255, 45
	v_add_u32_e32 v36, v151, v36
	v_lshlrev_b32_e32 v42, 1, v40
	v_sub_u32_e32 v1, v194, v1
	v_readlane_b32 s37, v255, 46
	s_mov_b32 s38, s36
	v_lshrrev_b32_e32 v36, s93, v36
	v_lshl_add_u64 v[34:35], v[34:35], 0, v[42:43]
	v_mad_i64_i32 v[90:91], s[36:37], v1, s38, 0
	v_mul_lo_u32 v36, v36, s76
	v_lshl_add_u64 v[90:91], v[90:91], 1, v[34:35]
	v_sub_u32_e32 v36, v151, v36
	global_load_ushort v1, v[90:91], off
	v_mad_i64_i32 v[90:91], s[36:37], v36, s38, 0
	v_lshl_add_u64 v[90:91], v[90:91], 1, v[34:35]
	global_load_ushort v36, v[90:91], off
	s_waitcnt vmcnt(1)
	ds_write_b16 v203, v1 offset:33792
	s_waitcnt vmcnt(0)
	ds_write_b16 v241, v36 offset:33792
	v_mul_hi_u32 v1, s92, v152
	v_add_u32_e32 v1, v152, v1
	v_lshrrev_b32_e32 v1, s93, v1
	v_mul_hi_u32 v36, s92, v153
	v_mul_lo_u32 v1, v1, s76
	v_add_u32_e32 v36, v153, v36
	v_sub_u32_e32 v1, v152, v1
	v_lshrrev_b32_e32 v36, s93, v36
	v_mad_i64_i32 v[90:91], s[36:37], v1, s38, 0
	v_mul_lo_u32 v36, v36, s76
	v_lshl_add_u64 v[90:91], v[90:91], 1, v[34:35]
	v_sub_u32_e32 v36, v153, v36
	global_load_ushort v1, v[90:91], off
	v_mad_i64_i32 v[90:91], s[36:37], v36, s38, 0
	v_lshl_add_u64 v[34:35], v[90:91], 1, v[34:35]
	global_load_ushort v34, v[34:35], off
.LBB29_55:                              ;   in Loop: Header=BB29_14 Depth=1
	s_or_b64 exec, exec, s[34:35]
	s_waitcnt vmcnt(1)
	ds_write_b16 v242, v1 offset:33792
	s_waitcnt vmcnt(0)
	ds_write_b16 v243, v34 offset:33792
.LBB29_56:                              ;   in Loop: Header=BB29_14 Depth=1
	s_mul_hi_i32 s35, s52, s90
	s_mul_i32 s34, s52, s90
	s_lshl_b64 s[34:35], s[34:35], 2
	v_lshl_add_u64 v[34:35], v[126:127], 0, s[34:35]
	v_lshl_add_u64 v[90:91], v[48:49], 2, v[34:35]
	v_lshlrev_b32_e32 v42, 2, v44
	v_lshl_add_u64 v[90:91], v[90:91], 0, v[42:43]
	v_mov_b32_e32 v1, s87
	v_cmp_gt_i32_e64 s[34:35], s56, v176
	scratch_store_dwordx4 off, a[4:7], off
	v_lshl_add_u64 v[94:95], v[50:51], 2, v[34:35]
	v_cndmask_b32_e64 v91, v1, v91, s[34:35]
	v_cndmask_b32_e64 v90, v196, v90, s[34:35]
	flat_load_dwordx4 v[90:93], v[90:91]
	v_lshl_add_u64 v[94:95], v[94:95], 0, v[42:43]
	v_cmp_gt_i32_e64 s[36:37], s56, v244
	v_cmp_gt_i32_e64 s[38:39], s56, v246
	;; [unrolled: 1-line block ×3, first 2 shown]
	v_cndmask_b32_e64 v95, v1, v95, s[36:37]
	v_cndmask_b32_e64 v94, v196, v94, s[36:37]
	v_cmp_gt_i32_e64 s[42:43], s56, v250
	v_cmp_gt_i32_e64 s[44:45], s56, v252
	;; [unrolled: 1-line block ×4, first 2 shown]
	s_andn2_b64 vcc, exec, s[50:51]
	s_waitcnt vmcnt(0) lgkmcnt(0)
	ds_write_b128 v177, v[90:93]
	flat_load_dwordx4 v[90:93], v[94:95]
	v_lshl_add_u64 v[94:95], v[52:53], 2, v[34:35]
	v_lshl_add_u64 v[94:95], v[94:95], 0, v[42:43]
	v_cndmask_b32_e64 v95, v1, v95, s[38:39]
	v_cndmask_b32_e64 v94, v196, v94, s[38:39]
	s_waitcnt vmcnt(0) lgkmcnt(0)
	ds_write_b128 v245, v[90:93]
	flat_load_dwordx4 v[90:93], v[94:95]
	v_lshl_add_u64 v[94:95], v[54:55], 2, v[34:35]
	v_lshl_add_u64 v[94:95], v[94:95], 0, v[42:43]
	v_cndmask_b32_e64 v95, v1, v95, s[40:41]
	v_cndmask_b32_e64 v94, v196, v94, s[40:41]
	;; [unrolled: 7-line block ×5, first 2 shown]
	v_lshl_add_u64 v[34:35], v[62:63], 2, v[34:35]
	v_lshl_add_u64 v[34:35], v[34:35], 0, v[42:43]
	v_cndmask_b32_e64 v35, v1, v35, s[48:49]
	v_cndmask_b32_e64 v34, v196, v34, s[48:49]
	s_waitcnt vmcnt(0) lgkmcnt(0)
	ds_write_b128 v253, v[90:93]
	flat_load_dwordx4 v[90:93], v[94:95]
	s_waitcnt vmcnt(0) lgkmcnt(0)
	ds_write_b128 v237, v[90:93]
	flat_load_dwordx4 v[90:93], v[34:35]
	s_waitcnt vmcnt(0) lgkmcnt(0)
	ds_write_b128 v235, v[90:93]
	s_waitcnt lgkmcnt(0)
	s_barrier
	ds_read2_b64 v[90:93], v178 offset1:4
	s_waitcnt lgkmcnt(0)
	v_mfma_f32_16x16x16_f16 a[0:3], v[90:91], v[30:31], 0
	v_mfma_f32_16x16x16_f16 a[0:3], v[92:93], v[32:33], a[0:3]
	ds_read2_b64 v[30:33], v178 offset0:8 offset1:12
	s_waitcnt lgkmcnt(0)
	v_mfma_f32_16x16x16_f16 a[0:3], v[30:31], v[26:27], a[0:3]
	v_mfma_f32_16x16x16_f16 a[0:3], v[32:33], v[28:29], a[0:3]
	ds_read2_b64 v[26:29], v178 offset0:16 offset1:20
	;; [unrolled: 4-line block ×7, first 2 shown]
	s_waitcnt lgkmcnt(0)
	s_barrier
	v_mfma_f32_16x16x16_f16 a[0:3], v[6:7], v[2:3], a[0:3]
	v_mfma_f32_16x16x16_f16 a[0:3], v[8:9], v[4:5], a[0:3]
	s_cbranch_vccnz .LBB29_58
; %bb.57:                               ;   in Loop: Header=BB29_14 Depth=1
	v_add_u32_e32 v1, 0x8400, v180
	ds_read2_b32 v[6:7], v1 offset1:1
	s_nop 4
	v_accvgpr_read_b32 v5, a3
	v_accvgpr_read_b32 v3, a1
	;; [unrolled: 1-line block ×4, first 2 shown]
	s_waitcnt lgkmcnt(0)
	v_cvt_f32_f16_e32 v8, v6
	v_cvt_f32_f16_sdwa v9, v6 dst_sel:DWORD dst_unused:UNUSED_PAD src0_sel:WORD_1
	v_cvt_f32_f16_e32 v10, v7
	v_cvt_f32_f16_sdwa v11, v7 dst_sel:DWORD dst_unused:UNUSED_PAD src0_sel:WORD_1
	v_pk_fma_f32 v[2:3], v[122:123], v[8:9], v[2:3] op_sel_hi:[0,1,1]
	v_pk_fma_f32 v[4:5], v[122:123], v[10:11], v[4:5] op_sel_hi:[0,1,1]
	v_accvgpr_write_b32 a0, v2
	v_accvgpr_write_b32 a1, v3
	;; [unrolled: 1-line block ×4, first 2 shown]
.LBB29_58:                              ;   in Loop: Header=BB29_14 Depth=1
	s_nop 6
	v_accvgpr_read_b32 v13, a3
	v_accvgpr_read_b32 v10, a0
	v_add_f32_e32 v1, 0x40051340, v10
	v_max_f32_e32 v2, v37, v37
	v_cmp_gt_u32_e32 vcc, s56, v179
	v_max_f32_e32 v1, v2, v1
	v_accvgpr_read_b32 v11, a1
	v_cndmask_b32_e32 v1, v37, v1, vcc
	v_add_f32_e32 v2, 0x40051340, v11
	v_max_f32_e32 v3, v1, v1
	v_cmp_gt_u32_e64 s[50:51], s56, v234
	v_max_f32_e32 v2, v3, v2
	v_accvgpr_read_b32 v12, a2
	v_cndmask_b32_e64 v1, v1, v2, s[50:51]
	v_add_f32_e32 v2, 0x40051340, v12
	v_max_f32_e32 v3, v1, v1
	v_cmp_gt_u32_e64 s[54:55], s56, v233
	v_max_f32_e32 v2, v3, v2
	v_cmp_gt_u32_e64 s[56:57], s56, v232
	v_cndmask_b32_e64 v1, v1, v2, s[54:55]
	v_add_f32_e32 v2, 0x40051340, v13
	v_max_f32_e32 v3, v1, v1
	v_max_f32_e32 v2, v3, v2
	v_cndmask_b32_e64 v1, v1, v2, s[56:57]
	v_and_b32_e32 v2, 64, v239
	v_add_u32_e32 v2, 64, v2
	v_xor_b32_e32 v3, 32, v239
	v_cmp_lt_i32_e64 s[58:59], v3, v2
	v_mov_b32_e32 v27, s87
	scratch_store_dwordx4 off, a[4:7], off
	v_cndmask_b32_e64 v3, v239, v3, s[58:59]
	v_lshlrev_b32_e32 v5, 2, v3
	ds_bpermute_b32 v3, v5, v1
	v_max_f32_e32 v1, v1, v1
	s_waitcnt lgkmcnt(0)
	v_max_f32_e32 v3, v3, v3
	v_max_f32_e32 v1, v1, v3
	v_xor_b32_e32 v3, 16, v239
	v_cmp_lt_i32_e64 s[58:59], v3, v2
	s_nop 1
	v_cndmask_b32_e64 v2, v239, v3, s[58:59]
	v_lshlrev_b32_e32 v8, 2, v2
	ds_bpermute_b32 v2, v8, v1
	s_waitcnt lgkmcnt(0)
	v_max_f32_e32 v2, v2, v2
	v_max_f32_e32 v6, v1, v2
	v_sub_f32_e32 v1, v10, v6
	v_mul_f32_e32 v2, 0x3fb8aa3b, v1
	v_fma_f32 v3, v1, s3, -v2
	v_rndne_f32_e32 v4, v2
	v_fmac_f32_e32 v3, 0x32a5705f, v1
	v_sub_f32_e32 v2, v2, v4
	v_add_f32_e32 v2, v2, v3
	v_exp_f32_e32 v2, v2
	v_cvt_i32_f32_e32 v3, v4
	v_cmp_ngt_f32_e64 s[58:59], s4, v1
	v_ldexp_f32 v2, v2, v3
	s_nop 0
	v_cndmask_b32_e64 v2, 0, v2, s[58:59]
	v_cmp_nlt_f32_e64 s[58:59], s77, v1
	s_nop 1
	v_cndmask_b32_e64 v1, v197, v2, s[58:59]
	v_cndmask_b32_e32 v2, 0, v1, vcc
	v_sub_f32_e32 v1, v11, v6
	v_mul_f32_e32 v3, 0x3fb8aa3b, v1
	v_fma_f32 v4, v1, s3, -v3
	v_rndne_f32_e32 v7, v3
	v_fmac_f32_e32 v4, 0x32a5705f, v1
	v_sub_f32_e32 v3, v3, v7
	v_add_f32_e32 v3, v3, v4
	v_exp_f32_e32 v3, v3
	v_cvt_i32_f32_e32 v4, v7
	v_cmp_ngt_f32_e32 vcc, s4, v1
	v_ldexp_f32 v3, v3, v4
	s_nop 0
	v_cndmask_b32_e32 v3, 0, v3, vcc
	v_cmp_nlt_f32_e32 vcc, s77, v1
	v_mov_b32_e32 v1, s85
	s_nop 0
	v_cndmask_b32_e32 v3, v197, v3, vcc
	v_add_f32_e32 v4, v3, v2
	v_cndmask_b32_e64 v1, v1, v3, s[50:51]
	v_cndmask_b32_e64 v3, v2, v4, s[50:51]
	v_sub_f32_e32 v4, v12, v6
	v_mul_f32_e32 v7, 0x3fb8aa3b, v4
	v_fma_f32 v9, v4, s3, -v7
	v_rndne_f32_e32 v10, v7
	v_fmac_f32_e32 v9, 0x32a5705f, v4
	v_sub_f32_e32 v7, v7, v10
	v_add_f32_e32 v7, v7, v9
	v_exp_f32_e32 v7, v7
	v_cvt_i32_f32_e32 v9, v10
	v_cmp_ngt_f32_e32 vcc, s4, v4
	s_mul_hi_i32 s51, s52, s78
	s_mul_i32 s50, s52, s78
	v_ldexp_f32 v7, v7, v9
	v_cndmask_b32_e32 v7, 0, v7, vcc
	v_cmp_nlt_f32_e32 vcc, s77, v4
	v_mov_b32_e32 v4, s85
	s_lshl_b64 s[50:51], s[50:51], 2
	v_cndmask_b32_e32 v7, v197, v7, vcc
	v_add_f32_e32 v9, v3, v7
	v_cndmask_b32_e64 v4, v4, v7, s[54:55]
	v_cndmask_b32_e64 v7, v3, v9, s[54:55]
	v_sub_f32_e32 v3, v13, v6
	v_mul_f32_e32 v9, 0x3fb8aa3b, v3
	v_fma_f32 v10, v3, s3, -v9
	v_rndne_f32_e32 v11, v9
	v_fmac_f32_e32 v10, 0x32a5705f, v3
	v_sub_f32_e32 v9, v9, v11
	v_add_f32_e32 v9, v9, v10
	v_exp_f32_e32 v9, v9
	v_cvt_i32_f32_e32 v10, v11
	v_cmp_ngt_f32_e32 vcc, s4, v3
	v_lshl_add_u64 v[30:31], v[120:121], 0, s[50:51]
	v_lshl_add_u64 v[34:35], v[64:65], 2, v[30:31]
	v_ldexp_f32 v9, v9, v10
	v_cndmask_b32_e32 v9, 0, v9, vcc
	v_cmp_nlt_f32_e32 vcc, s77, v3
	v_mov_b32_e32 v3, s85
	v_lshl_add_u64 v[34:35], v[34:35], 0, v[42:43]
	v_cndmask_b32_e32 v9, v197, v9, vcc
	v_add_f32_e32 v10, v7, v9
	v_cndmask_b32_e64 v3, v3, v9, s[56:57]
	v_sub_f32_e32 v9, v37, v6
	v_cndmask_b32_e64 v7, v7, v10, s[56:57]
	v_mul_f32_e32 v10, 0x3fb8aa3b, v9
	v_fma_f32 v11, v9, s3, -v10
	v_rndne_f32_e32 v12, v10
	v_fmac_f32_e32 v11, 0x32a5705f, v9
	v_sub_f32_e32 v10, v10, v12
	v_add_f32_e32 v10, v10, v11
	v_exp_f32_e32 v10, v10
	v_cvt_i32_f32_e32 v11, v12
	v_cmp_ngt_f32_e32 vcc, s4, v9
	v_cndmask_b32_e64 v35, v27, v35, s[34:35]
	v_cndmask_b32_e64 v34, v196, v34, s[34:35]
	v_ldexp_f32 v10, v10, v11
	v_cndmask_b32_e32 v10, 0, v10, vcc
	v_cmp_nlt_f32_e32 vcc, s77, v9
	v_cvt_pk_f16_f32 v3, v4, v3
	v_cvt_pk_f16_f32 v2, v2, v1
	v_cndmask_b32_e32 v10, v197, v10, vcc
	v_cmp_le_f32_e32 vcc, s5, v9
	s_nop 1
	v_cndmask_b32_e32 v9, 0, v10, vcc
	v_fmac_f32_e32 v7, v123, v9
	v_cvt_f16_f32_e32 v9, v9
	v_cmp_ne_u64_e32 vcc, 0, v[118:119]
	v_mul_u32_u24_e32 v23, 0x10001, v9
	v_pk_mul_f16 v26, v192, v23
	v_pk_mul_f16 v24, v191, v23
	;; [unrolled: 1-line block ×32, first 2 shown]
	v_lshl_add_u64 v[82:83], v[66:67], 2, v[30:31]
	v_lshl_add_u64 v[82:83], v[82:83], 0, v[42:43]
	v_cndmask_b32_e64 v87, v27, v83, s[36:37]
	v_cndmask_b32_e64 v86, v196, v82, s[36:37]
	v_lshl_add_u64 v[82:83], v[68:69], 2, v[30:31]
	v_lshl_add_u64 v[82:83], v[82:83], 0, v[42:43]
	v_cndmask_b32_e64 v89, v27, v83, s[38:39]
	v_cndmask_b32_e64 v88, v196, v82, s[38:39]
	;; [unrolled: 4-line block ×6, first 2 shown]
	flat_load_dwordx4 v[82:85], v[34:35]
	v_lshl_add_u64 v[30:31], v[78:79], 2, v[30:31]
	v_lshl_add_u64 v[30:31], v[30:31], 0, v[42:43]
	v_cndmask_b32_e64 v31, v27, v31, s[48:49]
	v_cndmask_b32_e64 v30, v196, v30, s[48:49]
	v_readlane_b32 s40, v255, 30
	v_readlane_b32 s41, v255, 31
	s_and_b64 s[34:35], s[40:41], vcc
	s_waitcnt vmcnt(0) lgkmcnt(0)
	ds_write_b128 v177, v[82:85]
	flat_load_dwordx4 v[82:85], v[86:87]
	s_waitcnt vmcnt(0) lgkmcnt(0)
	ds_write_b128 v245, v[82:85]
	flat_load_dwordx4 v[82:85], v[88:89]
	;; [unrolled: 3-line block ×7, first 2 shown]
	s_waitcnt vmcnt(0) lgkmcnt(0)
	ds_write_b128 v235, v[82:85]
	s_waitcnt lgkmcnt(0)
	s_barrier
	ds_read_u16 v1, v181 offset:528
	ds_read_u16 v4, v181 offset:1056
	ds_read_u16 v27, v182
	ds_read_u16 v32, v182 offset:32
	s_waitcnt lgkmcnt(1)
	v_perm_b32 v31, v27, v4, s82
	ds_read_u16 v4, v181
	ds_read_u16 v34, v181 offset:32
	s_waitcnt lgkmcnt(1)
	v_perm_b32 v30, v1, v4, s82
	v_cvt_f32_f16_e32 v1, v26
	v_cvt_f32_f16_sdwa v4, v26 dst_sel:DWORD dst_unused:UNUSED_PAD src0_sel:WORD_1
	v_cvt_f32_f16_e32 v26, v24
	v_cvt_f32_f16_sdwa v24, v24 dst_sel:DWORD dst_unused:UNUSED_PAD src0_sel:WORD_1
	v_accvgpr_write_b32 a0, v1
	v_accvgpr_write_b32 a1, v4
	;; [unrolled: 1-line block ×4, first 2 shown]
	s_nop 1
	v_mfma_f32_16x16x16_f16 a[0:3], v[30:31], v[2:3], a[0:3]
	s_nop 7
	v_accvgpr_read_b32 v1, a2
	v_accvgpr_read_b32 v26, a3
	v_cvt_f16_f32_e32 v1, v1
	v_cvt_f16_f32_e32 v26, v26
	v_accvgpr_read_b32 v4, a0
	v_accvgpr_read_b32 v24, a1
	v_cvt_f16_f32_e32 v27, v4
	v_perm_b32 v1, v26, v1, s82
	ds_read_u16 v26, v181 offset:560
	ds_read_u16 v30, v181 offset:1088
	v_cvt_f16_f32_e32 v28, v24
	s_waitcnt lgkmcnt(0)
	v_perm_b32 v31, v32, v30, s82
	v_perm_b32 v30, v26, v34, s82
	v_cvt_f32_f16_e32 v26, v25
	v_cvt_f32_f16_sdwa v25, v25 dst_sel:DWORD dst_unused:UNUSED_PAD src0_sel:WORD_1
	v_cvt_f32_f16_e32 v32, v9
	v_cvt_f32_f16_sdwa v9, v9 dst_sel:DWORD dst_unused:UNUSED_PAD src0_sel:WORD_1
	v_accvgpr_write_b32 a0, v26
	v_accvgpr_write_b32 a1, v25
	v_accvgpr_write_b32 a2, v32
	v_accvgpr_write_b32 a3, v9
	v_perm_b32 v27, v28, v27, s82
	s_nop 0
	v_mfma_f32_16x16x16_f16 a[0:3], v[30:31], v[2:3], a[0:3]
	s_nop 7
	v_accvgpr_read_b32 v9, a2
	v_accvgpr_read_b32 v30, a3
	v_cvt_f16_f32_e32 v9, v9
	v_cvt_f16_f32_e32 v30, v30
	v_accvgpr_read_b32 v25, a0
	v_accvgpr_read_b32 v26, a1
	v_cvt_f16_f32_e32 v31, v25
	v_perm_b32 v9, v30, v9, s82
	ds_read_u16 v30, v181 offset:64
	ds_read_u16 v34, v181 offset:592
	ds_read_u16 v35, v181 offset:1120
	ds_read_u16 v37, v182 offset:64
	v_cvt_f16_f32_e32 v32, v26
	s_waitcnt lgkmcnt(2)
	v_perm_b32 v34, v34, v30, s82
	v_cvt_f32_f16_e32 v30, v29
	s_waitcnt lgkmcnt(0)
	v_perm_b32 v35, v37, v35, s82
	v_cvt_f32_f16_sdwa v29, v29 dst_sel:DWORD dst_unused:UNUSED_PAD src0_sel:WORD_1
	v_cvt_f32_f16_e32 v37, v10
	v_cvt_f32_f16_sdwa v10, v10 dst_sel:DWORD dst_unused:UNUSED_PAD src0_sel:WORD_1
	v_accvgpr_write_b32 a0, v30
	v_accvgpr_write_b32 a1, v29
	v_accvgpr_write_b32 a2, v37
	v_accvgpr_write_b32 a3, v10
	v_perm_b32 v31, v32, v31, s82
	s_nop 0
	v_mfma_f32_16x16x16_f16 a[0:3], v[34:35], v[2:3], a[0:3]
	s_nop 7
	v_accvgpr_read_b32 v10, a2
	v_accvgpr_read_b32 v34, a3
	v_cvt_f16_f32_e32 v10, v10
	v_cvt_f16_f32_e32 v34, v34
	v_accvgpr_read_b32 v29, a0
	v_accvgpr_read_b32 v30, a1
	v_cvt_f16_f32_e32 v35, v29
	v_perm_b32 v10, v34, v10, s82
	ds_read_u16 v34, v181 offset:96
	ds_read_u16 v42, v181 offset:624
	ds_read_u16 v46, v181 offset:1152
	ds_read_u16 v47, v182 offset:96
	v_cvt_f16_f32_e32 v37, v30
	s_waitcnt lgkmcnt(2)
	v_perm_b32 v82, v42, v34, s82
	v_cvt_f32_f16_e32 v34, v33
	s_waitcnt lgkmcnt(0)
	v_perm_b32 v83, v47, v46, s82
	;; [unrolled: 29-line block ×4, first 2 shown]
	v_cvt_f32_f16_sdwa v47, v123 dst_sel:DWORD dst_unused:UNUSED_PAD src0_sel:WORD_1
	v_cvt_f32_f16_e32 v82, v13
	v_cvt_f32_f16_sdwa v13, v13 dst_sel:DWORD dst_unused:UNUSED_PAD src0_sel:WORD_1
	v_accvgpr_write_b32 a0, v46
	v_accvgpr_write_b32 a1, v47
	;; [unrolled: 1-line block ×4, first 2 shown]
	v_perm_b32 v88, v89, v88, s82
	s_nop 0
	v_mfma_f32_16x16x16_f16 a[0:3], v[86:87], v[2:3], a[0:3]
	s_nop 7
	v_accvgpr_read_b32 v13, a2
	v_accvgpr_read_b32 v46, a3
	v_cvt_f16_f32_e32 v13, v13
	v_cvt_f16_f32_e32 v46, v46
	v_accvgpr_read_b32 v82, a0
	v_accvgpr_read_b32 v84, a1
	v_cvt_f16_f32_e32 v139, v82
	v_perm_b32 v13, v46, v13, s82
	ds_read_u16 v46, v181 offset:192
	ds_read_u16 v47, v181 offset:720
	;; [unrolled: 1-line block ×4, first 2 shown]
	v_cvt_f16_f32_e32 v140, v84
	s_waitcnt lgkmcnt(0)
	v_perm_b32 v87, v87, v86, s82
	v_perm_b32 v86, v47, v46, s82
	v_cvt_f32_f16_e32 v46, v99
	v_cvt_f32_f16_sdwa v47, v99 dst_sel:DWORD dst_unused:UNUSED_PAD src0_sel:WORD_1
	v_cvt_f32_f16_e32 v99, v14
	v_cvt_f32_f16_sdwa v14, v14 dst_sel:DWORD dst_unused:UNUSED_PAD src0_sel:WORD_1
	v_accvgpr_write_b32 a0, v46
	v_accvgpr_write_b32 a1, v47
	;; [unrolled: 1-line block ×4, first 2 shown]
	s_nop 1
	v_mfma_f32_16x16x16_f16 a[0:3], v[86:87], v[2:3], a[0:3]
	s_nop 7
	v_accvgpr_read_b32 v14, a2
	v_accvgpr_read_b32 v46, a3
	v_cvt_f16_f32_e32 v14, v14
	v_cvt_f16_f32_e32 v46, v46
	v_accvgpr_read_b32 v86, a0
	v_accvgpr_read_b32 v87, a1
	v_cvt_f16_f32_e32 v143, v86
	v_perm_b32 v14, v46, v14, s82
	ds_read_u16 v46, v181 offset:224
	ds_read_u16 v47, v181 offset:752
	;; [unrolled: 1-line block ×4, first 2 shown]
	v_cvt_f16_f32_e32 v144, v87
	s_waitcnt lgkmcnt(0)
	v_perm_b32 v101, v100, v99, s82
	v_perm_b32 v100, v47, v46, s82
	v_cvt_f32_f16_e32 v46, v98
	v_cvt_f32_f16_sdwa v47, v98 dst_sel:DWORD dst_unused:UNUSED_PAD src0_sel:WORD_1
	v_cvt_f32_f16_e32 v98, v15
	v_cvt_f32_f16_sdwa v15, v15 dst_sel:DWORD dst_unused:UNUSED_PAD src0_sel:WORD_1
	v_accvgpr_write_b32 a0, v46
	v_accvgpr_write_b32 a1, v47
	;; [unrolled: 1-line block ×4, first 2 shown]
	s_nop 1
	v_mfma_f32_16x16x16_f16 a[0:3], v[100:101], v[2:3], a[0:3]
	v_perm_b32 v100, v140, v139, s82
	s_nop 6
	v_accvgpr_read_b32 v15, a2
	v_accvgpr_read_b32 v46, a3
	v_cvt_f16_f32_e32 v15, v15
	v_cvt_f16_f32_e32 v46, v46
	v_accvgpr_read_b32 v123, a0
	v_accvgpr_read_b32 v138, a1
	v_cvt_f16_f32_e32 v147, v123
	v_perm_b32 v15, v46, v15, s82
	ds_read_u16 v46, v181 offset:256
	ds_read_u16 v47, v181 offset:784
	ds_read_u16 v98, v181 offset:1312
	ds_read_u16 v99, v182 offset:256
	v_cvt_f16_f32_e32 v148, v138
	s_waitcnt lgkmcnt(0)
	v_perm_b32 v99, v99, v98, s82
	v_perm_b32 v98, v47, v46, s82
	v_cvt_f32_f16_e32 v46, v97
	v_cvt_f32_f16_sdwa v47, v97 dst_sel:DWORD dst_unused:UNUSED_PAD src0_sel:WORD_1
	v_cvt_f32_f16_e32 v97, v16
	v_cvt_f32_f16_sdwa v16, v16 dst_sel:DWORD dst_unused:UNUSED_PAD src0_sel:WORD_1
	v_accvgpr_write_b32 a0, v46
	v_accvgpr_write_b32 a1, v47
	v_accvgpr_write_b32 a2, v97
	v_accvgpr_write_b32 a3, v16
	s_nop 1
	v_mfma_f32_16x16x16_f16 a[0:3], v[98:99], v[2:3], a[0:3]
	s_nop 7
	v_accvgpr_read_b32 v16, a2
	v_accvgpr_read_b32 v46, a3
	v_cvt_f16_f32_e32 v16, v16
	v_cvt_f16_f32_e32 v46, v46
	v_accvgpr_read_b32 v141, a0
	v_accvgpr_read_b32 v142, a1
	v_cvt_f16_f32_e32 v152, v141
	v_perm_b32 v16, v46, v16, s82
	ds_read_u16 v46, v181 offset:288
	ds_read_u16 v47, v181 offset:816
	ds_read_u16 v97, v181 offset:1344
	ds_read_u16 v98, v182 offset:288
	v_cvt_f16_f32_e32 v153, v142
	s_waitcnt lgkmcnt(0)
	v_perm_b32 v99, v98, v97, s82
	v_perm_b32 v98, v47, v46, s82
	v_cvt_f32_f16_e32 v46, v96
	v_cvt_f32_f16_sdwa v47, v96 dst_sel:DWORD dst_unused:UNUSED_PAD src0_sel:WORD_1
	v_cvt_f32_f16_e32 v96, v17
	v_cvt_f32_f16_sdwa v17, v17 dst_sel:DWORD dst_unused:UNUSED_PAD src0_sel:WORD_1
	v_accvgpr_write_b32 a0, v46
	v_accvgpr_write_b32 a1, v47
	v_accvgpr_write_b32 a2, v96
	v_accvgpr_write_b32 a3, v17
	s_nop 1
	v_mfma_f32_16x16x16_f16 a[0:3], v[98:99], v[2:3], a[0:3]
	v_perm_b32 v98, v148, v147, s82
	v_perm_b32 v99, v144, v143, s82
	s_nop 5
	v_accvgpr_read_b32 v17, a2
	v_accvgpr_read_b32 v46, a3
	v_cvt_f16_f32_e32 v17, v17
	v_cvt_f16_f32_e32 v46, v46
	v_accvgpr_read_b32 v145, a0
	v_accvgpr_read_b32 v146, a1
	v_cvt_f16_f32_e32 v156, v145
	v_perm_b32 v17, v46, v17, s82
	ds_read_u16 v46, v181 offset:320
	ds_read_u16 v47, v181 offset:848
	ds_read_u16 v96, v181 offset:1376
	ds_read_u16 v97, v182 offset:320
	v_cvt_f16_f32_e32 v157, v146
	s_waitcnt lgkmcnt(0)
	v_perm_b32 v97, v97, v96, s82
	v_perm_b32 v96, v47, v46, s82
	v_cvt_f32_f16_e32 v46, v95
	v_cvt_f32_f16_sdwa v47, v95 dst_sel:DWORD dst_unused:UNUSED_PAD src0_sel:WORD_1
	v_cvt_f32_f16_e32 v95, v18
	v_cvt_f32_f16_sdwa v18, v18 dst_sel:DWORD dst_unused:UNUSED_PAD src0_sel:WORD_1
	v_accvgpr_write_b32 a0, v46
	v_accvgpr_write_b32 a1, v47
	v_accvgpr_write_b32 a2, v95
	v_accvgpr_write_b32 a3, v18
	s_nop 1
	v_mfma_f32_16x16x16_f16 a[0:3], v[96:97], v[2:3], a[0:3]
	s_nop 7
	v_accvgpr_read_b32 v18, a2
	v_accvgpr_read_b32 v46, a3
	v_cvt_f16_f32_e32 v18, v18
	v_cvt_f16_f32_e32 v46, v46
	v_accvgpr_read_b32 v149, a0
	v_accvgpr_read_b32 v151, a1
	v_cvt_f16_f32_e32 v160, v149
	v_perm_b32 v18, v46, v18, s82
	ds_read_u16 v46, v181 offset:352
	ds_read_u16 v47, v181 offset:880
	ds_read_u16 v95, v181 offset:1408
	ds_read_u16 v96, v182 offset:352
	v_cvt_f16_f32_e32 v161, v151
	s_waitcnt lgkmcnt(0)
	v_perm_b32 v97, v96, v95, s82
	v_perm_b32 v96, v47, v46, s82
	v_cvt_f32_f16_e32 v46, v94
	v_cvt_f32_f16_sdwa v47, v94 dst_sel:DWORD dst_unused:UNUSED_PAD src0_sel:WORD_1
	v_cvt_f32_f16_e32 v94, v19
	v_cvt_f32_f16_sdwa v19, v19 dst_sel:DWORD dst_unused:UNUSED_PAD src0_sel:WORD_1
	v_accvgpr_write_b32 a0, v46
	v_accvgpr_write_b32 a1, v47
	v_accvgpr_write_b32 a2, v94
	v_accvgpr_write_b32 a3, v19
	s_nop 1
	v_mfma_f32_16x16x16_f16 a[0:3], v[96:97], v[2:3], a[0:3]
	v_perm_b32 v96, v157, v156, s82
	;; [unrolled: 56-line block ×3, first 2 shown]
	v_perm_b32 v95, v161, v160, s82
	s_nop 5
	v_accvgpr_read_b32 v21, a2
	v_accvgpr_read_b32 v46, a3
	v_cvt_f16_f32_e32 v21, v21
	v_cvt_f16_f32_e32 v46, v46
	v_accvgpr_read_b32 v162, a0
	v_accvgpr_read_b32 v163, a1
	v_cvt_f16_f32_e32 v171, v162
	v_perm_b32 v21, v46, v21, s82
	ds_read_u16 v46, v181 offset:448
	ds_read_u16 v47, v181 offset:976
	;; [unrolled: 1-line block ×4, first 2 shown]
	v_cvt_f16_f32_e32 v172, v163
	s_waitcnt lgkmcnt(0)
	v_perm_b32 v93, v93, v92, s82
	v_perm_b32 v92, v47, v46, s82
	v_cvt_f32_f16_e32 v46, v91
	v_cvt_f32_f16_sdwa v47, v91 dst_sel:DWORD dst_unused:UNUSED_PAD src0_sel:WORD_1
	v_cvt_f32_f16_e32 v91, v22
	v_cvt_f32_f16_sdwa v22, v22 dst_sel:DWORD dst_unused:UNUSED_PAD src0_sel:WORD_1
	v_accvgpr_write_b32 a0, v46
	v_accvgpr_write_b32 a1, v47
	;; [unrolled: 1-line block ×4, first 2 shown]
	s_nop 1
	v_mfma_f32_16x16x16_f16 a[0:3], v[92:93], v[2:3], a[0:3]
	s_nop 7
	v_accvgpr_read_b32 v22, a2
	v_accvgpr_read_b32 v46, a3
	v_cvt_f16_f32_e32 v22, v22
	v_cvt_f16_f32_e32 v46, v46
	v_accvgpr_read_b32 v166, a0
	v_accvgpr_read_b32 v167, a1
	v_cvt_f16_f32_e32 v174, v166
	v_perm_b32 v22, v46, v22, s82
	ds_read_u16 v46, v181 offset:480
	ds_read_u16 v47, v181 offset:1008
	;; [unrolled: 1-line block ×4, first 2 shown]
	v_cvt_f16_f32_e32 v185, v167
	s_waitcnt lgkmcnt(0)
	s_barrier
	v_perm_b32 v93, v92, v91, s82
	v_perm_b32 v92, v47, v46, s82
	v_cvt_f32_f16_e32 v46, v90
	v_cvt_f32_f16_sdwa v47, v90 dst_sel:DWORD dst_unused:UNUSED_PAD src0_sel:WORD_1
	v_cvt_f32_f16_e32 v90, v23
	v_cvt_f32_f16_sdwa v23, v23 dst_sel:DWORD dst_unused:UNUSED_PAD src0_sel:WORD_1
	v_accvgpr_write_b32 a0, v46
	v_accvgpr_write_b32 a1, v47
	;; [unrolled: 1-line block ×4, first 2 shown]
	v_perm_b32 v91, v185, v174, s82
	s_nop 0
	v_mfma_f32_16x16x16_f16 a[0:3], v[92:93], v[2:3], a[0:3]
	v_perm_b32 v92, v172, v171, s82
	v_perm_b32 v93, v169, v168, s82
	s_nop 5
	v_accvgpr_read_b32 v23, a2
	v_accvgpr_read_b32 v46, a3
	v_cvt_f16_f32_e32 v23, v23
	v_cvt_f16_f32_e32 v46, v46
	v_accvgpr_read_b32 v2, a0
	v_accvgpr_read_b32 v3, a1
	v_cvt_f16_f32_e32 v186, v2
	v_perm_b32 v23, v46, v23, s82
	ds_bpermute_b32 v46, v5, v7
	v_cvt_f16_f32_e32 v187, v3
	s_waitcnt lgkmcnt(0)
	v_add_f32_e32 v7, v7, v46
	ds_bpermute_b32 v46, v8, v7
	v_perm_b32 v90, v187, v186, s82
	s_waitcnt lgkmcnt(0)
	v_add_f32_e32 v7, v7, v46
	s_and_saveexec_b64 s[36:37], s[34:35]
	s_mov_b32 s53, s94
	s_cbranch_execz .LBB29_60
; %bb.59:                               ;   in Loop: Header=BB29_14 Depth=1
	global_load_dword v27, v[118:119], off
	v_cvt_pk_f16_f32 v3, v2, v3
	v_max_f32_e32 v31, v6, v6
	v_cvt_pk_f16_f32 v4, v4, v24
	v_cvt_pk_f16_f32 v24, v25, v26
	;; [unrolled: 1-line block ×15, first 2 shown]
	s_waitcnt vmcnt(0)
	v_max_f32_e32 v2, v27, v27
	v_max_f32_e32 v2, v31, v2
	v_sub_f32_e32 v6, v6, v2
	v_mul_f32_e32 v31, 0x3fb8aa3b, v6
	v_fma_f32 v35, v6, s3, -v31
	v_rndne_f32_e32 v82, v31
	v_fmac_f32_e32 v35, 0x32a5705f, v6
	v_sub_f32_e32 v31, v31, v82
	v_add_f32_e32 v31, v31, v35
	v_exp_f32_e32 v31, v31
	v_cvt_i32_f32_e32 v35, v82
	v_cmp_ngt_f32_e32 vcc, s4, v6
	v_sub_f32_e32 v82, v27, v2
	v_ldexp_f32 v31, v31, v35
	v_cndmask_b32_e32 v31, 0, v31, vcc
	v_cmp_nlt_f32_e32 vcc, s77, v6
	s_nop 1
	v_cndmask_b32_e32 v31, v197, v31, vcc
	v_cmp_le_f32_e32 vcc, s5, v6
	s_nop 1
	v_cndmask_b32_e32 v6, 0, v31, vcc
	v_cvt_f16_f32_e32 v27, v6
	v_cmp_ngt_f32_e32 vcc, s4, v82
	v_mul_u32_u24_e32 v84, 0x10001, v27
	v_pk_mul_f16 v90, v3, v84
	v_mul_f32_e32 v3, 0x3fb8aa3b, v82
	v_pk_mul_f16 v27, v4, v84
	v_pk_mul_f16 v31, v24, v84
	v_fma_f32 v4, v82, s3, -v3
	v_rndne_f32_e32 v24, v3
	v_fmac_f32_e32 v4, 0x32a5705f, v82
	v_sub_f32_e32 v3, v3, v24
	v_add_f32_e32 v3, v3, v4
	v_exp_f32_e32 v3, v3
	v_cvt_i32_f32_e32 v4, v24
	v_pk_mul_f16 v1, v1, v84
	v_pk_mul_f16 v9, v9, v84
	;; [unrolled: 1-line block ×3, first 2 shown]
	v_ldexp_f32 v3, v3, v4
	v_cndmask_b32_e32 v3, 0, v3, vcc
	v_cmp_nlt_f32_e32 vcc, s77, v82
	v_pk_mul_f16 v10, v10, v84
	v_pk_mul_f16 v83, v26, v84
	v_cndmask_b32_e32 v3, v197, v3, vcc
	v_fmac_f32_e32 v3, v7, v6
	v_pk_mul_f16 v11, v11, v84
	v_pk_mul_f16 v88, v28, v84
	;; [unrolled: 1-line block ×24, first 2 shown]
	v_mov_b64_e32 v[6:7], v[2:3]
.LBB29_60:                              ;   in Loop: Header=BB29_14 Depth=1
	s_or_b64 exec, exec, s[36:37]
	s_mov_b64 s[34:35], exec
	v_readlane_b32 s36, v255, 43
	v_readlane_b32 s37, v255, 44
	s_and_b64 s[36:37], s[34:35], s[36:37]
	v_readlane_b32 s94, v255, 49
	s_mov_b64 exec, s[36:37]
; %bb.61:                               ;   in Loop: Header=BB29_14 Depth=1
	v_add_u32_e32 v2, 0, v204
	ds_write2_b32 v2, v6, v7 offset0:128 offset1:129
; %bb.62:                               ;   in Loop: Header=BB29_14 Depth=1
	s_or_b64 exec, exec, s[34:35]
	s_waitcnt lgkmcnt(0)
	s_barrier
	s_mov_b64 s[34:35], exec
	v_readlane_b32 s36, v255, 32
	v_readlane_b32 s37, v255, 33
	s_and_b64 s[36:37], s[34:35], s[36:37]
	s_xor_b64 s[34:35], s[36:37], s[34:35]
	s_mov_b64 exec, s[36:37]
	s_cbranch_execz .LBB29_64
; %bb.63:                               ;   in Loop: Header=BB29_14 Depth=1
	s_barrier
                                        ; implicit-def: $vgpr5
                                        ; implicit-def: $vgpr8
.LBB29_64:                              ;   in Loop: Header=BB29_14 Depth=1
	s_andn2_saveexec_b64 s[34:35], s[34:35]
	s_cbranch_execz .LBB29_68
; %bb.65:                               ;   in Loop: Header=BB29_14 Depth=1
	v_add_u32_e32 v3, 0, v204
	ds_read_b64 v[6:7], v3 offset:512
	s_waitcnt lgkmcnt(0)
	s_barrier
	ds_bpermute_b32 v2, v5, v6
	v_max_f32_e32 v4, v6, v6
	s_waitcnt lgkmcnt(0)
	v_max_f32_e32 v2, v2, v2
	v_max_f32_e32 v2, v4, v2
	ds_bpermute_b32 v4, v8, v2
	s_waitcnt lgkmcnt(0)
	v_max_f32_e32 v4, v4, v4
	v_max_f32_e32 v2, v2, v4
	v_sub_f32_e32 v4, v6, v2
	v_mul_f32_e32 v6, 0x3fb8aa3b, v4
	v_fma_f32 v24, v4, s3, -v6
	v_rndne_f32_e32 v25, v6
	v_fmac_f32_e32 v24, 0x32a5705f, v4
	v_sub_f32_e32 v6, v6, v25
	v_add_f32_e32 v6, v6, v24
	v_cvt_i32_f32_e32 v25, v25
	v_exp_f32_e32 v6, v6
	v_cmp_ngt_f32_e32 vcc, s4, v4
	v_ldexp_f32 v6, v6, v25
	s_nop 0
	v_cndmask_b32_e32 v6, 0, v6, vcc
	v_cmp_nlt_f32_e32 vcc, s77, v4
	s_nop 1
	v_cndmask_b32_e32 v4, v197, v6, vcc
	v_mul_f32_e32 v6, v7, v4
	ds_bpermute_b32 v5, v5, v6
	s_waitcnt lgkmcnt(0)
	v_fmac_f32_e32 v5, v7, v4
	ds_bpermute_b32 v6, v8, v5
	s_waitcnt lgkmcnt(0)
	v_add_f32_e32 v5, v5, v6
	ds_write_b64 v3, v[4:5] offset:512
	s_mov_b64 s[36:37], exec
	v_readlane_b32 s38, v255, 43
	v_readlane_b32 s39, v255, 44
	s_and_b64 s[38:39], s[36:37], s[38:39]
	s_mov_b64 exec, s[38:39]
	s_cbranch_execz .LBB29_67
; %bb.66:                               ;   in Loop: Header=BB29_14 Depth=1
	v_mov_b32_e32 v3, v5
	v_accvgpr_read_b32 v4, a58
	v_accvgpr_read_b32 v5, a59
	global_store_dwordx2 v[4:5], v[2:3], off
.LBB29_67:                              ;   in Loop: Header=BB29_14 Depth=1
	s_or_b64 exec, exec, s[36:37]
.LBB29_68:                              ;   in Loop: Header=BB29_14 Depth=1
	s_or_b64 exec, exec, s[34:35]
	ds_write2_b32 v183, v27, v1 offset1:1
	ds_write2_b32 v183, v31, v9 offset0:8 offset1:9
	ds_write2_b32 v183, v35, v10 offset0:16 offset1:17
	;; [unrolled: 1-line block ×15, first 2 shown]
	s_waitcnt lgkmcnt(0)
	s_barrier
	s_and_saveexec_b64 s[34:35], s[40:41]
	s_cbranch_execz .LBB29_146
; %bb.69:                               ;   in Loop: Header=BB29_14 Depth=1
	v_add_u32_e32 v2, v184, v195
	v_cmp_gt_i32_e32 vcc, s76, v2
	v_mov_b32_e32 v1, 0x47
	s_and_saveexec_b64 s[36:37], vcc
	s_cbranch_execz .LBB29_71
; %bb.70:                               ;   in Loop: Header=BB29_14 Depth=1
	ds_read2st64_b32 v[4:5], v205 offset0:2 offset1:35
	ds_read2st64_b32 v[6:7], v205 offset0:68 offset1:101
	ds_read2st64_b32 v[8:9], v222 offset1:1
	ds_read2st64_b32 v[10:11], v222 offset0:33 offset1:34
	ds_read2st64_b32 v[12:13], v222 offset0:66 offset1:67
	;; [unrolled: 1-line block ×3, first 2 shown]
	v_readlane_b32 s38, v255, 37
	s_waitcnt lgkmcnt(3)
	v_cvt_f32_f16_sdwa v19, v8 dst_sel:DWORD dst_unused:UNUSED_PAD src0_sel:WORD_1
	v_cvt_f32_f16_e32 v18, v8
	s_waitcnt lgkmcnt(2)
	v_cvt_f32_f16_sdwa v21, v10 dst_sel:DWORD dst_unused:UNUSED_PAD src0_sel:WORD_1
	v_cvt_f32_f16_e32 v20, v10
	v_mov_b32_e32 v8, v5
	v_pk_fma_f32 v[18:19], v[4:5], v[18:19], 0 op_sel_hi:[0,1,0]
	v_mul_lo_u32 v2, s38, v2
	v_pk_fma_f32 v[18:19], v[8:9], v[20:21], v[18:19] op_sel_hi:[0,1,1]
	s_waitcnt lgkmcnt(1)
	v_cvt_f32_f16_sdwa v21, v12 dst_sel:DWORD dst_unused:UNUSED_PAD src0_sel:WORD_1
	v_cvt_f32_f16_e32 v20, v12
	v_add_u32_e32 v16, v40, v2
	v_ashrrev_i32_e32 v17, 31, v16
	v_mov_b32_e32 v10, v7
	v_pk_fma_f32 v[18:19], v[6:7], v[20:21], v[18:19] op_sel_hi:[0,1,1]
	s_waitcnt lgkmcnt(0)
	v_cvt_f32_f16_sdwa v21, v14 dst_sel:DWORD dst_unused:UNUSED_PAD src0_sel:WORD_1
	v_cvt_f32_f16_e32 v20, v14
	v_lshl_add_u64 v[16:17], v[16:17], 3, v[116:117]
	v_ashrrev_i32_e32 v3, 31, v2
	v_lshl_add_u64 v[2:3], v[40:41], 0, v[2:3]
	v_pk_fma_f32 v[18:19], v[10:11], v[20:21], v[18:19] op_sel_hi:[0,1,1]
	global_store_dwordx2 v[16:17], v[18:19], off
	v_cvt_f32_f16_sdwa v17, v9 dst_sel:DWORD dst_unused:UNUSED_PAD src0_sel:WORD_1
	v_cvt_f32_f16_e32 v16, v9
	v_lshl_add_u64 v[2:3], v[2:3], 3, v[116:117]
	v_mov_b32_e32 v1, 0
	v_pk_fma_f32 v[4:5], v[4:5], v[16:17], 0 op_sel_hi:[0,1,0]
	v_cvt_f32_f16_sdwa v17, v11 dst_sel:DWORD dst_unused:UNUSED_PAD src0_sel:WORD_1
	v_cvt_f32_f16_e32 v16, v11
	v_pk_fma_f32 v[4:5], v[8:9], v[16:17], v[4:5] op_sel_hi:[0,1,1]
	v_cvt_f32_f16_sdwa v9, v13 dst_sel:DWORD dst_unused:UNUSED_PAD src0_sel:WORD_1
	v_cvt_f32_f16_e32 v8, v13
	;; [unrolled: 3-line block ×3, first 2 shown]
	v_pk_fma_f32 v[4:5], v[10:11], v[6:7], v[4:5] op_sel_hi:[0,1,1]
	global_store_dwordx2 v[2:3], v[4:5], off offset:512
.LBB29_71:                              ;   in Loop: Header=BB29_14 Depth=1
	s_or_b64 exec, exec, s[36:37]
	s_movk_i32 s36, 0x47
	v_cmp_gt_i32_e32 vcc, s36, v1
	s_mov_b64 s[36:37], -1
	s_and_saveexec_b64 s[38:39], vcc
; %bb.72:                               ;   in Loop: Header=BB29_14 Depth=1
	v_cmp_eq_u32_e32 vcc, 0, v1
	s_orn2_b64 s[36:37], vcc, exec
; %bb.73:                               ;   in Loop: Header=BB29_14 Depth=1
	s_or_b64 exec, exec, s[38:39]
	s_and_b64 exec, exec, s[36:37]
	s_cbranch_execz .LBB29_146
; %bb.74:                               ;   in Loop: Header=BB29_14 Depth=1
	v_accvgpr_read_b32 v1, a12
	v_add_u32_e32 v2, v1, v195
	v_cmp_gt_i32_e32 vcc, s76, v2
	v_mov_b32_e32 v1, 0x47
	s_and_saveexec_b64 s[36:37], vcc
	s_cbranch_execz .LBB29_76
; %bb.75:                               ;   in Loop: Header=BB29_14 Depth=1
	ds_read2st64_b32 v[4:5], v0 offset0:2 offset1:35
	ds_read2st64_b32 v[6:7], v0 offset0:68 offset1:101
	ds_read2st64_b32 v[8:9], v223 offset1:1
	ds_read2st64_b32 v[10:11], v223 offset0:33 offset1:34
	ds_read2st64_b32 v[12:13], v223 offset0:66 offset1:67
	;; [unrolled: 1-line block ×3, first 2 shown]
	v_readlane_b32 s38, v255, 37
	s_waitcnt lgkmcnt(3)
	v_cvt_f32_f16_sdwa v19, v8 dst_sel:DWORD dst_unused:UNUSED_PAD src0_sel:WORD_1
	v_cvt_f32_f16_e32 v18, v8
	s_waitcnt lgkmcnt(2)
	v_cvt_f32_f16_sdwa v21, v10 dst_sel:DWORD dst_unused:UNUSED_PAD src0_sel:WORD_1
	v_cvt_f32_f16_e32 v20, v10
	v_mov_b32_e32 v8, v5
	v_pk_fma_f32 v[18:19], v[4:5], v[18:19], 0 op_sel_hi:[0,1,0]
	v_mul_lo_u32 v2, s38, v2
	v_pk_fma_f32 v[18:19], v[8:9], v[20:21], v[18:19] op_sel_hi:[0,1,1]
	s_waitcnt lgkmcnt(1)
	v_cvt_f32_f16_sdwa v21, v12 dst_sel:DWORD dst_unused:UNUSED_PAD src0_sel:WORD_1
	v_cvt_f32_f16_e32 v20, v12
	v_add_u32_e32 v16, v40, v2
	v_ashrrev_i32_e32 v17, 31, v16
	v_mov_b32_e32 v10, v7
	v_pk_fma_f32 v[18:19], v[6:7], v[20:21], v[18:19] op_sel_hi:[0,1,1]
	s_waitcnt lgkmcnt(0)
	v_cvt_f32_f16_sdwa v21, v14 dst_sel:DWORD dst_unused:UNUSED_PAD src0_sel:WORD_1
	v_cvt_f32_f16_e32 v20, v14
	v_lshl_add_u64 v[16:17], v[16:17], 3, v[116:117]
	v_ashrrev_i32_e32 v3, 31, v2
	v_lshl_add_u64 v[2:3], v[40:41], 0, v[2:3]
	v_pk_fma_f32 v[18:19], v[10:11], v[20:21], v[18:19] op_sel_hi:[0,1,1]
	global_store_dwordx2 v[16:17], v[18:19], off
	v_cvt_f32_f16_sdwa v17, v9 dst_sel:DWORD dst_unused:UNUSED_PAD src0_sel:WORD_1
	v_cvt_f32_f16_e32 v16, v9
	v_lshl_add_u64 v[2:3], v[2:3], 3, v[116:117]
	v_mov_b32_e32 v1, 0
	v_pk_fma_f32 v[4:5], v[4:5], v[16:17], 0 op_sel_hi:[0,1,0]
	v_cvt_f32_f16_sdwa v17, v11 dst_sel:DWORD dst_unused:UNUSED_PAD src0_sel:WORD_1
	v_cvt_f32_f16_e32 v16, v11
	v_pk_fma_f32 v[4:5], v[8:9], v[16:17], v[4:5] op_sel_hi:[0,1,1]
	v_cvt_f32_f16_sdwa v9, v13 dst_sel:DWORD dst_unused:UNUSED_PAD src0_sel:WORD_1
	v_cvt_f32_f16_e32 v8, v13
	;; [unrolled: 3-line block ×3, first 2 shown]
	v_pk_fma_f32 v[4:5], v[10:11], v[6:7], v[4:5] op_sel_hi:[0,1,1]
	global_store_dwordx2 v[2:3], v[4:5], off offset:512
.LBB29_76:                              ;   in Loop: Header=BB29_14 Depth=1
	s_or_b64 exec, exec, s[36:37]
	s_movk_i32 s36, 0x47
	v_cmp_gt_i32_e32 vcc, s36, v1
	s_mov_b64 s[36:37], -1
	s_and_saveexec_b64 s[38:39], vcc
; %bb.77:                               ;   in Loop: Header=BB29_14 Depth=1
	v_cmp_eq_u32_e32 vcc, 0, v1
	s_orn2_b64 s[36:37], vcc, exec
; %bb.78:                               ;   in Loop: Header=BB29_14 Depth=1
	s_or_b64 exec, exec, s[38:39]
	s_and_b64 exec, exec, s[36:37]
	s_cbranch_execz .LBB29_146
; %bb.79:                               ;   in Loop: Header=BB29_14 Depth=1
	v_accvgpr_read_b32 v1, a13
	v_add_u32_e32 v2, v1, v195
	v_cmp_gt_i32_e32 vcc, s76, v2
	v_mov_b32_e32 v1, 0x47
	s_and_saveexec_b64 s[36:37], vcc
	s_cbranch_execz .LBB29_81
; %bb.80:                               ;   in Loop: Header=BB29_14 Depth=1
	v_accvgpr_read_b32 v1, a27
	ds_read2st64_b32 v[4:5], v1 offset0:2 offset1:35
	ds_read2st64_b32 v[6:7], v1 offset0:68 offset1:101
	v_accvgpr_read_b32 v1, a43
	ds_read2st64_b32 v[8:9], v1 offset1:1
	ds_read2st64_b32 v[10:11], v1 offset0:33 offset1:34
	ds_read2st64_b32 v[12:13], v1 offset0:66 offset1:67
	;; [unrolled: 1-line block ×3, first 2 shown]
	v_readlane_b32 s38, v255, 37
	s_waitcnt lgkmcnt(3)
	v_cvt_f32_f16_sdwa v19, v8 dst_sel:DWORD dst_unused:UNUSED_PAD src0_sel:WORD_1
	v_cvt_f32_f16_e32 v18, v8
	s_waitcnt lgkmcnt(2)
	v_cvt_f32_f16_sdwa v21, v10 dst_sel:DWORD dst_unused:UNUSED_PAD src0_sel:WORD_1
	v_cvt_f32_f16_e32 v20, v10
	v_mov_b32_e32 v8, v5
	v_pk_fma_f32 v[18:19], v[4:5], v[18:19], 0 op_sel_hi:[0,1,0]
	v_mul_lo_u32 v2, s38, v2
	v_pk_fma_f32 v[18:19], v[8:9], v[20:21], v[18:19] op_sel_hi:[0,1,1]
	s_waitcnt lgkmcnt(1)
	v_cvt_f32_f16_sdwa v21, v12 dst_sel:DWORD dst_unused:UNUSED_PAD src0_sel:WORD_1
	v_cvt_f32_f16_e32 v20, v12
	v_add_u32_e32 v16, v40, v2
	v_ashrrev_i32_e32 v17, 31, v16
	v_mov_b32_e32 v10, v7
	v_pk_fma_f32 v[18:19], v[6:7], v[20:21], v[18:19] op_sel_hi:[0,1,1]
	s_waitcnt lgkmcnt(0)
	v_cvt_f32_f16_sdwa v21, v14 dst_sel:DWORD dst_unused:UNUSED_PAD src0_sel:WORD_1
	v_cvt_f32_f16_e32 v20, v14
	v_lshl_add_u64 v[16:17], v[16:17], 3, v[116:117]
	v_ashrrev_i32_e32 v3, 31, v2
	v_lshl_add_u64 v[2:3], v[40:41], 0, v[2:3]
	v_pk_fma_f32 v[18:19], v[10:11], v[20:21], v[18:19] op_sel_hi:[0,1,1]
	global_store_dwordx2 v[16:17], v[18:19], off
	v_cvt_f32_f16_sdwa v17, v9 dst_sel:DWORD dst_unused:UNUSED_PAD src0_sel:WORD_1
	v_cvt_f32_f16_e32 v16, v9
	v_lshl_add_u64 v[2:3], v[2:3], 3, v[116:117]
	v_mov_b32_e32 v1, 0
	v_pk_fma_f32 v[4:5], v[4:5], v[16:17], 0 op_sel_hi:[0,1,0]
	v_cvt_f32_f16_sdwa v17, v11 dst_sel:DWORD dst_unused:UNUSED_PAD src0_sel:WORD_1
	v_cvt_f32_f16_e32 v16, v11
	v_pk_fma_f32 v[4:5], v[8:9], v[16:17], v[4:5] op_sel_hi:[0,1,1]
	v_cvt_f32_f16_sdwa v9, v13 dst_sel:DWORD dst_unused:UNUSED_PAD src0_sel:WORD_1
	v_cvt_f32_f16_e32 v8, v13
	;; [unrolled: 3-line block ×3, first 2 shown]
	v_pk_fma_f32 v[4:5], v[10:11], v[6:7], v[4:5] op_sel_hi:[0,1,1]
	global_store_dwordx2 v[2:3], v[4:5], off offset:512
.LBB29_81:                              ;   in Loop: Header=BB29_14 Depth=1
	s_or_b64 exec, exec, s[36:37]
	s_movk_i32 s36, 0x47
	v_cmp_gt_i32_e32 vcc, s36, v1
	s_mov_b64 s[36:37], -1
	s_and_saveexec_b64 s[38:39], vcc
; %bb.82:                               ;   in Loop: Header=BB29_14 Depth=1
	v_cmp_eq_u32_e32 vcc, 0, v1
	s_orn2_b64 s[36:37], vcc, exec
; %bb.83:                               ;   in Loop: Header=BB29_14 Depth=1
	s_or_b64 exec, exec, s[38:39]
	s_and_b64 exec, exec, s[36:37]
	s_cbranch_execz .LBB29_146
; %bb.84:                               ;   in Loop: Header=BB29_14 Depth=1
	v_accvgpr_read_b32 v1, a14
	v_add_u32_e32 v2, v1, v195
	v_cmp_gt_i32_e32 vcc, s76, v2
	v_mov_b32_e32 v1, 0x47
	s_and_saveexec_b64 s[36:37], vcc
	s_cbranch_execz .LBB29_86
; %bb.85:                               ;   in Loop: Header=BB29_14 Depth=1
	v_accvgpr_read_b32 v1, a30
	ds_read2st64_b32 v[4:5], v1 offset0:2 offset1:35
	ds_read2st64_b32 v[6:7], v1 offset0:68 offset1:101
	v_accvgpr_read_b32 v1, a44
	ds_read2st64_b32 v[8:9], v1 offset1:1
	ds_read2st64_b32 v[10:11], v1 offset0:33 offset1:34
	ds_read2st64_b32 v[12:13], v1 offset0:66 offset1:67
	;; [unrolled: 1-line block ×3, first 2 shown]
	v_readlane_b32 s38, v255, 37
	s_waitcnt lgkmcnt(3)
	v_cvt_f32_f16_sdwa v19, v8 dst_sel:DWORD dst_unused:UNUSED_PAD src0_sel:WORD_1
	v_cvt_f32_f16_e32 v18, v8
	s_waitcnt lgkmcnt(2)
	v_cvt_f32_f16_sdwa v21, v10 dst_sel:DWORD dst_unused:UNUSED_PAD src0_sel:WORD_1
	v_cvt_f32_f16_e32 v20, v10
	v_mov_b32_e32 v8, v5
	v_pk_fma_f32 v[18:19], v[4:5], v[18:19], 0 op_sel_hi:[0,1,0]
	v_mul_lo_u32 v2, s38, v2
	v_pk_fma_f32 v[18:19], v[8:9], v[20:21], v[18:19] op_sel_hi:[0,1,1]
	s_waitcnt lgkmcnt(1)
	v_cvt_f32_f16_sdwa v21, v12 dst_sel:DWORD dst_unused:UNUSED_PAD src0_sel:WORD_1
	v_cvt_f32_f16_e32 v20, v12
	v_add_u32_e32 v16, v40, v2
	v_ashrrev_i32_e32 v17, 31, v16
	v_mov_b32_e32 v10, v7
	v_pk_fma_f32 v[18:19], v[6:7], v[20:21], v[18:19] op_sel_hi:[0,1,1]
	s_waitcnt lgkmcnt(0)
	v_cvt_f32_f16_sdwa v21, v14 dst_sel:DWORD dst_unused:UNUSED_PAD src0_sel:WORD_1
	v_cvt_f32_f16_e32 v20, v14
	v_lshl_add_u64 v[16:17], v[16:17], 3, v[116:117]
	v_ashrrev_i32_e32 v3, 31, v2
	v_lshl_add_u64 v[2:3], v[40:41], 0, v[2:3]
	v_pk_fma_f32 v[18:19], v[10:11], v[20:21], v[18:19] op_sel_hi:[0,1,1]
	global_store_dwordx2 v[16:17], v[18:19], off
	v_cvt_f32_f16_sdwa v17, v9 dst_sel:DWORD dst_unused:UNUSED_PAD src0_sel:WORD_1
	v_cvt_f32_f16_e32 v16, v9
	v_lshl_add_u64 v[2:3], v[2:3], 3, v[116:117]
	v_mov_b32_e32 v1, 0
	v_pk_fma_f32 v[4:5], v[4:5], v[16:17], 0 op_sel_hi:[0,1,0]
	v_cvt_f32_f16_sdwa v17, v11 dst_sel:DWORD dst_unused:UNUSED_PAD src0_sel:WORD_1
	v_cvt_f32_f16_e32 v16, v11
	v_pk_fma_f32 v[4:5], v[8:9], v[16:17], v[4:5] op_sel_hi:[0,1,1]
	v_cvt_f32_f16_sdwa v9, v13 dst_sel:DWORD dst_unused:UNUSED_PAD src0_sel:WORD_1
	v_cvt_f32_f16_e32 v8, v13
	;; [unrolled: 3-line block ×3, first 2 shown]
	v_pk_fma_f32 v[4:5], v[10:11], v[6:7], v[4:5] op_sel_hi:[0,1,1]
	global_store_dwordx2 v[2:3], v[4:5], off offset:512
.LBB29_86:                              ;   in Loop: Header=BB29_14 Depth=1
	s_or_b64 exec, exec, s[36:37]
	s_movk_i32 s36, 0x47
	v_cmp_gt_i32_e32 vcc, s36, v1
	s_mov_b64 s[36:37], -1
	s_and_saveexec_b64 s[38:39], vcc
; %bb.87:                               ;   in Loop: Header=BB29_14 Depth=1
	v_cmp_eq_u32_e32 vcc, 0, v1
	s_orn2_b64 s[36:37], vcc, exec
; %bb.88:                               ;   in Loop: Header=BB29_14 Depth=1
	s_or_b64 exec, exec, s[38:39]
	s_and_b64 exec, exec, s[36:37]
	s_cbranch_execz .LBB29_146
; %bb.89:                               ;   in Loop: Header=BB29_14 Depth=1
	v_accvgpr_read_b32 v1, a15
	v_add_u32_e32 v2, v1, v195
	v_cmp_gt_i32_e32 vcc, s76, v2
	v_mov_b32_e32 v1, 0x47
	s_and_saveexec_b64 s[36:37], vcc
	s_cbranch_execz .LBB29_91
; %bb.90:                               ;   in Loop: Header=BB29_14 Depth=1
	v_accvgpr_read_b32 v1, a31
	ds_read2st64_b32 v[4:5], v1 offset0:2 offset1:35
	ds_read2st64_b32 v[6:7], v1 offset0:68 offset1:101
	v_accvgpr_read_b32 v1, a45
	ds_read2st64_b32 v[8:9], v1 offset1:1
	ds_read2st64_b32 v[10:11], v1 offset0:33 offset1:34
	ds_read2st64_b32 v[12:13], v1 offset0:66 offset1:67
	ds_read2st64_b32 v[14:15], v1 offset0:99 offset1:100
	v_readlane_b32 s38, v255, 37
	s_waitcnt lgkmcnt(3)
	v_cvt_f32_f16_sdwa v19, v8 dst_sel:DWORD dst_unused:UNUSED_PAD src0_sel:WORD_1
	v_cvt_f32_f16_e32 v18, v8
	s_waitcnt lgkmcnt(2)
	v_cvt_f32_f16_sdwa v21, v10 dst_sel:DWORD dst_unused:UNUSED_PAD src0_sel:WORD_1
	v_cvt_f32_f16_e32 v20, v10
	v_mov_b32_e32 v8, v5
	v_pk_fma_f32 v[18:19], v[4:5], v[18:19], 0 op_sel_hi:[0,1,0]
	v_mul_lo_u32 v2, s38, v2
	v_pk_fma_f32 v[18:19], v[8:9], v[20:21], v[18:19] op_sel_hi:[0,1,1]
	s_waitcnt lgkmcnt(1)
	v_cvt_f32_f16_sdwa v21, v12 dst_sel:DWORD dst_unused:UNUSED_PAD src0_sel:WORD_1
	v_cvt_f32_f16_e32 v20, v12
	v_add_u32_e32 v16, v40, v2
	v_ashrrev_i32_e32 v17, 31, v16
	v_mov_b32_e32 v10, v7
	v_pk_fma_f32 v[18:19], v[6:7], v[20:21], v[18:19] op_sel_hi:[0,1,1]
	s_waitcnt lgkmcnt(0)
	v_cvt_f32_f16_sdwa v21, v14 dst_sel:DWORD dst_unused:UNUSED_PAD src0_sel:WORD_1
	v_cvt_f32_f16_e32 v20, v14
	v_lshl_add_u64 v[16:17], v[16:17], 3, v[116:117]
	v_ashrrev_i32_e32 v3, 31, v2
	v_lshl_add_u64 v[2:3], v[40:41], 0, v[2:3]
	v_pk_fma_f32 v[18:19], v[10:11], v[20:21], v[18:19] op_sel_hi:[0,1,1]
	global_store_dwordx2 v[16:17], v[18:19], off
	v_cvt_f32_f16_sdwa v17, v9 dst_sel:DWORD dst_unused:UNUSED_PAD src0_sel:WORD_1
	v_cvt_f32_f16_e32 v16, v9
	v_lshl_add_u64 v[2:3], v[2:3], 3, v[116:117]
	v_mov_b32_e32 v1, 0
	v_pk_fma_f32 v[4:5], v[4:5], v[16:17], 0 op_sel_hi:[0,1,0]
	v_cvt_f32_f16_sdwa v17, v11 dst_sel:DWORD dst_unused:UNUSED_PAD src0_sel:WORD_1
	v_cvt_f32_f16_e32 v16, v11
	v_pk_fma_f32 v[4:5], v[8:9], v[16:17], v[4:5] op_sel_hi:[0,1,1]
	v_cvt_f32_f16_sdwa v9, v13 dst_sel:DWORD dst_unused:UNUSED_PAD src0_sel:WORD_1
	v_cvt_f32_f16_e32 v8, v13
	;; [unrolled: 3-line block ×3, first 2 shown]
	v_pk_fma_f32 v[4:5], v[10:11], v[6:7], v[4:5] op_sel_hi:[0,1,1]
	global_store_dwordx2 v[2:3], v[4:5], off offset:512
.LBB29_91:                              ;   in Loop: Header=BB29_14 Depth=1
	s_or_b64 exec, exec, s[36:37]
	s_movk_i32 s36, 0x47
	v_cmp_gt_i32_e32 vcc, s36, v1
	s_mov_b64 s[36:37], -1
	s_and_saveexec_b64 s[38:39], vcc
; %bb.92:                               ;   in Loop: Header=BB29_14 Depth=1
	v_cmp_eq_u32_e32 vcc, 0, v1
	s_orn2_b64 s[36:37], vcc, exec
; %bb.93:                               ;   in Loop: Header=BB29_14 Depth=1
	s_or_b64 exec, exec, s[38:39]
	s_and_b64 exec, exec, s[36:37]
	s_cbranch_execz .LBB29_146
; %bb.94:                               ;   in Loop: Header=BB29_14 Depth=1
	v_accvgpr_read_b32 v1, a16
	v_add_u32_e32 v2, v1, v195
	v_cmp_gt_i32_e32 vcc, s76, v2
	v_mov_b32_e32 v1, 0x47
	s_and_saveexec_b64 s[36:37], vcc
	s_cbranch_execz .LBB29_96
; %bb.95:                               ;   in Loop: Header=BB29_14 Depth=1
	v_accvgpr_read_b32 v1, a32
	ds_read2st64_b32 v[4:5], v1 offset0:2 offset1:35
	ds_read2st64_b32 v[6:7], v1 offset0:68 offset1:101
	v_accvgpr_read_b32 v1, a46
	ds_read2st64_b32 v[8:9], v1 offset1:1
	ds_read2st64_b32 v[10:11], v1 offset0:33 offset1:34
	ds_read2st64_b32 v[12:13], v1 offset0:66 offset1:67
	;; [unrolled: 1-line block ×3, first 2 shown]
	v_readlane_b32 s38, v255, 37
	s_waitcnt lgkmcnt(3)
	v_cvt_f32_f16_sdwa v19, v8 dst_sel:DWORD dst_unused:UNUSED_PAD src0_sel:WORD_1
	v_cvt_f32_f16_e32 v18, v8
	s_waitcnt lgkmcnt(2)
	v_cvt_f32_f16_sdwa v21, v10 dst_sel:DWORD dst_unused:UNUSED_PAD src0_sel:WORD_1
	v_cvt_f32_f16_e32 v20, v10
	v_mov_b32_e32 v8, v5
	v_pk_fma_f32 v[18:19], v[4:5], v[18:19], 0 op_sel_hi:[0,1,0]
	v_mul_lo_u32 v2, s38, v2
	v_pk_fma_f32 v[18:19], v[8:9], v[20:21], v[18:19] op_sel_hi:[0,1,1]
	s_waitcnt lgkmcnt(1)
	v_cvt_f32_f16_sdwa v21, v12 dst_sel:DWORD dst_unused:UNUSED_PAD src0_sel:WORD_1
	v_cvt_f32_f16_e32 v20, v12
	v_add_u32_e32 v16, v40, v2
	v_ashrrev_i32_e32 v17, 31, v16
	v_mov_b32_e32 v10, v7
	v_pk_fma_f32 v[18:19], v[6:7], v[20:21], v[18:19] op_sel_hi:[0,1,1]
	s_waitcnt lgkmcnt(0)
	v_cvt_f32_f16_sdwa v21, v14 dst_sel:DWORD dst_unused:UNUSED_PAD src0_sel:WORD_1
	v_cvt_f32_f16_e32 v20, v14
	v_lshl_add_u64 v[16:17], v[16:17], 3, v[116:117]
	v_ashrrev_i32_e32 v3, 31, v2
	v_lshl_add_u64 v[2:3], v[40:41], 0, v[2:3]
	v_pk_fma_f32 v[18:19], v[10:11], v[20:21], v[18:19] op_sel_hi:[0,1,1]
	global_store_dwordx2 v[16:17], v[18:19], off
	v_cvt_f32_f16_sdwa v17, v9 dst_sel:DWORD dst_unused:UNUSED_PAD src0_sel:WORD_1
	v_cvt_f32_f16_e32 v16, v9
	v_lshl_add_u64 v[2:3], v[2:3], 3, v[116:117]
	v_mov_b32_e32 v1, 0
	v_pk_fma_f32 v[4:5], v[4:5], v[16:17], 0 op_sel_hi:[0,1,0]
	v_cvt_f32_f16_sdwa v17, v11 dst_sel:DWORD dst_unused:UNUSED_PAD src0_sel:WORD_1
	v_cvt_f32_f16_e32 v16, v11
	v_pk_fma_f32 v[4:5], v[8:9], v[16:17], v[4:5] op_sel_hi:[0,1,1]
	v_cvt_f32_f16_sdwa v9, v13 dst_sel:DWORD dst_unused:UNUSED_PAD src0_sel:WORD_1
	v_cvt_f32_f16_e32 v8, v13
	;; [unrolled: 3-line block ×3, first 2 shown]
	v_pk_fma_f32 v[4:5], v[10:11], v[6:7], v[4:5] op_sel_hi:[0,1,1]
	global_store_dwordx2 v[2:3], v[4:5], off offset:512
.LBB29_96:                              ;   in Loop: Header=BB29_14 Depth=1
	s_or_b64 exec, exec, s[36:37]
	s_movk_i32 s36, 0x47
	v_cmp_gt_i32_e32 vcc, s36, v1
	s_mov_b64 s[36:37], -1
	s_and_saveexec_b64 s[38:39], vcc
; %bb.97:                               ;   in Loop: Header=BB29_14 Depth=1
	v_cmp_eq_u32_e32 vcc, 0, v1
	s_orn2_b64 s[36:37], vcc, exec
; %bb.98:                               ;   in Loop: Header=BB29_14 Depth=1
	s_or_b64 exec, exec, s[38:39]
	s_and_b64 exec, exec, s[36:37]
	s_cbranch_execz .LBB29_146
; %bb.99:                               ;   in Loop: Header=BB29_14 Depth=1
	v_accvgpr_read_b32 v1, a17
	v_add_u32_e32 v2, v1, v195
	v_cmp_gt_i32_e32 vcc, s76, v2
	v_mov_b32_e32 v1, 0x47
	s_and_saveexec_b64 s[36:37], vcc
	s_cbranch_execz .LBB29_101
; %bb.100:                              ;   in Loop: Header=BB29_14 Depth=1
	v_accvgpr_read_b32 v1, a33
	ds_read2st64_b32 v[4:5], v1 offset0:2 offset1:35
	ds_read2st64_b32 v[6:7], v1 offset0:68 offset1:101
	v_accvgpr_read_b32 v1, a47
	ds_read2st64_b32 v[8:9], v1 offset1:1
	ds_read2st64_b32 v[10:11], v1 offset0:33 offset1:34
	ds_read2st64_b32 v[12:13], v1 offset0:66 offset1:67
	;; [unrolled: 1-line block ×3, first 2 shown]
	v_readlane_b32 s38, v255, 37
	s_waitcnt lgkmcnt(3)
	v_cvt_f32_f16_sdwa v19, v8 dst_sel:DWORD dst_unused:UNUSED_PAD src0_sel:WORD_1
	v_cvt_f32_f16_e32 v18, v8
	s_waitcnt lgkmcnt(2)
	v_cvt_f32_f16_sdwa v21, v10 dst_sel:DWORD dst_unused:UNUSED_PAD src0_sel:WORD_1
	v_cvt_f32_f16_e32 v20, v10
	v_mov_b32_e32 v8, v5
	v_pk_fma_f32 v[18:19], v[4:5], v[18:19], 0 op_sel_hi:[0,1,0]
	v_mul_lo_u32 v2, s38, v2
	v_pk_fma_f32 v[18:19], v[8:9], v[20:21], v[18:19] op_sel_hi:[0,1,1]
	s_waitcnt lgkmcnt(1)
	v_cvt_f32_f16_sdwa v21, v12 dst_sel:DWORD dst_unused:UNUSED_PAD src0_sel:WORD_1
	v_cvt_f32_f16_e32 v20, v12
	v_add_u32_e32 v16, v40, v2
	v_ashrrev_i32_e32 v17, 31, v16
	v_mov_b32_e32 v10, v7
	v_pk_fma_f32 v[18:19], v[6:7], v[20:21], v[18:19] op_sel_hi:[0,1,1]
	s_waitcnt lgkmcnt(0)
	v_cvt_f32_f16_sdwa v21, v14 dst_sel:DWORD dst_unused:UNUSED_PAD src0_sel:WORD_1
	v_cvt_f32_f16_e32 v20, v14
	v_lshl_add_u64 v[16:17], v[16:17], 3, v[116:117]
	v_ashrrev_i32_e32 v3, 31, v2
	v_lshl_add_u64 v[2:3], v[40:41], 0, v[2:3]
	v_pk_fma_f32 v[18:19], v[10:11], v[20:21], v[18:19] op_sel_hi:[0,1,1]
	global_store_dwordx2 v[16:17], v[18:19], off
	v_cvt_f32_f16_sdwa v17, v9 dst_sel:DWORD dst_unused:UNUSED_PAD src0_sel:WORD_1
	v_cvt_f32_f16_e32 v16, v9
	v_lshl_add_u64 v[2:3], v[2:3], 3, v[116:117]
	v_mov_b32_e32 v1, 0
	v_pk_fma_f32 v[4:5], v[4:5], v[16:17], 0 op_sel_hi:[0,1,0]
	v_cvt_f32_f16_sdwa v17, v11 dst_sel:DWORD dst_unused:UNUSED_PAD src0_sel:WORD_1
	v_cvt_f32_f16_e32 v16, v11
	v_pk_fma_f32 v[4:5], v[8:9], v[16:17], v[4:5] op_sel_hi:[0,1,1]
	v_cvt_f32_f16_sdwa v9, v13 dst_sel:DWORD dst_unused:UNUSED_PAD src0_sel:WORD_1
	v_cvt_f32_f16_e32 v8, v13
	;; [unrolled: 3-line block ×3, first 2 shown]
	v_pk_fma_f32 v[4:5], v[10:11], v[6:7], v[4:5] op_sel_hi:[0,1,1]
	global_store_dwordx2 v[2:3], v[4:5], off offset:512
.LBB29_101:                             ;   in Loop: Header=BB29_14 Depth=1
	s_or_b64 exec, exec, s[36:37]
	s_movk_i32 s36, 0x47
	v_cmp_gt_i32_e32 vcc, s36, v1
	s_mov_b64 s[36:37], -1
	s_and_saveexec_b64 s[38:39], vcc
; %bb.102:                              ;   in Loop: Header=BB29_14 Depth=1
	v_cmp_eq_u32_e32 vcc, 0, v1
	s_orn2_b64 s[36:37], vcc, exec
; %bb.103:                              ;   in Loop: Header=BB29_14 Depth=1
	s_or_b64 exec, exec, s[38:39]
	s_and_b64 exec, exec, s[36:37]
	s_cbranch_execz .LBB29_146
; %bb.104:                              ;   in Loop: Header=BB29_14 Depth=1
	v_accvgpr_read_b32 v1, a18
	v_add_u32_e32 v2, v1, v195
	v_cmp_gt_i32_e32 vcc, s76, v2
	v_mov_b32_e32 v1, 0x47
	s_and_saveexec_b64 s[36:37], vcc
	s_cbranch_execz .LBB29_106
; %bb.105:                              ;   in Loop: Header=BB29_14 Depth=1
	v_accvgpr_read_b32 v1, a34
	ds_read2st64_b32 v[4:5], v1 offset0:2 offset1:35
	ds_read2st64_b32 v[6:7], v1 offset0:68 offset1:101
	v_accvgpr_read_b32 v1, a48
	ds_read2st64_b32 v[8:9], v1 offset1:1
	ds_read2st64_b32 v[10:11], v1 offset0:33 offset1:34
	ds_read2st64_b32 v[12:13], v1 offset0:66 offset1:67
	;; [unrolled: 1-line block ×3, first 2 shown]
	v_readlane_b32 s38, v255, 37
	s_waitcnt lgkmcnt(3)
	v_cvt_f32_f16_sdwa v19, v8 dst_sel:DWORD dst_unused:UNUSED_PAD src0_sel:WORD_1
	v_cvt_f32_f16_e32 v18, v8
	s_waitcnt lgkmcnt(2)
	v_cvt_f32_f16_sdwa v21, v10 dst_sel:DWORD dst_unused:UNUSED_PAD src0_sel:WORD_1
	v_cvt_f32_f16_e32 v20, v10
	v_mov_b32_e32 v8, v5
	v_pk_fma_f32 v[18:19], v[4:5], v[18:19], 0 op_sel_hi:[0,1,0]
	v_mul_lo_u32 v2, s38, v2
	v_pk_fma_f32 v[18:19], v[8:9], v[20:21], v[18:19] op_sel_hi:[0,1,1]
	s_waitcnt lgkmcnt(1)
	v_cvt_f32_f16_sdwa v21, v12 dst_sel:DWORD dst_unused:UNUSED_PAD src0_sel:WORD_1
	v_cvt_f32_f16_e32 v20, v12
	v_add_u32_e32 v16, v40, v2
	v_ashrrev_i32_e32 v17, 31, v16
	v_mov_b32_e32 v10, v7
	v_pk_fma_f32 v[18:19], v[6:7], v[20:21], v[18:19] op_sel_hi:[0,1,1]
	s_waitcnt lgkmcnt(0)
	v_cvt_f32_f16_sdwa v21, v14 dst_sel:DWORD dst_unused:UNUSED_PAD src0_sel:WORD_1
	v_cvt_f32_f16_e32 v20, v14
	v_lshl_add_u64 v[16:17], v[16:17], 3, v[116:117]
	v_ashrrev_i32_e32 v3, 31, v2
	v_lshl_add_u64 v[2:3], v[40:41], 0, v[2:3]
	v_pk_fma_f32 v[18:19], v[10:11], v[20:21], v[18:19] op_sel_hi:[0,1,1]
	global_store_dwordx2 v[16:17], v[18:19], off
	v_cvt_f32_f16_sdwa v17, v9 dst_sel:DWORD dst_unused:UNUSED_PAD src0_sel:WORD_1
	v_cvt_f32_f16_e32 v16, v9
	v_lshl_add_u64 v[2:3], v[2:3], 3, v[116:117]
	v_mov_b32_e32 v1, 0
	v_pk_fma_f32 v[4:5], v[4:5], v[16:17], 0 op_sel_hi:[0,1,0]
	v_cvt_f32_f16_sdwa v17, v11 dst_sel:DWORD dst_unused:UNUSED_PAD src0_sel:WORD_1
	v_cvt_f32_f16_e32 v16, v11
	v_pk_fma_f32 v[4:5], v[8:9], v[16:17], v[4:5] op_sel_hi:[0,1,1]
	v_cvt_f32_f16_sdwa v9, v13 dst_sel:DWORD dst_unused:UNUSED_PAD src0_sel:WORD_1
	v_cvt_f32_f16_e32 v8, v13
	;; [unrolled: 3-line block ×3, first 2 shown]
	v_pk_fma_f32 v[4:5], v[10:11], v[6:7], v[4:5] op_sel_hi:[0,1,1]
	global_store_dwordx2 v[2:3], v[4:5], off offset:512
.LBB29_106:                             ;   in Loop: Header=BB29_14 Depth=1
	s_or_b64 exec, exec, s[36:37]
	s_movk_i32 s36, 0x47
	v_cmp_gt_i32_e32 vcc, s36, v1
	s_mov_b64 s[36:37], -1
	s_and_saveexec_b64 s[38:39], vcc
; %bb.107:                              ;   in Loop: Header=BB29_14 Depth=1
	v_cmp_eq_u32_e32 vcc, 0, v1
	s_orn2_b64 s[36:37], vcc, exec
; %bb.108:                              ;   in Loop: Header=BB29_14 Depth=1
	s_or_b64 exec, exec, s[38:39]
	s_and_b64 exec, exec, s[36:37]
	s_cbranch_execz .LBB29_146
; %bb.109:                              ;   in Loop: Header=BB29_14 Depth=1
	v_accvgpr_read_b32 v1, a19
	v_add_u32_e32 v2, v1, v195
	v_cmp_gt_i32_e32 vcc, s76, v2
	v_mov_b32_e32 v1, 0x47
	s_and_saveexec_b64 s[36:37], vcc
	s_cbranch_execz .LBB29_111
; %bb.110:                              ;   in Loop: Header=BB29_14 Depth=1
	v_accvgpr_read_b32 v1, a35
	ds_read2st64_b32 v[4:5], v1 offset0:2 offset1:35
	ds_read2st64_b32 v[6:7], v1 offset0:68 offset1:101
	v_accvgpr_read_b32 v1, a49
	ds_read2st64_b32 v[8:9], v1 offset1:1
	ds_read2st64_b32 v[10:11], v1 offset0:33 offset1:34
	ds_read2st64_b32 v[12:13], v1 offset0:66 offset1:67
	;; [unrolled: 1-line block ×3, first 2 shown]
	v_readlane_b32 s38, v255, 37
	s_waitcnt lgkmcnt(3)
	v_cvt_f32_f16_sdwa v19, v8 dst_sel:DWORD dst_unused:UNUSED_PAD src0_sel:WORD_1
	v_cvt_f32_f16_e32 v18, v8
	s_waitcnt lgkmcnt(2)
	v_cvt_f32_f16_sdwa v21, v10 dst_sel:DWORD dst_unused:UNUSED_PAD src0_sel:WORD_1
	v_cvt_f32_f16_e32 v20, v10
	v_mov_b32_e32 v8, v5
	v_pk_fma_f32 v[18:19], v[4:5], v[18:19], 0 op_sel_hi:[0,1,0]
	v_mul_lo_u32 v2, s38, v2
	v_pk_fma_f32 v[18:19], v[8:9], v[20:21], v[18:19] op_sel_hi:[0,1,1]
	s_waitcnt lgkmcnt(1)
	v_cvt_f32_f16_sdwa v21, v12 dst_sel:DWORD dst_unused:UNUSED_PAD src0_sel:WORD_1
	v_cvt_f32_f16_e32 v20, v12
	v_add_u32_e32 v16, v40, v2
	v_ashrrev_i32_e32 v17, 31, v16
	v_mov_b32_e32 v10, v7
	v_pk_fma_f32 v[18:19], v[6:7], v[20:21], v[18:19] op_sel_hi:[0,1,1]
	s_waitcnt lgkmcnt(0)
	v_cvt_f32_f16_sdwa v21, v14 dst_sel:DWORD dst_unused:UNUSED_PAD src0_sel:WORD_1
	v_cvt_f32_f16_e32 v20, v14
	v_lshl_add_u64 v[16:17], v[16:17], 3, v[116:117]
	v_ashrrev_i32_e32 v3, 31, v2
	v_lshl_add_u64 v[2:3], v[40:41], 0, v[2:3]
	v_pk_fma_f32 v[18:19], v[10:11], v[20:21], v[18:19] op_sel_hi:[0,1,1]
	global_store_dwordx2 v[16:17], v[18:19], off
	v_cvt_f32_f16_sdwa v17, v9 dst_sel:DWORD dst_unused:UNUSED_PAD src0_sel:WORD_1
	v_cvt_f32_f16_e32 v16, v9
	v_lshl_add_u64 v[2:3], v[2:3], 3, v[116:117]
	v_mov_b32_e32 v1, 0
	v_pk_fma_f32 v[4:5], v[4:5], v[16:17], 0 op_sel_hi:[0,1,0]
	v_cvt_f32_f16_sdwa v17, v11 dst_sel:DWORD dst_unused:UNUSED_PAD src0_sel:WORD_1
	v_cvt_f32_f16_e32 v16, v11
	v_pk_fma_f32 v[4:5], v[8:9], v[16:17], v[4:5] op_sel_hi:[0,1,1]
	v_cvt_f32_f16_sdwa v9, v13 dst_sel:DWORD dst_unused:UNUSED_PAD src0_sel:WORD_1
	v_cvt_f32_f16_e32 v8, v13
	;; [unrolled: 3-line block ×3, first 2 shown]
	v_pk_fma_f32 v[4:5], v[10:11], v[6:7], v[4:5] op_sel_hi:[0,1,1]
	global_store_dwordx2 v[2:3], v[4:5], off offset:512
.LBB29_111:                             ;   in Loop: Header=BB29_14 Depth=1
	s_or_b64 exec, exec, s[36:37]
	s_movk_i32 s36, 0x47
	v_cmp_gt_i32_e32 vcc, s36, v1
	s_mov_b64 s[36:37], -1
	s_and_saveexec_b64 s[38:39], vcc
; %bb.112:                              ;   in Loop: Header=BB29_14 Depth=1
	v_cmp_eq_u32_e32 vcc, 0, v1
	s_orn2_b64 s[36:37], vcc, exec
; %bb.113:                              ;   in Loop: Header=BB29_14 Depth=1
	s_or_b64 exec, exec, s[38:39]
	s_and_b64 exec, exec, s[36:37]
	s_cbranch_execz .LBB29_146
; %bb.114:                              ;   in Loop: Header=BB29_14 Depth=1
	v_accvgpr_read_b32 v1, a20
	v_add_u32_e32 v2, v1, v195
	v_cmp_gt_i32_e32 vcc, s76, v2
	v_mov_b32_e32 v1, 0x47
	s_and_saveexec_b64 s[36:37], vcc
	s_cbranch_execz .LBB29_116
; %bb.115:                              ;   in Loop: Header=BB29_14 Depth=1
	v_accvgpr_read_b32 v1, a36
	ds_read2st64_b32 v[4:5], v1 offset0:2 offset1:35
	ds_read2st64_b32 v[6:7], v1 offset0:68 offset1:101
	v_accvgpr_read_b32 v1, a50
	ds_read2st64_b32 v[8:9], v1 offset1:1
	ds_read2st64_b32 v[10:11], v1 offset0:33 offset1:34
	ds_read2st64_b32 v[12:13], v1 offset0:66 offset1:67
	;; [unrolled: 1-line block ×3, first 2 shown]
	v_readlane_b32 s38, v255, 37
	s_waitcnt lgkmcnt(3)
	v_cvt_f32_f16_sdwa v19, v8 dst_sel:DWORD dst_unused:UNUSED_PAD src0_sel:WORD_1
	v_cvt_f32_f16_e32 v18, v8
	s_waitcnt lgkmcnt(2)
	v_cvt_f32_f16_sdwa v21, v10 dst_sel:DWORD dst_unused:UNUSED_PAD src0_sel:WORD_1
	v_cvt_f32_f16_e32 v20, v10
	v_mov_b32_e32 v8, v5
	v_pk_fma_f32 v[18:19], v[4:5], v[18:19], 0 op_sel_hi:[0,1,0]
	v_mul_lo_u32 v2, s38, v2
	v_pk_fma_f32 v[18:19], v[8:9], v[20:21], v[18:19] op_sel_hi:[0,1,1]
	s_waitcnt lgkmcnt(1)
	v_cvt_f32_f16_sdwa v21, v12 dst_sel:DWORD dst_unused:UNUSED_PAD src0_sel:WORD_1
	v_cvt_f32_f16_e32 v20, v12
	v_add_u32_e32 v16, v40, v2
	v_ashrrev_i32_e32 v17, 31, v16
	v_mov_b32_e32 v10, v7
	v_pk_fma_f32 v[18:19], v[6:7], v[20:21], v[18:19] op_sel_hi:[0,1,1]
	s_waitcnt lgkmcnt(0)
	v_cvt_f32_f16_sdwa v21, v14 dst_sel:DWORD dst_unused:UNUSED_PAD src0_sel:WORD_1
	v_cvt_f32_f16_e32 v20, v14
	v_lshl_add_u64 v[16:17], v[16:17], 3, v[116:117]
	v_ashrrev_i32_e32 v3, 31, v2
	v_lshl_add_u64 v[2:3], v[40:41], 0, v[2:3]
	v_pk_fma_f32 v[18:19], v[10:11], v[20:21], v[18:19] op_sel_hi:[0,1,1]
	global_store_dwordx2 v[16:17], v[18:19], off
	v_cvt_f32_f16_sdwa v17, v9 dst_sel:DWORD dst_unused:UNUSED_PAD src0_sel:WORD_1
	v_cvt_f32_f16_e32 v16, v9
	v_lshl_add_u64 v[2:3], v[2:3], 3, v[116:117]
	v_mov_b32_e32 v1, 0
	v_pk_fma_f32 v[4:5], v[4:5], v[16:17], 0 op_sel_hi:[0,1,0]
	v_cvt_f32_f16_sdwa v17, v11 dst_sel:DWORD dst_unused:UNUSED_PAD src0_sel:WORD_1
	v_cvt_f32_f16_e32 v16, v11
	v_pk_fma_f32 v[4:5], v[8:9], v[16:17], v[4:5] op_sel_hi:[0,1,1]
	v_cvt_f32_f16_sdwa v9, v13 dst_sel:DWORD dst_unused:UNUSED_PAD src0_sel:WORD_1
	v_cvt_f32_f16_e32 v8, v13
	;; [unrolled: 3-line block ×3, first 2 shown]
	v_pk_fma_f32 v[4:5], v[10:11], v[6:7], v[4:5] op_sel_hi:[0,1,1]
	global_store_dwordx2 v[2:3], v[4:5], off offset:512
.LBB29_116:                             ;   in Loop: Header=BB29_14 Depth=1
	s_or_b64 exec, exec, s[36:37]
	s_movk_i32 s36, 0x47
	v_cmp_gt_i32_e32 vcc, s36, v1
	s_mov_b64 s[36:37], -1
	s_and_saveexec_b64 s[38:39], vcc
; %bb.117:                              ;   in Loop: Header=BB29_14 Depth=1
	v_cmp_eq_u32_e32 vcc, 0, v1
	s_orn2_b64 s[36:37], vcc, exec
; %bb.118:                              ;   in Loop: Header=BB29_14 Depth=1
	s_or_b64 exec, exec, s[38:39]
	s_and_b64 exec, exec, s[36:37]
	s_cbranch_execz .LBB29_146
; %bb.119:                              ;   in Loop: Header=BB29_14 Depth=1
	v_accvgpr_read_b32 v1, a21
	v_add_u32_e32 v2, v1, v195
	v_cmp_gt_i32_e32 vcc, s76, v2
	v_mov_b32_e32 v1, 0x47
	s_and_saveexec_b64 s[36:37], vcc
	s_cbranch_execz .LBB29_121
; %bb.120:                              ;   in Loop: Header=BB29_14 Depth=1
	v_accvgpr_read_b32 v1, a37
	ds_read2st64_b32 v[4:5], v1 offset0:2 offset1:35
	ds_read2st64_b32 v[6:7], v1 offset0:68 offset1:101
	v_accvgpr_read_b32 v1, a51
	ds_read2st64_b32 v[8:9], v1 offset1:1
	ds_read2st64_b32 v[10:11], v1 offset0:33 offset1:34
	ds_read2st64_b32 v[12:13], v1 offset0:66 offset1:67
	;; [unrolled: 1-line block ×3, first 2 shown]
	v_readlane_b32 s38, v255, 37
	s_waitcnt lgkmcnt(3)
	v_cvt_f32_f16_sdwa v19, v8 dst_sel:DWORD dst_unused:UNUSED_PAD src0_sel:WORD_1
	v_cvt_f32_f16_e32 v18, v8
	s_waitcnt lgkmcnt(2)
	v_cvt_f32_f16_sdwa v21, v10 dst_sel:DWORD dst_unused:UNUSED_PAD src0_sel:WORD_1
	v_cvt_f32_f16_e32 v20, v10
	v_mov_b32_e32 v8, v5
	v_pk_fma_f32 v[18:19], v[4:5], v[18:19], 0 op_sel_hi:[0,1,0]
	v_mul_lo_u32 v2, s38, v2
	v_pk_fma_f32 v[18:19], v[8:9], v[20:21], v[18:19] op_sel_hi:[0,1,1]
	s_waitcnt lgkmcnt(1)
	v_cvt_f32_f16_sdwa v21, v12 dst_sel:DWORD dst_unused:UNUSED_PAD src0_sel:WORD_1
	v_cvt_f32_f16_e32 v20, v12
	v_add_u32_e32 v16, v40, v2
	v_ashrrev_i32_e32 v17, 31, v16
	v_mov_b32_e32 v10, v7
	v_pk_fma_f32 v[18:19], v[6:7], v[20:21], v[18:19] op_sel_hi:[0,1,1]
	s_waitcnt lgkmcnt(0)
	v_cvt_f32_f16_sdwa v21, v14 dst_sel:DWORD dst_unused:UNUSED_PAD src0_sel:WORD_1
	v_cvt_f32_f16_e32 v20, v14
	v_lshl_add_u64 v[16:17], v[16:17], 3, v[116:117]
	v_ashrrev_i32_e32 v3, 31, v2
	v_lshl_add_u64 v[2:3], v[40:41], 0, v[2:3]
	v_pk_fma_f32 v[18:19], v[10:11], v[20:21], v[18:19] op_sel_hi:[0,1,1]
	global_store_dwordx2 v[16:17], v[18:19], off
	v_cvt_f32_f16_sdwa v17, v9 dst_sel:DWORD dst_unused:UNUSED_PAD src0_sel:WORD_1
	v_cvt_f32_f16_e32 v16, v9
	v_lshl_add_u64 v[2:3], v[2:3], 3, v[116:117]
	v_mov_b32_e32 v1, 0
	v_pk_fma_f32 v[4:5], v[4:5], v[16:17], 0 op_sel_hi:[0,1,0]
	v_cvt_f32_f16_sdwa v17, v11 dst_sel:DWORD dst_unused:UNUSED_PAD src0_sel:WORD_1
	v_cvt_f32_f16_e32 v16, v11
	v_pk_fma_f32 v[4:5], v[8:9], v[16:17], v[4:5] op_sel_hi:[0,1,1]
	v_cvt_f32_f16_sdwa v9, v13 dst_sel:DWORD dst_unused:UNUSED_PAD src0_sel:WORD_1
	v_cvt_f32_f16_e32 v8, v13
	;; [unrolled: 3-line block ×3, first 2 shown]
	v_pk_fma_f32 v[4:5], v[10:11], v[6:7], v[4:5] op_sel_hi:[0,1,1]
	global_store_dwordx2 v[2:3], v[4:5], off offset:512
.LBB29_121:                             ;   in Loop: Header=BB29_14 Depth=1
	s_or_b64 exec, exec, s[36:37]
	s_movk_i32 s36, 0x47
	v_cmp_gt_i32_e32 vcc, s36, v1
	s_mov_b64 s[36:37], -1
	s_and_saveexec_b64 s[38:39], vcc
; %bb.122:                              ;   in Loop: Header=BB29_14 Depth=1
	v_cmp_eq_u32_e32 vcc, 0, v1
	s_orn2_b64 s[36:37], vcc, exec
; %bb.123:                              ;   in Loop: Header=BB29_14 Depth=1
	s_or_b64 exec, exec, s[38:39]
	s_and_b64 exec, exec, s[36:37]
	s_cbranch_execz .LBB29_146
; %bb.124:                              ;   in Loop: Header=BB29_14 Depth=1
	v_accvgpr_read_b32 v1, a22
	v_add_u32_e32 v2, v1, v195
	v_cmp_gt_i32_e32 vcc, s76, v2
	v_mov_b32_e32 v1, 0x47
	s_and_saveexec_b64 s[36:37], vcc
	s_cbranch_execz .LBB29_126
; %bb.125:                              ;   in Loop: Header=BB29_14 Depth=1
	v_accvgpr_read_b32 v1, a38
	ds_read2st64_b32 v[4:5], v1 offset0:2 offset1:35
	ds_read2st64_b32 v[6:7], v1 offset0:68 offset1:101
	v_accvgpr_read_b32 v1, a52
	ds_read2st64_b32 v[8:9], v1 offset1:1
	ds_read2st64_b32 v[10:11], v1 offset0:33 offset1:34
	ds_read2st64_b32 v[12:13], v1 offset0:66 offset1:67
	;; [unrolled: 1-line block ×3, first 2 shown]
	v_readlane_b32 s38, v255, 37
	s_waitcnt lgkmcnt(3)
	v_cvt_f32_f16_sdwa v19, v8 dst_sel:DWORD dst_unused:UNUSED_PAD src0_sel:WORD_1
	v_cvt_f32_f16_e32 v18, v8
	s_waitcnt lgkmcnt(2)
	v_cvt_f32_f16_sdwa v21, v10 dst_sel:DWORD dst_unused:UNUSED_PAD src0_sel:WORD_1
	v_cvt_f32_f16_e32 v20, v10
	v_mov_b32_e32 v8, v5
	v_pk_fma_f32 v[18:19], v[4:5], v[18:19], 0 op_sel_hi:[0,1,0]
	v_mul_lo_u32 v2, s38, v2
	v_pk_fma_f32 v[18:19], v[8:9], v[20:21], v[18:19] op_sel_hi:[0,1,1]
	s_waitcnt lgkmcnt(1)
	v_cvt_f32_f16_sdwa v21, v12 dst_sel:DWORD dst_unused:UNUSED_PAD src0_sel:WORD_1
	v_cvt_f32_f16_e32 v20, v12
	v_add_u32_e32 v16, v40, v2
	v_ashrrev_i32_e32 v17, 31, v16
	v_mov_b32_e32 v10, v7
	v_pk_fma_f32 v[18:19], v[6:7], v[20:21], v[18:19] op_sel_hi:[0,1,1]
	s_waitcnt lgkmcnt(0)
	v_cvt_f32_f16_sdwa v21, v14 dst_sel:DWORD dst_unused:UNUSED_PAD src0_sel:WORD_1
	v_cvt_f32_f16_e32 v20, v14
	v_lshl_add_u64 v[16:17], v[16:17], 3, v[116:117]
	v_ashrrev_i32_e32 v3, 31, v2
	v_lshl_add_u64 v[2:3], v[40:41], 0, v[2:3]
	v_pk_fma_f32 v[18:19], v[10:11], v[20:21], v[18:19] op_sel_hi:[0,1,1]
	global_store_dwordx2 v[16:17], v[18:19], off
	v_cvt_f32_f16_sdwa v17, v9 dst_sel:DWORD dst_unused:UNUSED_PAD src0_sel:WORD_1
	v_cvt_f32_f16_e32 v16, v9
	v_lshl_add_u64 v[2:3], v[2:3], 3, v[116:117]
	v_mov_b32_e32 v1, 0
	v_pk_fma_f32 v[4:5], v[4:5], v[16:17], 0 op_sel_hi:[0,1,0]
	v_cvt_f32_f16_sdwa v17, v11 dst_sel:DWORD dst_unused:UNUSED_PAD src0_sel:WORD_1
	v_cvt_f32_f16_e32 v16, v11
	v_pk_fma_f32 v[4:5], v[8:9], v[16:17], v[4:5] op_sel_hi:[0,1,1]
	v_cvt_f32_f16_sdwa v9, v13 dst_sel:DWORD dst_unused:UNUSED_PAD src0_sel:WORD_1
	v_cvt_f32_f16_e32 v8, v13
	;; [unrolled: 3-line block ×3, first 2 shown]
	v_pk_fma_f32 v[4:5], v[10:11], v[6:7], v[4:5] op_sel_hi:[0,1,1]
	global_store_dwordx2 v[2:3], v[4:5], off offset:512
.LBB29_126:                             ;   in Loop: Header=BB29_14 Depth=1
	s_or_b64 exec, exec, s[36:37]
	s_movk_i32 s36, 0x47
	v_cmp_gt_i32_e32 vcc, s36, v1
	s_mov_b64 s[36:37], -1
	s_and_saveexec_b64 s[38:39], vcc
; %bb.127:                              ;   in Loop: Header=BB29_14 Depth=1
	v_cmp_eq_u32_e32 vcc, 0, v1
	s_orn2_b64 s[36:37], vcc, exec
; %bb.128:                              ;   in Loop: Header=BB29_14 Depth=1
	s_or_b64 exec, exec, s[38:39]
	s_and_b64 exec, exec, s[36:37]
	s_cbranch_execz .LBB29_146
; %bb.129:                              ;   in Loop: Header=BB29_14 Depth=1
	v_accvgpr_read_b32 v1, a23
	v_add_u32_e32 v2, v1, v195
	v_cmp_gt_i32_e32 vcc, s76, v2
	v_mov_b32_e32 v1, 0x47
	s_and_saveexec_b64 s[36:37], vcc
	s_cbranch_execz .LBB29_131
; %bb.130:                              ;   in Loop: Header=BB29_14 Depth=1
	v_accvgpr_read_b32 v1, a39
	ds_read2st64_b32 v[4:5], v1 offset0:2 offset1:35
	ds_read2st64_b32 v[6:7], v1 offset0:68 offset1:101
	v_accvgpr_read_b32 v1, a53
	ds_read2st64_b32 v[8:9], v1 offset1:1
	ds_read2st64_b32 v[10:11], v1 offset0:33 offset1:34
	ds_read2st64_b32 v[12:13], v1 offset0:66 offset1:67
	;; [unrolled: 1-line block ×3, first 2 shown]
	v_readlane_b32 s38, v255, 37
	s_waitcnt lgkmcnt(3)
	v_cvt_f32_f16_sdwa v19, v8 dst_sel:DWORD dst_unused:UNUSED_PAD src0_sel:WORD_1
	v_cvt_f32_f16_e32 v18, v8
	s_waitcnt lgkmcnt(2)
	v_cvt_f32_f16_sdwa v21, v10 dst_sel:DWORD dst_unused:UNUSED_PAD src0_sel:WORD_1
	v_cvt_f32_f16_e32 v20, v10
	v_mov_b32_e32 v8, v5
	v_pk_fma_f32 v[18:19], v[4:5], v[18:19], 0 op_sel_hi:[0,1,0]
	v_mul_lo_u32 v2, s38, v2
	v_pk_fma_f32 v[18:19], v[8:9], v[20:21], v[18:19] op_sel_hi:[0,1,1]
	s_waitcnt lgkmcnt(1)
	v_cvt_f32_f16_sdwa v21, v12 dst_sel:DWORD dst_unused:UNUSED_PAD src0_sel:WORD_1
	v_cvt_f32_f16_e32 v20, v12
	v_add_u32_e32 v16, v40, v2
	v_ashrrev_i32_e32 v17, 31, v16
	v_mov_b32_e32 v10, v7
	v_pk_fma_f32 v[18:19], v[6:7], v[20:21], v[18:19] op_sel_hi:[0,1,1]
	s_waitcnt lgkmcnt(0)
	v_cvt_f32_f16_sdwa v21, v14 dst_sel:DWORD dst_unused:UNUSED_PAD src0_sel:WORD_1
	v_cvt_f32_f16_e32 v20, v14
	v_lshl_add_u64 v[16:17], v[16:17], 3, v[116:117]
	v_ashrrev_i32_e32 v3, 31, v2
	v_lshl_add_u64 v[2:3], v[40:41], 0, v[2:3]
	v_pk_fma_f32 v[18:19], v[10:11], v[20:21], v[18:19] op_sel_hi:[0,1,1]
	global_store_dwordx2 v[16:17], v[18:19], off
	v_cvt_f32_f16_sdwa v17, v9 dst_sel:DWORD dst_unused:UNUSED_PAD src0_sel:WORD_1
	v_cvt_f32_f16_e32 v16, v9
	v_lshl_add_u64 v[2:3], v[2:3], 3, v[116:117]
	v_mov_b32_e32 v1, 0
	v_pk_fma_f32 v[4:5], v[4:5], v[16:17], 0 op_sel_hi:[0,1,0]
	v_cvt_f32_f16_sdwa v17, v11 dst_sel:DWORD dst_unused:UNUSED_PAD src0_sel:WORD_1
	v_cvt_f32_f16_e32 v16, v11
	v_pk_fma_f32 v[4:5], v[8:9], v[16:17], v[4:5] op_sel_hi:[0,1,1]
	v_cvt_f32_f16_sdwa v9, v13 dst_sel:DWORD dst_unused:UNUSED_PAD src0_sel:WORD_1
	v_cvt_f32_f16_e32 v8, v13
	;; [unrolled: 3-line block ×3, first 2 shown]
	v_pk_fma_f32 v[4:5], v[10:11], v[6:7], v[4:5] op_sel_hi:[0,1,1]
	global_store_dwordx2 v[2:3], v[4:5], off offset:512
.LBB29_131:                             ;   in Loop: Header=BB29_14 Depth=1
	s_or_b64 exec, exec, s[36:37]
	s_movk_i32 s36, 0x47
	v_cmp_gt_i32_e32 vcc, s36, v1
	s_mov_b64 s[36:37], -1
	s_and_saveexec_b64 s[38:39], vcc
; %bb.132:                              ;   in Loop: Header=BB29_14 Depth=1
	v_cmp_eq_u32_e32 vcc, 0, v1
	s_orn2_b64 s[36:37], vcc, exec
; %bb.133:                              ;   in Loop: Header=BB29_14 Depth=1
	s_or_b64 exec, exec, s[38:39]
	s_and_b64 exec, exec, s[36:37]
	s_cbranch_execz .LBB29_146
; %bb.134:                              ;   in Loop: Header=BB29_14 Depth=1
	v_accvgpr_read_b32 v1, a24
	v_add_u32_e32 v2, v1, v195
	v_cmp_gt_i32_e32 vcc, s76, v2
	v_mov_b32_e32 v1, 0x47
	s_and_saveexec_b64 s[36:37], vcc
	s_cbranch_execz .LBB29_136
; %bb.135:                              ;   in Loop: Header=BB29_14 Depth=1
	v_accvgpr_read_b32 v1, a40
	ds_read2st64_b32 v[4:5], v1 offset0:2 offset1:35
	ds_read2st64_b32 v[6:7], v1 offset0:68 offset1:101
	v_accvgpr_read_b32 v1, a54
	ds_read2st64_b32 v[8:9], v1 offset1:1
	ds_read2st64_b32 v[10:11], v1 offset0:33 offset1:34
	ds_read2st64_b32 v[12:13], v1 offset0:66 offset1:67
	ds_read2st64_b32 v[14:15], v1 offset0:99 offset1:100
	v_readlane_b32 s38, v255, 37
	s_waitcnt lgkmcnt(3)
	v_cvt_f32_f16_sdwa v19, v8 dst_sel:DWORD dst_unused:UNUSED_PAD src0_sel:WORD_1
	v_cvt_f32_f16_e32 v18, v8
	s_waitcnt lgkmcnt(2)
	v_cvt_f32_f16_sdwa v21, v10 dst_sel:DWORD dst_unused:UNUSED_PAD src0_sel:WORD_1
	v_cvt_f32_f16_e32 v20, v10
	v_mov_b32_e32 v8, v5
	v_pk_fma_f32 v[18:19], v[4:5], v[18:19], 0 op_sel_hi:[0,1,0]
	v_mul_lo_u32 v2, s38, v2
	v_pk_fma_f32 v[18:19], v[8:9], v[20:21], v[18:19] op_sel_hi:[0,1,1]
	s_waitcnt lgkmcnt(1)
	v_cvt_f32_f16_sdwa v21, v12 dst_sel:DWORD dst_unused:UNUSED_PAD src0_sel:WORD_1
	v_cvt_f32_f16_e32 v20, v12
	v_add_u32_e32 v16, v40, v2
	v_ashrrev_i32_e32 v17, 31, v16
	v_mov_b32_e32 v10, v7
	v_pk_fma_f32 v[18:19], v[6:7], v[20:21], v[18:19] op_sel_hi:[0,1,1]
	s_waitcnt lgkmcnt(0)
	v_cvt_f32_f16_sdwa v21, v14 dst_sel:DWORD dst_unused:UNUSED_PAD src0_sel:WORD_1
	v_cvt_f32_f16_e32 v20, v14
	v_lshl_add_u64 v[16:17], v[16:17], 3, v[116:117]
	v_ashrrev_i32_e32 v3, 31, v2
	v_lshl_add_u64 v[2:3], v[40:41], 0, v[2:3]
	v_pk_fma_f32 v[18:19], v[10:11], v[20:21], v[18:19] op_sel_hi:[0,1,1]
	global_store_dwordx2 v[16:17], v[18:19], off
	v_cvt_f32_f16_sdwa v17, v9 dst_sel:DWORD dst_unused:UNUSED_PAD src0_sel:WORD_1
	v_cvt_f32_f16_e32 v16, v9
	v_lshl_add_u64 v[2:3], v[2:3], 3, v[116:117]
	v_mov_b32_e32 v1, 0
	v_pk_fma_f32 v[4:5], v[4:5], v[16:17], 0 op_sel_hi:[0,1,0]
	v_cvt_f32_f16_sdwa v17, v11 dst_sel:DWORD dst_unused:UNUSED_PAD src0_sel:WORD_1
	v_cvt_f32_f16_e32 v16, v11
	v_pk_fma_f32 v[4:5], v[8:9], v[16:17], v[4:5] op_sel_hi:[0,1,1]
	v_cvt_f32_f16_sdwa v9, v13 dst_sel:DWORD dst_unused:UNUSED_PAD src0_sel:WORD_1
	v_cvt_f32_f16_e32 v8, v13
	;; [unrolled: 3-line block ×3, first 2 shown]
	v_pk_fma_f32 v[4:5], v[10:11], v[6:7], v[4:5] op_sel_hi:[0,1,1]
	global_store_dwordx2 v[2:3], v[4:5], off offset:512
.LBB29_136:                             ;   in Loop: Header=BB29_14 Depth=1
	s_or_b64 exec, exec, s[36:37]
	s_movk_i32 s36, 0x47
	v_cmp_gt_i32_e32 vcc, s36, v1
	s_mov_b64 s[36:37], -1
	s_and_saveexec_b64 s[38:39], vcc
; %bb.137:                              ;   in Loop: Header=BB29_14 Depth=1
	v_cmp_eq_u32_e32 vcc, 0, v1
	s_orn2_b64 s[36:37], vcc, exec
; %bb.138:                              ;   in Loop: Header=BB29_14 Depth=1
	s_or_b64 exec, exec, s[38:39]
	s_and_b64 exec, exec, s[36:37]
	s_cbranch_execz .LBB29_146
; %bb.139:                              ;   in Loop: Header=BB29_14 Depth=1
	v_accvgpr_read_b32 v1, a25
	v_add_u32_e32 v2, v1, v195
	v_cmp_gt_i32_e32 vcc, s76, v2
	v_mov_b32_e32 v1, 0x47
	s_and_saveexec_b64 s[36:37], vcc
	s_cbranch_execz .LBB29_141
; %bb.140:                              ;   in Loop: Header=BB29_14 Depth=1
	v_accvgpr_read_b32 v1, a41
	ds_read2st64_b32 v[4:5], v1 offset0:2 offset1:35
	ds_read2st64_b32 v[6:7], v1 offset0:68 offset1:101
	v_accvgpr_read_b32 v1, a55
	ds_read2st64_b32 v[8:9], v1 offset1:1
	ds_read2st64_b32 v[10:11], v1 offset0:33 offset1:34
	ds_read2st64_b32 v[12:13], v1 offset0:66 offset1:67
	;; [unrolled: 1-line block ×3, first 2 shown]
	v_readlane_b32 s38, v255, 37
	s_waitcnt lgkmcnt(3)
	v_cvt_f32_f16_sdwa v19, v8 dst_sel:DWORD dst_unused:UNUSED_PAD src0_sel:WORD_1
	v_cvt_f32_f16_e32 v18, v8
	s_waitcnt lgkmcnt(2)
	v_cvt_f32_f16_sdwa v21, v10 dst_sel:DWORD dst_unused:UNUSED_PAD src0_sel:WORD_1
	v_cvt_f32_f16_e32 v20, v10
	v_mov_b32_e32 v8, v5
	v_pk_fma_f32 v[18:19], v[4:5], v[18:19], 0 op_sel_hi:[0,1,0]
	v_mul_lo_u32 v2, s38, v2
	v_pk_fma_f32 v[18:19], v[8:9], v[20:21], v[18:19] op_sel_hi:[0,1,1]
	s_waitcnt lgkmcnt(1)
	v_cvt_f32_f16_sdwa v21, v12 dst_sel:DWORD dst_unused:UNUSED_PAD src0_sel:WORD_1
	v_cvt_f32_f16_e32 v20, v12
	v_add_u32_e32 v16, v40, v2
	v_ashrrev_i32_e32 v17, 31, v16
	v_mov_b32_e32 v10, v7
	v_pk_fma_f32 v[18:19], v[6:7], v[20:21], v[18:19] op_sel_hi:[0,1,1]
	s_waitcnt lgkmcnt(0)
	v_cvt_f32_f16_sdwa v21, v14 dst_sel:DWORD dst_unused:UNUSED_PAD src0_sel:WORD_1
	v_cvt_f32_f16_e32 v20, v14
	v_lshl_add_u64 v[16:17], v[16:17], 3, v[116:117]
	v_ashrrev_i32_e32 v3, 31, v2
	v_lshl_add_u64 v[2:3], v[40:41], 0, v[2:3]
	v_pk_fma_f32 v[18:19], v[10:11], v[20:21], v[18:19] op_sel_hi:[0,1,1]
	global_store_dwordx2 v[16:17], v[18:19], off
	v_cvt_f32_f16_sdwa v17, v9 dst_sel:DWORD dst_unused:UNUSED_PAD src0_sel:WORD_1
	v_cvt_f32_f16_e32 v16, v9
	v_lshl_add_u64 v[2:3], v[2:3], 3, v[116:117]
	v_mov_b32_e32 v1, 0
	v_pk_fma_f32 v[4:5], v[4:5], v[16:17], 0 op_sel_hi:[0,1,0]
	v_cvt_f32_f16_sdwa v17, v11 dst_sel:DWORD dst_unused:UNUSED_PAD src0_sel:WORD_1
	v_cvt_f32_f16_e32 v16, v11
	v_pk_fma_f32 v[4:5], v[8:9], v[16:17], v[4:5] op_sel_hi:[0,1,1]
	v_cvt_f32_f16_sdwa v9, v13 dst_sel:DWORD dst_unused:UNUSED_PAD src0_sel:WORD_1
	v_cvt_f32_f16_e32 v8, v13
	;; [unrolled: 3-line block ×3, first 2 shown]
	v_pk_fma_f32 v[4:5], v[10:11], v[6:7], v[4:5] op_sel_hi:[0,1,1]
	global_store_dwordx2 v[2:3], v[4:5], off offset:512
.LBB29_141:                             ;   in Loop: Header=BB29_14 Depth=1
	s_or_b64 exec, exec, s[36:37]
	s_movk_i32 s36, 0x47
	v_cmp_gt_i32_e32 vcc, s36, v1
	s_mov_b64 s[36:37], -1
	s_and_saveexec_b64 s[38:39], vcc
; %bb.142:                              ;   in Loop: Header=BB29_14 Depth=1
	v_cmp_eq_u32_e32 vcc, 0, v1
	s_orn2_b64 s[36:37], vcc, exec
; %bb.143:                              ;   in Loop: Header=BB29_14 Depth=1
	s_or_b64 exec, exec, s[38:39]
	s_and_b64 exec, exec, s[36:37]
	s_cbranch_execz .LBB29_146
; %bb.144:                              ;   in Loop: Header=BB29_14 Depth=1
	v_accvgpr_read_b32 v1, a26
	v_add_u32_e32 v1, v1, v195
	v_cmp_gt_i32_e32 vcc, s76, v1
	s_and_b64 exec, exec, vcc
	s_cbranch_execz .LBB29_146
; %bb.145:                              ;   in Loop: Header=BB29_14 Depth=1
	v_readlane_b32 s36, v255, 37
	s_nop 1
	v_mul_lo_u32 v2, s36, v1
	v_accvgpr_read_b32 v1, a42
	ds_read2st64_b32 v[4:5], v1 offset0:2 offset1:35
	ds_read2st64_b32 v[6:7], v1 offset0:68 offset1:101
	v_accvgpr_read_b32 v1, a56
	ds_read2st64_b32 v[8:9], v1 offset1:1
	ds_read2st64_b32 v[10:11], v1 offset0:33 offset1:34
	ds_read2st64_b32 v[12:13], v1 offset0:66 offset1:67
	;; [unrolled: 1-line block ×3, first 2 shown]
	v_add_u32_e32 v16, v40, v2
	s_waitcnt lgkmcnt(3)
	v_cvt_f32_f16_sdwa v19, v8 dst_sel:DWORD dst_unused:UNUSED_PAD src0_sel:WORD_1
	v_cvt_f32_f16_e32 v18, v8
	s_waitcnt lgkmcnt(2)
	v_cvt_f32_f16_sdwa v21, v10 dst_sel:DWORD dst_unused:UNUSED_PAD src0_sel:WORD_1
	v_cvt_f32_f16_e32 v20, v10
	v_mov_b32_e32 v8, v5
	v_pk_fma_f32 v[18:19], v[4:5], v[18:19], 0 op_sel_hi:[0,1,0]
	v_ashrrev_i32_e32 v17, 31, v16
	v_pk_fma_f32 v[18:19], v[8:9], v[20:21], v[18:19] op_sel_hi:[0,1,1]
	s_waitcnt lgkmcnt(1)
	v_cvt_f32_f16_sdwa v21, v12 dst_sel:DWORD dst_unused:UNUSED_PAD src0_sel:WORD_1
	v_cvt_f32_f16_e32 v20, v12
	v_mov_b32_e32 v10, v7
	v_lshl_add_u64 v[16:17], v[16:17], 3, v[116:117]
	v_ashrrev_i32_e32 v3, 31, v2
	v_pk_fma_f32 v[18:19], v[6:7], v[20:21], v[18:19] op_sel_hi:[0,1,1]
	s_waitcnt lgkmcnt(0)
	v_cvt_f32_f16_sdwa v21, v14 dst_sel:DWORD dst_unused:UNUSED_PAD src0_sel:WORD_1
	v_cvt_f32_f16_e32 v20, v14
	v_lshl_add_u64 v[2:3], v[40:41], 0, v[2:3]
	v_lshl_add_u64 v[2:3], v[2:3], 3, v[116:117]
	v_pk_fma_f32 v[18:19], v[10:11], v[20:21], v[18:19] op_sel_hi:[0,1,1]
	global_store_dwordx2 v[16:17], v[18:19], off
	v_cvt_f32_f16_sdwa v17, v9 dst_sel:DWORD dst_unused:UNUSED_PAD src0_sel:WORD_1
	v_cvt_f32_f16_e32 v16, v9
	v_pk_fma_f32 v[4:5], v[4:5], v[16:17], 0 op_sel_hi:[0,1,0]
	v_cvt_f32_f16_sdwa v17, v11 dst_sel:DWORD dst_unused:UNUSED_PAD src0_sel:WORD_1
	v_cvt_f32_f16_e32 v16, v11
	v_pk_fma_f32 v[4:5], v[8:9], v[16:17], v[4:5] op_sel_hi:[0,1,1]
	v_cvt_f32_f16_sdwa v9, v13 dst_sel:DWORD dst_unused:UNUSED_PAD src0_sel:WORD_1
	v_cvt_f32_f16_e32 v8, v13
	v_pk_fma_f32 v[4:5], v[6:7], v[8:9], v[4:5] op_sel_hi:[0,1,1]
	v_cvt_f32_f16_sdwa v7, v15 dst_sel:DWORD dst_unused:UNUSED_PAD src0_sel:WORD_1
	v_cvt_f32_f16_e32 v6, v15
	v_pk_fma_f32 v[4:5], v[10:11], v[6:7], v[4:5] op_sel_hi:[0,1,1]
	global_store_dwordx2 v[2:3], v[4:5], off offset:512
.LBB29_146:                             ;   in Loop: Header=BB29_14 Depth=1
	s_or_b64 exec, exec, s[34:35]
	s_barrier
	s_branch .LBB29_13
.LBB29_147:                             ;   in Loop: Header=BB29_14 Depth=1
	v_cmp_le_i32_e32 vcc, s76, v194
	s_and_saveexec_b64 s[34:35], vcc
	s_xor_b64 s[34:35], exec, s[34:35]
; %bb.148:                              ;   in Loop: Header=BB29_14 Depth=1
	v_add_u32_e32 v1, v221, v231
	ds_write2st64_b32 v1, v43, v43 offset1:1
; %bb.149:                              ;   in Loop: Header=BB29_14 Depth=1
	s_andn2_saveexec_b64 s[34:35], s[34:35]
	s_cbranch_execz .LBB29_151
; %bb.150:                              ;   in Loop: Header=BB29_14 Depth=1
	v_mad_u64_u32 v[2:3], s[36:37], v194, s53, v[40:41]
	v_ashrrev_i32_e32 v3, 31, v2
	v_lshl_add_u64 v[2:3], v[2:3], 3, v[136:137]
	global_load_dwordx2 v[4:5], v[2:3], off
	s_nop 0
	global_load_dwordx2 v[2:3], v[2:3], off offset:512
	s_waitcnt vmcnt(1)
	v_cvt_pk_f16_f32 v1, v4, v5
	s_waitcnt vmcnt(0)
	v_cvt_pk_f16_f32 v2, v2, v3
	v_pk_mul_f16 v1, v1, v238
	v_pk_mul_f16 v2, v2, v238
	ds_write2st64_b32 v240, v1, v2 offset1:1
.LBB29_151:                             ;   in Loop: Header=BB29_14 Depth=1
	s_or_b64 exec, exec, s[34:35]
	v_add_u32_e32 v193, v173, v195
	v_cmp_le_i32_e32 vcc, s76, v193
	s_and_saveexec_b64 s[34:35], vcc
	s_xor_b64 s[34:35], exec, s[34:35]
; %bb.152:                              ;   in Loop: Header=BB29_14 Depth=1
	v_add_u32_e32 v1, v221, v231
	v_add_u32_e32 v1, 64, v1
	ds_write2st64_b32 v1, v43, v43 offset0:8 offset1:9
; %bb.153:                              ;   in Loop: Header=BB29_14 Depth=1
	s_andn2_saveexec_b64 s[34:35], s[34:35]
	s_cbranch_execz .LBB29_155
; %bb.154:                              ;   in Loop: Header=BB29_14 Depth=1
	v_mad_u64_u32 v[2:3], s[36:37], v193, s53, v[40:41]
	v_ashrrev_i32_e32 v3, 31, v2
	v_lshl_add_u64 v[2:3], v[2:3], 3, v[136:137]
	global_load_dwordx2 v[4:5], v[2:3], off
	s_nop 0
	global_load_dwordx2 v[2:3], v[2:3], off offset:512
	s_waitcnt vmcnt(1)
	v_cvt_pk_f16_f32 v1, v4, v5
	s_waitcnt vmcnt(0)
	v_cvt_pk_f16_f32 v2, v2, v3
	v_pk_mul_f16 v1, v1, v238
	v_pk_mul_f16 v2, v2, v238
	v_accvgpr_read_b32 v3, a57
	ds_write2st64_b32 v3, v1, v2 offset1:1
.LBB29_155:                             ;   in Loop: Header=BB29_14 Depth=1
	s_or_b64 exec, exec, s[34:35]
	v_add_u32_e32 v192, v45, v195
	v_cmp_le_i32_e32 vcc, s76, v192
	s_and_saveexec_b64 s[34:35], vcc
	s_xor_b64 s[34:35], exec, s[34:35]
; %bb.156:                              ;   in Loop: Header=BB29_14 Depth=1
	v_add_u32_e32 v1, v221, v231
	v_add_u32_e32 v1, 0x80, v1
	ds_write2st64_b32 v1, v43, v43 offset0:16 offset1:17
; %bb.157:                              ;   in Loop: Header=BB29_14 Depth=1
	s_andn2_saveexec_b64 s[34:35], s[34:35]
	s_cbranch_execz .LBB29_159
; %bb.158:                              ;   in Loop: Header=BB29_14 Depth=1
	v_mad_u64_u32 v[2:3], s[36:37], v192, s53, v[40:41]
	v_ashrrev_i32_e32 v3, 31, v2
	v_lshl_add_u64 v[2:3], v[2:3], 3, v[136:137]
	global_load_dwordx2 v[4:5], v[2:3], off
	s_nop 0
	global_load_dwordx2 v[2:3], v[2:3], off offset:512
	s_waitcnt vmcnt(1)
	v_cvt_pk_f16_f32 v1, v4, v5
	s_waitcnt vmcnt(0)
	v_cvt_pk_f16_f32 v2, v2, v3
	v_pk_mul_f16 v1, v1, v238
	v_pk_mul_f16 v2, v2, v238
	v_accvgpr_read_b32 v3, a60
	ds_write2st64_b32 v3, v1, v2 offset1:1
.LBB29_159:                             ;   in Loop: Header=BB29_14 Depth=1
	s_or_b64 exec, exec, s[34:35]
	v_add_u32_e32 v191, v39, v195
	v_cmp_le_i32_e32 vcc, s76, v191
	s_and_saveexec_b64 s[34:35], vcc
	s_xor_b64 s[34:35], exec, s[34:35]
; %bb.160:                              ;   in Loop: Header=BB29_14 Depth=1
	v_add_u32_e32 v1, v221, v231
	v_add_u32_e32 v1, 0xc0, v1
	ds_write2st64_b32 v1, v43, v43 offset0:24 offset1:25
                                        ; implicit-def: $vgpr136_vgpr137
; %bb.161:                              ;   in Loop: Header=BB29_14 Depth=1
	s_andn2_saveexec_b64 s[34:35], s[34:35]
	s_cbranch_execz .LBB29_163
; %bb.162:                              ;   in Loop: Header=BB29_14 Depth=1
	v_mad_u64_u32 v[2:3], s[36:37], v191, s53, v[40:41]
	v_ashrrev_i32_e32 v3, 31, v2
	v_lshl_add_u64 v[2:3], v[2:3], 3, v[136:137]
	global_load_dwordx2 v[4:5], v[2:3], off
	s_nop 0
	global_load_dwordx2 v[2:3], v[2:3], off offset:512
	s_waitcnt vmcnt(1)
	v_cvt_pk_f16_f32 v1, v4, v5
	s_waitcnt vmcnt(0)
	v_cvt_pk_f16_f32 v2, v2, v3
	v_pk_mul_f16 v1, v1, v238
	v_pk_mul_f16 v2, v2, v238
	v_accvgpr_read_b32 v3, a61
	ds_write2st64_b32 v3, v1, v2 offset1:1
.LBB29_163:                             ;   in Loop: Header=BB29_14 Depth=1
	s_or_b64 exec, exec, s[34:35]
	s_waitcnt lgkmcnt(0)
	s_barrier
	ds_read2_b64 v[30:33], v175 offset1:4
	ds_read2_b64 v[26:29], v175 offset0:8 offset1:12
	ds_read2_b64 v[22:25], v175 offset0:16 offset1:20
	;; [unrolled: 1-line block ×7, first 2 shown]
	v_cmp_gt_i32_e32 vcc, 2, v150
	v_cmp_ne_u64_e64 s[34:35], 0, v[124:125]
	s_waitcnt lgkmcnt(0)
	s_barrier
	s_cbranch_vccnz .LBB29_172
; %bb.164:                              ;   in Loop: Header=BB29_14 Depth=1
	v_mul_hi_u32 v34, s92, v193
	v_add_u32_e32 v34, v193, v34
	v_lshrrev_b32_e32 v34, s93, v34
	v_mul_lo_u32 v34, v34, s76
	v_sub_u32_e32 v36, v193, v34
	v_mul_hi_u32 v34, s92, v192
	v_add_u32_e32 v34, v192, v34
	v_lshrrev_b32_e32 v34, s93, v34
	v_mul_lo_u32 v34, v34, s76
	v_sub_u32_e32 v37, v192, v34
	;; [unrolled: 5-line block ×3, first 2 shown]
	v_and_b32_e32 v34, 64, v239
	v_add_u32_e32 v34, 64, v34
	v_xor_b32_e32 v35, 32, v239
	v_cmp_lt_i32_e32 vcc, v35, v34
	v_mul_hi_u32 v1, s92, v194
	v_add_u32_e32 v1, v194, v1
	v_cndmask_b32_e32 v35, v239, v35, vcc
	v_lshlrev_b32_e32 v228, 2, v35
	v_xor_b32_e32 v35, 16, v239
	v_cmp_lt_i32_e32 vcc, v35, v34
	v_lshrrev_b32_e32 v1, s93, v1
	v_readlane_b32 s36, v255, 47
	v_cndmask_b32_e32 v34, v239, v35, vcc
	v_lshlrev_b32_e32 v190, 2, v34
	v_accvgpr_read_b32 v35, a29
	v_accvgpr_read_b32 v34, a28
	v_mul_lo_u32 v1, v1, s76
	v_lshl_add_u64 v[34:35], v[124:125], 0, v[34:35]
	v_readlane_b32 s37, v255, 48
	s_mov_b32 s38, s36
	v_sub_u32_e32 v1, v194, v1
	v_mad_i64_i32 v[140:141], s[36:37], s38, v36, v[34:35]
	v_mad_i64_i32 v[142:143], s[36:37], s38, v37, v[34:35]
	v_accvgpr_read_b32 v36, a62
	v_mad_i64_i32 v[138:139], s[36:37], s38, v1, v[34:35]
	v_mad_i64_i32 v[144:145], s[36:37], s38, v42, v[34:35]
	v_lshl_add_u64 v[34:35], v[128:129], 0, v[130:131]
	v_accvgpr_read_b32 v37, a63
	v_lshl_add_u64 v[128:129], v[36:37], 0, v[34:35]
	v_accvgpr_read_b32 v36, a64
	v_accvgpr_read_b32 v37, a65
	v_lshl_add_u64 v[130:131], v[36:37], 0, v[34:35]
	v_accvgpr_read_b32 v36, a66
	v_accvgpr_read_b32 v37, a67
	v_lshl_add_u64 v[146:147], v[36:37], 0, v[34:35]
	v_accvgpr_read_b32 v36, a68
	v_accvgpr_read_b32 v37, a69
	v_lshl_add_u64 v[148:149], v[36:37], 0, v[34:35]
	v_accvgpr_read_b32 v36, a70
	v_accvgpr_read_b32 v37, a71
	v_add_u32_e32 v189, -1, v150
	v_lshl_add_u64 v[150:151], v[36:37], 0, v[34:35]
	v_accvgpr_read_b32 v36, a72
	v_accvgpr_read_b32 v37, a73
	v_lshl_add_u64 v[152:153], v[36:37], 0, v[34:35]
	v_accvgpr_read_b32 v36, a74
	v_accvgpr_read_b32 v37, a75
	;; [unrolled: 3-line block ×3, first 2 shown]
	v_lshl_add_u64 v[156:157], v[36:37], 0, v[34:35]
	v_accvgpr_read_b32 v36, a78
	v_lshl_add_u64 v[34:35], v[132:133], 0, v[134:135]
	v_accvgpr_read_b32 v37, a79
	;; [unrolled: 2-line block ×3, first 2 shown]
	v_accvgpr_read_b32 v37, a81
	v_lshl_add_u64 v[134:135], v[36:37], 0, v[34:35]
	v_accvgpr_read_b32 v36, a82
	v_accvgpr_read_b32 v37, a83
	v_lshl_add_u64 v[158:159], v[36:37], 0, v[34:35]
	v_accvgpr_read_b32 v36, a84
	;; [unrolled: 3-line block ×6, first 2 shown]
	v_accvgpr_read_b32 v37, a93
	v_mov_b32_e32 v136, v122
	v_mov_b32_e32 v137, v122
	v_lshl_add_u64 v[168:169], v[36:37], 0, v[34:35]
	v_mov_b32_e32 v220, 0
	v_mov_b32_e32 v91, 0xfeffffff
	;; [unrolled: 1-line block ×35, first 2 shown]
	v_cndmask_b32_e64 v1, 0, 1, s[34:35]
	v_cmp_ne_u32_e64 s[36:37], 1, v1
	s_andn2_b64 vcc, exec, s[34:35]
	s_cbranch_vccnz .LBB29_168
.LBB29_165:                             ;   in Loop: Header=BB29_14 Depth=1
	v_mov_b32_e32 v1, 0
	v_mov_b32_e32 v34, 0
	;; [unrolled: 1-line block ×4, first 2 shown]
	s_and_saveexec_b64 s[38:39], s[0:1]
	s_cbranch_execz .LBB29_167
; %bb.166:                              ;   in Loop: Header=BB29_14 Depth=1
	global_load_ushort v1, v[138:139], off
	global_load_ushort v34, v[140:141], off
	;; [unrolled: 1-line block ×4, first 2 shown]
.LBB29_167:                             ;   in Loop: Header=BB29_14 Depth=1
	s_or_b64 exec, exec, s[38:39]
	s_waitcnt vmcnt(3)
	ds_write_b16 v203, v1 offset:33792
	s_waitcnt vmcnt(2)
	ds_write_b16 v241, v34 offset:33792
	;; [unrolled: 2-line block ×4, first 2 shown]
.LBB29_168:                             ;   Parent Loop BB29_14 Depth=1
                                        ; =>  This Inner Loop Header: Depth=2
	v_lshl_add_u64 v[34:35], v[132:133], 0, v[80:81]
	v_mov_b32_e32 v1, s87
	v_cndmask_b32_e64 v35, v1, v35, s[6:7]
	v_cndmask_b32_e64 v34, v196, v34, s[6:7]
	scratch_store_dwordx4 off, a[4:7], off
	flat_load_dwordx4 v[34:37], v[34:35]
	v_lshl_add_u64 v[92:93], v[134:135], 0, v[80:81]
	v_cndmask_b32_e64 v93, v1, v93, s[8:9]
	v_cndmask_b32_e64 v92, v196, v92, s[8:9]
	s_and_b64 vcc, exec, s[36:37]
	s_waitcnt vmcnt(0) lgkmcnt(0)
	ds_write_b128 v177, v[34:37]
	flat_load_dwordx4 v[34:37], v[92:93]
	v_lshl_add_u64 v[92:93], v[158:159], 0, v[80:81]
	v_cndmask_b32_e64 v93, v1, v93, s[10:11]
	v_cndmask_b32_e64 v92, v196, v92, s[10:11]
	s_waitcnt vmcnt(0) lgkmcnt(0)
	ds_write_b128 v245, v[34:37]
	flat_load_dwordx4 v[34:37], v[92:93]
	v_lshl_add_u64 v[92:93], v[160:161], 0, v[80:81]
	v_cndmask_b32_e64 v93, v1, v93, s[12:13]
	v_cndmask_b32_e64 v92, v196, v92, s[12:13]
	;; [unrolled: 6-line block ×6, first 2 shown]
	s_waitcnt vmcnt(0) lgkmcnt(0)
	ds_write_b128 v237, v[34:37]
	flat_load_dwordx4 v[34:37], v[92:93]
	s_waitcnt vmcnt(0) lgkmcnt(0)
	ds_write_b128 v235, v[34:37]
	s_waitcnt lgkmcnt(0)
	s_barrier
	ds_read2_b64 v[34:37], v178 offset1:4
	s_waitcnt lgkmcnt(0)
	v_mfma_f32_16x16x16_f16 a[0:3], v[34:35], v[30:31], 0
	v_mfma_f32_16x16x16_f16 a[0:3], v[36:37], v[32:33], a[0:3]
	ds_read2_b64 v[34:37], v178 offset0:8 offset1:12
	s_waitcnt lgkmcnt(0)
	v_mfma_f32_16x16x16_f16 a[0:3], v[34:35], v[26:27], a[0:3]
	v_mfma_f32_16x16x16_f16 a[0:3], v[36:37], v[28:29], a[0:3]
	ds_read2_b64 v[34:37], v178 offset0:16 offset1:20
	;; [unrolled: 4-line block ×7, first 2 shown]
	s_waitcnt lgkmcnt(0)
	s_barrier
	v_mfma_f32_16x16x16_f16 a[0:3], v[34:35], v[2:3], a[0:3]
	v_mfma_f32_16x16x16_f16 a[0:3], v[36:37], v[4:5], a[0:3]
	s_cbranch_vccnz .LBB29_170
; %bb.169:                              ;   in Loop: Header=BB29_168 Depth=2
	v_add_u32_e32 v1, 0x8400, v180
	ds_read2_b32 v[92:93], v1 offset1:1
	s_nop 4
	v_accvgpr_read_b32 v37, a3
	v_accvgpr_read_b32 v35, a1
	;; [unrolled: 1-line block ×4, first 2 shown]
	s_waitcnt lgkmcnt(0)
	v_cvt_f32_f16_e32 v94, v92
	v_cvt_f32_f16_sdwa v95, v92 dst_sel:DWORD dst_unused:UNUSED_PAD src0_sel:WORD_1
	v_cvt_f32_f16_e32 v96, v93
	v_cvt_f32_f16_sdwa v97, v93 dst_sel:DWORD dst_unused:UNUSED_PAD src0_sel:WORD_1
	v_mov_b32_e32 v123, v122
	v_pk_fma_f32 v[34:35], v[136:137], v[94:95], v[34:35]
	v_pk_fma_f32 v[36:37], v[122:123], v[96:97], v[36:37]
	s_nop 0
	v_accvgpr_write_b32 a0, v34
	v_accvgpr_write_b32 a1, v35
	;; [unrolled: 1-line block ×4, first 2 shown]
.LBB29_170:                             ;   in Loop: Header=BB29_168 Depth=2
	s_nop 6
	v_accvgpr_read_b32 v95, a3
	v_accvgpr_read_b32 v92, a0
	v_add_f32_e32 v1, 0x40051340, v92
	v_max_f32_e32 v34, v91, v91
	v_max_f32_e32 v1, v34, v1
	v_accvgpr_read_b32 v93, a1
	v_cndmask_b32_e64 v1, v91, v1, s[22:23]
	v_add_f32_e32 v34, 0x40051340, v93
	v_max_f32_e32 v35, v1, v1
	v_max_f32_e32 v34, v35, v34
	v_accvgpr_read_b32 v94, a2
	v_cndmask_b32_e64 v1, v1, v34, s[24:25]
	v_add_f32_e32 v34, 0x40051340, v94
	v_max_f32_e32 v35, v1, v1
	v_max_f32_e32 v34, v35, v34
	v_cndmask_b32_e64 v1, v1, v34, s[26:27]
	v_add_f32_e32 v34, 0x40051340, v95
	v_max_f32_e32 v35, v1, v1
	v_max_f32_e32 v34, v35, v34
	v_cndmask_b32_e64 v1, v1, v34, s[28:29]
	ds_bpermute_b32 v34, v228, v1
	v_max_f32_e32 v1, v1, v1
	v_mov_b32_e32 v112, s87
	scratch_store_dwordx4 off, a[4:7], off
	v_add_u32_e32 v42, -1, v42
	s_waitcnt lgkmcnt(0)
	v_max_f32_e32 v34, v34, v34
	v_max_f32_e32 v1, v1, v34
	ds_bpermute_b32 v34, v190, v1
	v_lshl_add_u64 v[138:139], v[138:139], 0, s[96:97]
	v_lshl_add_u64 v[140:141], v[140:141], 0, s[96:97]
	;; [unrolled: 1-line block ×4, first 2 shown]
	s_waitcnt lgkmcnt(0)
	v_max_f32_e32 v34, v34, v34
	v_max_f32_e32 v37, v1, v34
	v_sub_f32_e32 v1, v92, v37
	v_mul_f32_e32 v34, 0x3fb8aa3b, v1
	v_fma_f32 v35, v1, s3, -v34
	v_rndne_f32_e32 v36, v34
	v_fmac_f32_e32 v35, 0x32a5705f, v1
	v_sub_f32_e32 v34, v34, v36
	v_add_f32_e32 v34, v34, v35
	v_exp_f32_e32 v34, v34
	v_cvt_i32_f32_e32 v35, v36
	v_cmp_ngt_f32_e32 vcc, s4, v1
	v_sub_f32_e32 v91, v91, v37
	v_lshl_add_u64 v[132:133], v[132:133], 0, s[88:89]
	v_ldexp_f32 v34, v34, v35
	v_cndmask_b32_e32 v34, 0, v34, vcc
	v_cmp_nlt_f32_e32 vcc, s77, v1
	v_lshl_add_u64 v[134:135], v[134:135], 0, s[88:89]
	v_lshl_add_u64 v[158:159], v[158:159], 0, s[88:89]
	v_cndmask_b32_e32 v1, v197, v34, vcc
	v_cndmask_b32_e64 v34, 0, v1, s[22:23]
	v_sub_f32_e32 v1, v93, v37
	v_mul_f32_e32 v35, 0x3fb8aa3b, v1
	v_fma_f32 v36, v1, s3, -v35
	v_rndne_f32_e32 v92, v35
	v_fmac_f32_e32 v36, 0x32a5705f, v1
	v_sub_f32_e32 v35, v35, v92
	v_add_f32_e32 v35, v35, v36
	v_exp_f32_e32 v35, v35
	v_cvt_i32_f32_e32 v36, v92
	v_cmp_ngt_f32_e32 vcc, s4, v1
	v_lshl_add_u64 v[160:161], v[160:161], 0, s[88:89]
	v_lshl_add_u64 v[162:163], v[162:163], 0, s[88:89]
	v_ldexp_f32 v35, v35, v36
	v_cndmask_b32_e32 v35, 0, v35, vcc
	v_cmp_nlt_f32_e32 vcc, s77, v1
	v_mov_b32_e32 v1, s85
	v_lshl_add_u64 v[164:165], v[164:165], 0, s[88:89]
	v_cndmask_b32_e32 v35, v197, v35, vcc
	v_add_f32_e32 v36, v35, v34
	v_cndmask_b32_e64 v1, v1, v35, s[24:25]
	v_cndmask_b32_e64 v35, v34, v36, s[24:25]
	v_sub_f32_e32 v36, v94, v37
	v_mul_f32_e32 v92, 0x3fb8aa3b, v36
	v_fma_f32 v93, v36, s3, -v92
	v_rndne_f32_e32 v94, v92
	v_fmac_f32_e32 v93, 0x32a5705f, v36
	v_sub_f32_e32 v92, v92, v94
	v_add_f32_e32 v92, v92, v93
	v_exp_f32_e32 v92, v92
	v_cvt_i32_f32_e32 v93, v94
	v_cmp_ngt_f32_e32 vcc, s4, v36
	v_cvt_pk_f16_f32 v34, v34, v1
	v_lshl_add_u64 v[166:167], v[166:167], 0, s[88:89]
	v_ldexp_f32 v92, v92, v93
	v_cndmask_b32_e32 v92, 0, v92, vcc
	v_cmp_nlt_f32_e32 vcc, s77, v36
	v_mov_b32_e32 v36, s85
	v_lshl_add_u64 v[168:169], v[168:169], 0, s[88:89]
	v_cndmask_b32_e32 v92, v197, v92, vcc
	v_add_f32_e32 v93, v35, v92
	v_cndmask_b32_e64 v36, v36, v92, s[26:27]
	v_cndmask_b32_e64 v92, v35, v93, s[26:27]
	v_sub_f32_e32 v35, v95, v37
	v_mul_f32_e32 v93, 0x3fb8aa3b, v35
	v_fma_f32 v94, v35, s3, -v93
	v_rndne_f32_e32 v95, v93
	v_fmac_f32_e32 v94, 0x32a5705f, v35
	v_sub_f32_e32 v93, v93, v95
	v_add_f32_e32 v93, v93, v94
	v_exp_f32_e32 v93, v93
	v_cvt_i32_f32_e32 v94, v95
	v_cmp_ngt_f32_e32 vcc, s4, v35
	v_ldexp_f32 v93, v93, v94
	s_nop 0
	v_cndmask_b32_e32 v93, 0, v93, vcc
	v_cmp_nlt_f32_e32 vcc, s77, v35
	v_mov_b32_e32 v35, s85
	s_nop 0
	v_cndmask_b32_e32 v93, v197, v93, vcc
	v_add_f32_e32 v94, v92, v93
	v_cndmask_b32_e64 v123, v92, v94, s[28:29]
	v_mul_f32_e32 v92, 0x3fb8aa3b, v91
	v_cndmask_b32_e64 v35, v35, v93, s[28:29]
	v_fma_f32 v93, v91, s3, -v92
	v_rndne_f32_e32 v94, v92
	v_fmac_f32_e32 v93, 0x32a5705f, v91
	v_sub_f32_e32 v92, v92, v94
	v_add_f32_e32 v92, v92, v93
	v_exp_f32_e32 v92, v92
	v_cvt_i32_f32_e32 v93, v94
	v_cmp_ngt_f32_e32 vcc, s4, v91
	v_cvt_pk_f16_f32 v35, v36, v35
	v_ldexp_f32 v92, v92, v93
	v_cndmask_b32_e32 v92, 0, v92, vcc
	v_cmp_nlt_f32_e32 vcc, s77, v91
	s_nop 1
	v_cndmask_b32_e32 v92, v197, v92, vcc
	v_cmp_le_f32_e32 vcc, s5, v91
	s_nop 1
	v_cndmask_b32_e32 v91, 0, v92, vcc
	v_fmac_f32_e32 v123, v90, v91
	v_cvt_f16_f32_e32 v90, v91
	v_cmp_ne_u32_e32 vcc, 0, v42
	s_and_b64 vcc, exec, vcc
	v_mul_u32_u24_e32 v110, 0x10001, v90
	v_pk_mul_f16 v103, v207, v110
	v_pk_mul_f16 v207, v208, v110
	;; [unrolled: 1-line block ×3, first 2 shown]
	v_lshl_add_u64 v[208:209], v[130:131], 0, v[80:81]
	v_pk_mul_f16 v92, v212, v110
	v_pk_mul_f16 v90, v213, v110
	v_cndmask_b32_e64 v213, v112, v209, s[8:9]
	v_cndmask_b32_e64 v212, v196, v208, s[8:9]
	v_lshl_add_u64 v[208:209], v[146:147], 0, v[80:81]
	v_pk_mul_f16 v108, v88, v110
	v_pk_mul_f16 v107, v87, v110
	v_pk_mul_f16 v88, v214, v110
	v_pk_mul_f16 v87, v215, v110
	v_cndmask_b32_e64 v215, v112, v209, s[10:11]
	v_cndmask_b32_e64 v214, v196, v208, s[10:11]
	v_lshl_add_u64 v[208:209], v[148:149], 0, v[80:81]
	v_pk_mul_f16 v106, v86, v110
	v_pk_mul_f16 v105, v85, v110
	v_pk_mul_f16 v86, v216, v110
	v_pk_mul_f16 v85, v217, v110
	v_cndmask_b32_e64 v217, v112, v209, s[12:13]
	v_cndmask_b32_e64 v216, v196, v208, s[12:13]
	v_lshl_add_u64 v[208:209], v[150:151], 0, v[80:81]
	v_pk_mul_f16 v104, v84, v110
	v_pk_mul_f16 v101, v82, v110
	v_pk_mul_f16 v84, v218, v110
	v_pk_mul_f16 v82, v219, v110
	v_cndmask_b32_e64 v219, v112, v209, s[14:15]
	v_cndmask_b32_e64 v218, v196, v208, s[14:15]
	v_lshl_add_u64 v[208:209], v[152:153], 0, v[80:81]
	v_pk_mul_f16 v98, v186, v110
	v_pk_mul_f16 v96, v226, v110
	v_pk_mul_f16 v94, v187, v110
	v_pk_mul_f16 v91, v227, v110
	v_lshl_add_u64 v[186:187], v[128:129], 0, v[80:81]
	v_cndmask_b32_e64 v227, v112, v209, s[16:17]
	v_cndmask_b32_e64 v226, v196, v208, s[16:17]
	v_lshl_add_u64 v[208:209], v[154:155], 0, v[80:81]
	v_pk_mul_f16 v109, v89, v110
	v_pk_mul_f16 v102, v83, v110
	v_pk_mul_f16 v100, v185, v110
	v_pk_mul_f16 v225, v225, v110
	v_pk_mul_f16 v185, v172, v110
	v_pk_mul_f16 v172, v174, v110
	v_pk_mul_f16 v99, v171, v110
	v_pk_mul_f16 v95, v210, v110
	v_pk_mul_f16 v93, v211, v110
	v_pk_mul_f16 v89, v188, v110
	v_pk_mul_f16 v83, v220, v110
	v_cndmask_b32_e64 v187, v112, v187, s[6:7]
	v_cndmask_b32_e64 v186, v196, v186, s[6:7]
	;; [unrolled: 1-line block ×4, first 2 shown]
	v_lshl_add_u64 v[208:209], v[156:157], 0, v[80:81]
	v_cndmask_b32_e64 v113, v112, v209, s[20:21]
	v_cndmask_b32_e64 v112, v196, v208, s[20:21]
	flat_load_dwordx4 v[208:211], v[186:187]
	v_cvt_f32_f16_e32 v186, v207
	v_cvt_f32_f16_sdwa v187, v207 dst_sel:DWORD dst_unused:UNUSED_PAD src0_sel:WORD_1
	v_lshl_add_u64 v[128:129], v[128:129], 0, s[30:31]
	v_lshl_add_u64 v[130:131], v[130:131], 0, s[30:31]
	;; [unrolled: 1-line block ×8, first 2 shown]
	s_waitcnt vmcnt(0) lgkmcnt(0)
	ds_write_b128 v177, v[208:211]
	flat_load_dwordx4 v[208:211], v[212:213]
	s_waitcnt vmcnt(0) lgkmcnt(0)
	ds_write_b128 v245, v[208:211]
	flat_load_dwordx4 v[208:211], v[214:215]
	;; [unrolled: 3-line block ×7, first 2 shown]
	s_waitcnt vmcnt(0) lgkmcnt(0)
	ds_write_b128 v235, v[208:211]
	s_waitcnt lgkmcnt(0)
	s_barrier
	ds_read_u16 v1, v181 offset:528
	ds_read_u16 v36, v181 offset:1056
	ds_read_u16 v110, v182
	ds_read_u16 v112, v182 offset:32
	s_waitcnt lgkmcnt(1)
	v_perm_b32 v111, v110, v36, s82
	ds_read_u16 v36, v181
	ds_read_u16 v113, v181 offset:32
	s_waitcnt lgkmcnt(1)
	v_perm_b32 v110, v1, v36, s82
	v_cvt_f32_f16_e32 v1, v109
	v_cvt_f32_f16_sdwa v36, v109 dst_sel:DWORD dst_unused:UNUSED_PAD src0_sel:WORD_1
	v_cvt_f32_f16_e32 v109, v108
	v_cvt_f32_f16_sdwa v108, v108 dst_sel:DWORD dst_unused:UNUSED_PAD src0_sel:WORD_1
	v_accvgpr_write_b32 a0, v1
	v_accvgpr_write_b32 a1, v36
	;; [unrolled: 1-line block ×4, first 2 shown]
	ds_read_u16 v108, v181 offset:560
	ds_read_u16 v109, v181 offset:1088
	v_mfma_f32_16x16x16_f16 a[0:3], v[110:111], v[34:35], a[0:3]
	s_waitcnt lgkmcnt(1)
	v_perm_b32 v108, v108, v113, s82
	s_waitcnt lgkmcnt(0)
	v_perm_b32 v109, v112, v109, s82
	v_cvt_f32_f16_e32 v112, v107
	v_cvt_f32_f16_sdwa v107, v107 dst_sel:DWORD dst_unused:UNUSED_PAD src0_sel:WORD_1
	v_cvt_f32_f16_e32 v113, v106
	v_cvt_f32_f16_sdwa v106, v106 dst_sel:DWORD dst_unused:UNUSED_PAD src0_sel:WORD_1
	v_accvgpr_read_b32 v36, a1
	v_accvgpr_read_b32 v111, a3
	v_accvgpr_write_b32 a1, v107
	v_accvgpr_write_b32 a3, v106
	ds_read_u16 v106, v181 offset:64
	ds_read_u16 v171, v181 offset:592
	;; [unrolled: 1-line block ×4, first 2 shown]
	v_accvgpr_read_b32 v1, a0
	v_accvgpr_read_b32 v110, a2
	v_accvgpr_write_b32 a0, v112
	v_accvgpr_write_b32 a2, v113
	s_waitcnt lgkmcnt(0)
	v_perm_b32 v107, v174, v107, s82
	v_perm_b32 v106, v171, v106, s82
	v_mfma_f32_16x16x16_f16 a[0:3], v[108:109], v[34:35], a[0:3]
	v_cvt_f32_f16_e32 v171, v105
	v_cvt_f32_f16_sdwa v105, v105 dst_sel:DWORD dst_unused:UNUSED_PAD src0_sel:WORD_1
	v_cvt_f32_f16_e32 v174, v104
	v_cvt_f32_f16_sdwa v104, v104 dst_sel:DWORD dst_unused:UNUSED_PAD src0_sel:WORD_1
	s_nop 3
	v_accvgpr_read_b32 v108, a0
	v_accvgpr_read_b32 v109, a1
	;; [unrolled: 1-line block ×4, first 2 shown]
	v_accvgpr_write_b32 a0, v171
	v_accvgpr_write_b32 a1, v105
	v_accvgpr_write_b32 a2, v174
	v_accvgpr_write_b32 a3, v104
	ds_read_u16 v104, v181 offset:96
	ds_read_u16 v171, v181 offset:624
	;; [unrolled: 1-line block ×4, first 2 shown]
	v_mfma_f32_16x16x16_f16 a[0:3], v[106:107], v[34:35], a[0:3]
	s_waitcnt lgkmcnt(2)
	v_perm_b32 v104, v171, v104, s82
	v_cvt_f32_f16_e32 v171, v103
	s_waitcnt lgkmcnt(0)
	v_perm_b32 v105, v174, v105, s82
	v_cvt_f32_f16_sdwa v103, v103 dst_sel:DWORD dst_unused:UNUSED_PAD src0_sel:WORD_1
	v_cvt_f32_f16_e32 v174, v102
	v_cvt_f32_f16_sdwa v102, v102 dst_sel:DWORD dst_unused:UNUSED_PAD src0_sel:WORD_1
	v_accvgpr_read_b32 v106, a0
	v_accvgpr_read_b32 v107, a1
	;; [unrolled: 1-line block ×4, first 2 shown]
	v_accvgpr_write_b32 a0, v171
	v_accvgpr_write_b32 a1, v103
	v_accvgpr_write_b32 a2, v174
	v_accvgpr_write_b32 a3, v102
	ds_read_u16 v102, v181 offset:128
	ds_read_u16 v171, v181 offset:656
	;; [unrolled: 1-line block ×4, first 2 shown]
	v_mfma_f32_16x16x16_f16 a[0:3], v[104:105], v[34:35], a[0:3]
	s_waitcnt lgkmcnt(2)
	v_perm_b32 v102, v171, v102, s82
	v_cvt_f32_f16_e32 v171, v101
	s_waitcnt lgkmcnt(0)
	v_perm_b32 v103, v174, v103, s82
	v_cvt_f32_f16_sdwa v101, v101 dst_sel:DWORD dst_unused:UNUSED_PAD src0_sel:WORD_1
	v_cvt_f32_f16_e32 v174, v100
	v_cvt_f32_f16_sdwa v100, v100 dst_sel:DWORD dst_unused:UNUSED_PAD src0_sel:WORD_1
	v_accvgpr_read_b32 v104, a0
	v_accvgpr_read_b32 v105, a1
	;; [unrolled: 1-line block ×4, first 2 shown]
	v_accvgpr_write_b32 a0, v171
	v_accvgpr_write_b32 a1, v101
	;; [unrolled: 1-line block ×4, first 2 shown]
	ds_read_u16 v100, v181 offset:160
	ds_read_u16 v171, v181 offset:688
	ds_read_u16 v101, v181 offset:1216
	ds_read_u16 v174, v182 offset:160
	v_mfma_f32_16x16x16_f16 a[0:3], v[102:103], v[34:35], a[0:3]
	s_waitcnt lgkmcnt(2)
	v_perm_b32 v100, v171, v100, s82
	v_cvt_f32_f16_e32 v171, v225
	s_waitcnt lgkmcnt(0)
	v_perm_b32 v101, v174, v101, s82
	v_cvt_f32_f16_sdwa v174, v225 dst_sel:DWORD dst_unused:UNUSED_PAD src0_sel:WORD_1
	s_nop 1
	v_accvgpr_read_b32 v102, a0
	v_accvgpr_read_b32 v103, a1
	;; [unrolled: 1-line block ×4, first 2 shown]
	v_accvgpr_write_b32 a0, v171
	v_accvgpr_write_b32 a1, v174
	;; [unrolled: 1-line block ×4, first 2 shown]
	s_nop 1
	v_mfma_f32_16x16x16_f16 a[0:3], v[100:101], v[34:35], a[0:3]
	ds_read_u16 v100, v181 offset:192
	ds_read_u16 v171, v181 offset:720
	;; [unrolled: 1-line block ×4, first 2 shown]
	s_waitcnt lgkmcnt(2)
	v_perm_b32 v100, v171, v100, s82
	v_cvt_f32_f16_e32 v171, v185
	s_waitcnt lgkmcnt(0)
	v_perm_b32 v101, v174, v101, s82
	v_cvt_f32_f16_sdwa v174, v185 dst_sel:DWORD dst_unused:UNUSED_PAD src0_sel:WORD_1
	v_cvt_f32_f16_e32 v185, v172
	v_cvt_f32_f16_sdwa v172, v172 dst_sel:DWORD dst_unused:UNUSED_PAD src0_sel:WORD_1
	v_accvgpr_read_b32 v207, a0
	v_accvgpr_read_b32 v208, a1
	;; [unrolled: 1-line block ×4, first 2 shown]
	v_accvgpr_write_b32 a0, v171
	v_accvgpr_write_b32 a1, v174
	;; [unrolled: 1-line block ×4, first 2 shown]
	s_nop 1
	v_mfma_f32_16x16x16_f16 a[0:3], v[100:101], v[34:35], a[0:3]
	ds_read_u16 v100, v181 offset:224
	ds_read_u16 v171, v181 offset:752
	;; [unrolled: 1-line block ×4, first 2 shown]
	s_waitcnt lgkmcnt(2)
	v_perm_b32 v100, v171, v100, s82
	v_cvt_f32_f16_e32 v171, v99
	s_waitcnt lgkmcnt(0)
	v_perm_b32 v101, v186, v101, s82
	v_cvt_f32_f16_sdwa v99, v99 dst_sel:DWORD dst_unused:UNUSED_PAD src0_sel:WORD_1
	v_cvt_f32_f16_e32 v186, v98
	v_cvt_f32_f16_sdwa v98, v98 dst_sel:DWORD dst_unused:UNUSED_PAD src0_sel:WORD_1
	v_accvgpr_read_b32 v172, a0
	v_accvgpr_read_b32 v174, a1
	v_accvgpr_read_b32 v225, a3
	v_accvgpr_write_b32 a0, v171
	v_accvgpr_write_b32 a1, v99
	;; [unrolled: 1-line block ×3, first 2 shown]
	ds_read_u16 v98, v181 offset:256
	ds_read_u16 v171, v181 offset:784
	;; [unrolled: 1-line block ×4, first 2 shown]
	v_accvgpr_read_b32 v185, a2
	v_accvgpr_write_b32 a2, v186
	s_waitcnt lgkmcnt(2)
	v_perm_b32 v98, v171, v98, s82
	v_cvt_f32_f16_e32 v171, v97
	v_mfma_f32_16x16x16_f16 a[0:3], v[100:101], v[34:35], a[0:3]
	s_waitcnt lgkmcnt(0)
	v_perm_b32 v99, v187, v99, s82
	v_cvt_f32_f16_sdwa v97, v97 dst_sel:DWORD dst_unused:UNUSED_PAD src0_sel:WORD_1
	v_cvt_f32_f16_e32 v187, v96
	v_cvt_f32_f16_sdwa v96, v96 dst_sel:DWORD dst_unused:UNUSED_PAD src0_sel:WORD_1
	v_cvt_pk_f16_f32 v172, v172, v174
	v_cvt_pk_f16_f32 v174, v185, v225
	;; [unrolled: 1-line block ×4, first 2 shown]
	v_accvgpr_read_b32 v101, a1
	v_accvgpr_read_b32 v186, a2
	;; [unrolled: 1-line block ×3, first 2 shown]
	v_accvgpr_write_b32 a1, v97
	v_accvgpr_write_b32 a2, v187
	;; [unrolled: 1-line block ×3, first 2 shown]
	ds_read_u16 v96, v181 offset:288
	ds_read_u16 v187, v181 offset:816
	ds_read_u16 v97, v181 offset:1344
	ds_read_u16 v188, v182 offset:288
	v_accvgpr_read_b32 v100, a0
	v_accvgpr_write_b32 a0, v171
	s_waitcnt lgkmcnt(2)
	v_perm_b32 v96, v187, v96, s82
	v_cvt_f32_f16_e32 v187, v95
	v_mfma_f32_16x16x16_f16 a[0:3], v[98:99], v[34:35], a[0:3]
	s_waitcnt lgkmcnt(0)
	v_perm_b32 v97, v188, v97, s82
	v_cvt_f32_f16_sdwa v95, v95 dst_sel:DWORD dst_unused:UNUSED_PAD src0_sel:WORD_1
	v_cvt_f32_f16_e32 v188, v94
	v_cvt_f32_f16_sdwa v94, v94 dst_sel:DWORD dst_unused:UNUSED_PAD src0_sel:WORD_1
	v_cvt_pk_f16_f32 v186, v186, v206
	v_cvt_pk_f16_f32 v185, v198, v224
	;; [unrolled: 1-line block ×3, first 2 shown]
	v_accvgpr_read_b32 v99, a1
	v_accvgpr_read_b32 v171, a2
	v_accvgpr_read_b32 v226, a3
	v_accvgpr_write_b32 a1, v95
	v_accvgpr_write_b32 a2, v188
	v_accvgpr_write_b32 a3, v94
	ds_read_u16 v94, v181 offset:320
	ds_read_u16 v188, v181 offset:848
	ds_read_u16 v95, v181 offset:1376
	ds_read_u16 v210, v182 offset:320
	v_accvgpr_read_b32 v98, a0
	v_accvgpr_write_b32 a0, v187
	s_waitcnt lgkmcnt(2)
	v_perm_b32 v94, v188, v94, s82
	v_cvt_f32_f16_e32 v188, v93
	v_mfma_f32_16x16x16_f16 a[0:3], v[96:97], v[34:35], a[0:3]
	s_waitcnt lgkmcnt(0)
	v_perm_b32 v95, v210, v95, s82
	v_cvt_f32_f16_sdwa v93, v93 dst_sel:DWORD dst_unused:UNUSED_PAD src0_sel:WORD_1
	v_cvt_f32_f16_e32 v210, v92
	v_cvt_f32_f16_sdwa v92, v92 dst_sel:DWORD dst_unused:UNUSED_PAD src0_sel:WORD_1
	v_cvt_pk_f16_f32 v226, v171, v226
	v_cvt_pk_f16_f32 v171, v100, v101
	s_nop 0
	v_accvgpr_read_b32 v96, a0
	v_accvgpr_read_b32 v97, a1
	v_accvgpr_read_b32 v209, a3
	v_accvgpr_write_b32 a0, v188
	v_accvgpr_write_b32 a1, v93
	v_accvgpr_write_b32 a3, v92
	ds_read_u16 v92, v181 offset:352
	ds_read_u16 v188, v181 offset:880
	ds_read_u16 v93, v181 offset:1408
	ds_read_u16 v211, v182 offset:352
	v_accvgpr_read_b32 v187, a2
	v_accvgpr_write_b32 a2, v210
	s_waitcnt lgkmcnt(2)
	v_perm_b32 v92, v188, v92, s82
	v_cvt_f32_f16_e32 v188, v91
	v_mfma_f32_16x16x16_f16 a[0:3], v[94:95], v[34:35], a[0:3]
	s_waitcnt lgkmcnt(0)
	v_perm_b32 v93, v211, v93, s82
	v_cvt_f32_f16_sdwa v91, v91 dst_sel:DWORD dst_unused:UNUSED_PAD src0_sel:WORD_1
	v_cvt_f32_f16_e32 v211, v90
	v_cvt_f32_f16_sdwa v90, v90 dst_sel:DWORD dst_unused:UNUSED_PAD src0_sel:WORD_1
	v_cvt_pk_f16_f32 v187, v187, v209
	v_cvt_pk_f16_f32 v209, v98, v99
	s_nop 0
	;; [unrolled: 24-line block ×5, first 2 shown]
	v_accvgpr_read_b32 v89, a1
	v_accvgpr_read_b32 v188, a2
	;; [unrolled: 1-line block ×3, first 2 shown]
	v_accvgpr_write_b32 a1, v85
	v_accvgpr_write_b32 a2, v217
	;; [unrolled: 1-line block ×3, first 2 shown]
	ds_read_u16 v84, v181 offset:480
	ds_read_u16 v217, v181 offset:1008
	;; [unrolled: 1-line block ×4, first 2 shown]
	v_accvgpr_read_b32 v88, a0
	v_accvgpr_write_b32 a0, v215
	s_waitcnt lgkmcnt(2)
	v_perm_b32 v84, v217, v84, s82
	v_cvt_f32_f16_e32 v217, v83
	v_mfma_f32_16x16x16_f16 a[0:3], v[86:87], v[34:35], a[0:3]
	s_waitcnt lgkmcnt(0)
	v_perm_b32 v85, v219, v85, s82
	v_cvt_f32_f16_sdwa v83, v83 dst_sel:DWORD dst_unused:UNUSED_PAD src0_sel:WORD_1
	v_cvt_f32_f16_e32 v219, v82
	v_cvt_f32_f16_sdwa v82, v82 dst_sel:DWORD dst_unused:UNUSED_PAD src0_sel:WORD_1
	v_cvt_pk_f16_f32 v216, v188, v216
	v_cvt_pk_f16_f32 v188, v90, v91
	s_barrier
	v_accvgpr_read_b32 v86, a0
	v_accvgpr_read_b32 v87, a1
	;; [unrolled: 1-line block ×4, first 2 shown]
	v_accvgpr_write_b32 a0, v217
	v_accvgpr_write_b32 a1, v83
	;; [unrolled: 1-line block ×4, first 2 shown]
	v_cvt_pk_f16_f32 v217, v86, v87
	v_cvt_pk_f16_f32 v218, v215, v218
	v_mfma_f32_16x16x16_f16 a[0:3], v[84:85], v[34:35], a[0:3]
	v_cvt_pk_f16_f32 v215, v88, v89
	v_cvt_pk_f16_f32 v85, v106, v107
	;; [unrolled: 1-line block ×7, first 2 shown]
	s_nop 0
	v_accvgpr_read_b32 v34, a0
	v_accvgpr_read_b32 v35, a1
	v_accvgpr_read_b32 v82, a2
	v_accvgpr_read_b32 v83, a3
	v_cvt_pk_f16_f32 v220, v34, v35
	v_cvt_pk_f16_f32 v219, v82, v83
	;; [unrolled: 1-line block ×4, first 2 shown]
	s_cbranch_vccz .LBB29_173
; %bb.171:                              ;   in Loop: Header=BB29_168 Depth=2
	v_mov_b32_e32 v90, v123
	v_mov_b32_e32 v91, v37
	v_cndmask_b32_e64 v1, 0, 1, s[34:35]
	v_cmp_ne_u32_e64 s[36:37], 1, v1
	s_andn2_b64 vcc, exec, s[34:35]
	s_cbranch_vccz .LBB29_165
	s_branch .LBB29_168
.LBB29_172:                             ;   in Loop: Header=BB29_14 Depth=1
	v_mov_b32_e32 v37, 0xfeffffff
	v_mov_b32_e32 v123, 0
	;; [unrolled: 1-line block ×35, first 2 shown]
	s_branch .LBB29_174
.LBB29_173:                             ;   in Loop: Header=BB29_14 Depth=1
	v_lshlrev_b32_e32 v34, 6, v189
.LBB29_174:                             ;   in Loop: Header=BB29_14 Depth=1
	v_readlane_b32 s34, v255, 4
	v_cmp_eq_u64_e32 vcc, 0, v[124:125]
	v_cmp_ne_u64_e64 s[50:51], 0, v[124:125]
	v_sub_u32_e32 v1, s34, v34
	v_readlane_b32 s35, v255, 5
	s_cbranch_vccnz .LBB29_180
; %bb.175:                              ;   in Loop: Header=BB29_14 Depth=1
	v_mov_b32_e32 v35, v43
	v_cmp_ge_i32_e32 vcc, v40, v1
	s_and_saveexec_b64 s[34:35], vcc
	s_xor_b64 s[34:35], exec, s[34:35]
	s_cbranch_execz .LBB29_177
; %bb.176:                              ;   in Loop: Header=BB29_14 Depth=1
	ds_write_b16 v203, v43 offset:33792
	ds_write_b16 v241, v43 offset:33792
                                        ; implicit-def: $vgpr124_vgpr125
                                        ; implicit-def: $vgpr194
                                        ; implicit-def: $vgpr193
                                        ; implicit-def: $vgpr192
                                        ; implicit-def: $vgpr191
.LBB29_177:                             ;   in Loop: Header=BB29_14 Depth=1
	s_or_saveexec_b64 s[34:35], s[34:35]
	v_mov_b32_e32 v36, 0
	v_mov_b32_e32 v42, 0
	s_xor_b64 exec, exec, s[34:35]
	s_cbranch_execz .LBB29_179
; %bb.178:                              ;   in Loop: Header=BB29_14 Depth=1
	v_lshlrev_b64 v[90:91], 1, v[34:35]
	v_mul_hi_u32 v35, s92, v194
	v_add_u32_e32 v35, v194, v35
	v_lshrrev_b32_e32 v35, s93, v35
	v_mul_hi_u32 v36, s92, v193
	v_mul_lo_u32 v35, v35, s76
	v_readlane_b32 s36, v255, 45
	v_add_u32_e32 v36, v193, v36
	v_lshl_add_u64 v[90:91], v[124:125], 0, v[90:91]
	v_lshlrev_b32_e32 v42, 1, v40
	v_sub_u32_e32 v35, v194, v35
	v_readlane_b32 s37, v255, 46
	s_mov_b32 s38, s36
	v_lshrrev_b32_e32 v36, s93, v36
	v_lshl_add_u64 v[90:91], v[90:91], 0, v[42:43]
	v_mad_i64_i32 v[92:93], s[36:37], v35, s38, 0
	v_mul_lo_u32 v36, v36, s76
	v_lshl_add_u64 v[92:93], v[92:93], 1, v[90:91]
	v_sub_u32_e32 v36, v193, v36
	global_load_ushort v35, v[92:93], off
	v_mad_i64_i32 v[92:93], s[36:37], v36, s38, 0
	v_lshl_add_u64 v[92:93], v[92:93], 1, v[90:91]
	global_load_ushort v36, v[92:93], off
	s_waitcnt vmcnt(1)
	ds_write_b16 v203, v35 offset:33792
	s_waitcnt vmcnt(0)
	ds_write_b16 v241, v36 offset:33792
	v_mul_hi_u32 v35, s92, v192
	v_add_u32_e32 v35, v192, v35
	v_lshrrev_b32_e32 v35, s93, v35
	v_mul_lo_u32 v35, v35, s76
	v_sub_u32_e32 v35, v192, v35
	v_mad_i64_i32 v[92:93], s[36:37], v35, s38, 0
	v_mul_hi_u32 v35, s92, v191
	v_add_u32_e32 v35, v191, v35
	v_lshrrev_b32_e32 v35, s93, v35
	v_mul_lo_u32 v35, v35, s76
	v_lshl_add_u64 v[92:93], v[92:93], 1, v[90:91]
	v_sub_u32_e32 v35, v191, v35
	global_load_ushort v36, v[92:93], off
	v_mad_i64_i32 v[92:93], s[36:37], v35, s38, 0
	v_lshl_add_u64 v[90:91], v[92:93], 1, v[90:91]
	global_load_ushort v42, v[90:91], off
.LBB29_179:                             ;   in Loop: Header=BB29_14 Depth=1
	s_or_b64 exec, exec, s[34:35]
	s_waitcnt vmcnt(1)
	ds_write_b16 v242, v36 offset:33792
	s_waitcnt vmcnt(0)
	ds_write_b16 v243, v42 offset:33792
.LBB29_180:                             ;   in Loop: Header=BB29_14 Depth=1
	v_mul_lo_u32 v35, v34, s91
	v_mul_hi_u32 v36, v34, s90
	v_add_u32_e32 v91, v36, v35
	v_mul_lo_u32 v90, v34, s90
	v_lshlrev_b64 v[90:91], 2, v[90:91]
	v_lshl_add_u64 v[94:95], v[126:127], 0, v[90:91]
	v_lshl_add_u64 v[90:91], v[48:49], 2, v[94:95]
	v_lshlrev_b32_e32 v42, 2, v44
	v_lshl_add_u64 v[90:91], v[90:91], 0, v[42:43]
	v_mov_b32_e32 v35, s87
	v_cmp_lt_i32_e64 s[34:35], v176, v1
	scratch_store_dwordx4 off, a[4:7], off
	v_lshl_add_u64 v[96:97], v[50:51], 2, v[94:95]
	v_cndmask_b32_e64 v91, v35, v91, s[34:35]
	v_cndmask_b32_e64 v90, v196, v90, s[34:35]
	flat_load_dwordx4 v[90:93], v[90:91]
	v_lshl_add_u64 v[96:97], v[96:97], 0, v[42:43]
	v_cmp_lt_i32_e64 s[36:37], v244, v1
	v_cmp_lt_i32_e64 s[38:39], v246, v1
	;; [unrolled: 1-line block ×3, first 2 shown]
	v_cndmask_b32_e64 v97, v35, v97, s[36:37]
	v_cndmask_b32_e64 v96, v196, v96, s[36:37]
	v_cmp_lt_i32_e64 s[42:43], v250, v1
	v_cmp_lt_i32_e64 s[44:45], v252, v1
	;; [unrolled: 1-line block ×4, first 2 shown]
	s_andn2_b64 vcc, exec, s[50:51]
	s_waitcnt vmcnt(0) lgkmcnt(0)
	ds_write_b128 v177, v[90:93]
	flat_load_dwordx4 v[90:93], v[96:97]
	v_lshl_add_u64 v[96:97], v[52:53], 2, v[94:95]
	v_lshl_add_u64 v[96:97], v[96:97], 0, v[42:43]
	v_cndmask_b32_e64 v97, v35, v97, s[38:39]
	v_cndmask_b32_e64 v96, v196, v96, s[38:39]
	s_waitcnt vmcnt(0) lgkmcnt(0)
	ds_write_b128 v245, v[90:93]
	flat_load_dwordx4 v[90:93], v[96:97]
	v_lshl_add_u64 v[96:97], v[54:55], 2, v[94:95]
	v_lshl_add_u64 v[96:97], v[96:97], 0, v[42:43]
	v_cndmask_b32_e64 v97, v35, v97, s[40:41]
	v_cndmask_b32_e64 v96, v196, v96, s[40:41]
	;; [unrolled: 7-line block ×5, first 2 shown]
	v_lshl_add_u64 v[94:95], v[62:63], 2, v[94:95]
	v_lshl_add_u64 v[94:95], v[94:95], 0, v[42:43]
	v_cndmask_b32_e64 v95, v35, v95, s[48:49]
	v_cndmask_b32_e64 v94, v196, v94, s[48:49]
	s_waitcnt vmcnt(0) lgkmcnt(0)
	ds_write_b128 v253, v[90:93]
	flat_load_dwordx4 v[90:93], v[96:97]
	s_waitcnt vmcnt(0) lgkmcnt(0)
	ds_write_b128 v237, v[90:93]
	flat_load_dwordx4 v[90:93], v[94:95]
	s_waitcnt vmcnt(0) lgkmcnt(0)
	ds_write_b128 v235, v[90:93]
	s_waitcnt lgkmcnt(0)
	s_barrier
	ds_read2_b64 v[90:93], v178 offset1:4
	s_waitcnt lgkmcnt(0)
	v_mfma_f32_16x16x16_f16 a[0:3], v[90:91], v[30:31], 0
	v_mfma_f32_16x16x16_f16 a[0:3], v[92:93], v[32:33], a[0:3]
	ds_read2_b64 v[30:33], v178 offset0:8 offset1:12
	s_waitcnt lgkmcnt(0)
	v_mfma_f32_16x16x16_f16 a[0:3], v[30:31], v[26:27], a[0:3]
	v_mfma_f32_16x16x16_f16 a[0:3], v[32:33], v[28:29], a[0:3]
	ds_read2_b64 v[26:29], v178 offset0:16 offset1:20
	;; [unrolled: 4-line block ×7, first 2 shown]
	s_waitcnt lgkmcnt(0)
	s_barrier
	v_mfma_f32_16x16x16_f16 a[0:3], v[6:7], v[2:3], a[0:3]
	v_mfma_f32_16x16x16_f16 a[0:3], v[8:9], v[4:5], a[0:3]
	s_cbranch_vccnz .LBB29_182
; %bb.181:                              ;   in Loop: Header=BB29_14 Depth=1
	v_add_u32_e32 v6, 0x8400, v180
	ds_read2_b32 v[6:7], v6 offset1:1
	s_nop 4
	v_accvgpr_read_b32 v5, a3
	v_accvgpr_read_b32 v3, a1
	;; [unrolled: 1-line block ×4, first 2 shown]
	s_waitcnt lgkmcnt(0)
	v_cvt_f32_f16_e32 v8, v6
	v_cvt_f32_f16_sdwa v9, v6 dst_sel:DWORD dst_unused:UNUSED_PAD src0_sel:WORD_1
	v_cvt_f32_f16_e32 v10, v7
	v_cvt_f32_f16_sdwa v11, v7 dst_sel:DWORD dst_unused:UNUSED_PAD src0_sel:WORD_1
	v_pk_fma_f32 v[2:3], v[122:123], v[8:9], v[2:3] op_sel_hi:[0,1,1]
	v_pk_fma_f32 v[4:5], v[122:123], v[10:11], v[4:5] op_sel_hi:[0,1,1]
	v_accvgpr_write_b32 a0, v2
	v_accvgpr_write_b32 a1, v3
	;; [unrolled: 1-line block ×4, first 2 shown]
.LBB29_182:                             ;   in Loop: Header=BB29_14 Depth=1
	s_nop 6
	v_accvgpr_read_b32 v13, a3
	v_accvgpr_read_b32 v10, a0
	v_add_f32_e32 v2, 0x40051340, v10
	v_max_f32_e32 v3, v37, v37
	v_cmp_lt_u32_e32 vcc, v179, v1
	v_max_f32_e32 v2, v3, v2
	v_accvgpr_read_b32 v11, a1
	v_cndmask_b32_e32 v2, v37, v2, vcc
	v_add_f32_e32 v3, 0x40051340, v11
	v_max_f32_e32 v4, v2, v2
	v_cmp_lt_u32_e64 s[50:51], v234, v1
	v_max_f32_e32 v3, v4, v3
	v_accvgpr_read_b32 v12, a2
	v_cndmask_b32_e64 v2, v2, v3, s[50:51]
	v_add_f32_e32 v3, 0x40051340, v12
	v_max_f32_e32 v4, v2, v2
	v_cmp_lt_u32_e64 s[54:55], v233, v1
	v_max_f32_e32 v3, v4, v3
	v_cmp_lt_u32_e64 s[56:57], v232, v1
	v_cndmask_b32_e64 v2, v2, v3, s[54:55]
	v_add_f32_e32 v1, 0x40051340, v13
	v_max_f32_e32 v3, v2, v2
	v_max_f32_e32 v1, v3, v1
	v_cndmask_b32_e64 v1, v2, v1, s[56:57]
	v_and_b32_e32 v2, 64, v239
	v_add_u32_e32 v2, 64, v2
	v_xor_b32_e32 v3, 32, v239
	v_cmp_lt_i32_e64 s[58:59], v3, v2
	v_mul_hi_u32 v28, v34, s78
	scratch_store_dwordx4 off, a[4:7], off
	v_cndmask_b32_e64 v3, v239, v3, s[58:59]
	v_lshlrev_b32_e32 v5, 2, v3
	ds_bpermute_b32 v3, v5, v1
	v_max_f32_e32 v1, v1, v1
	s_waitcnt lgkmcnt(0)
	v_max_f32_e32 v3, v3, v3
	v_max_f32_e32 v1, v1, v3
	v_xor_b32_e32 v3, 16, v239
	v_cmp_lt_i32_e64 s[58:59], v3, v2
	s_nop 1
	v_cndmask_b32_e64 v2, v239, v3, s[58:59]
	v_lshlrev_b32_e32 v8, 2, v2
	ds_bpermute_b32 v2, v8, v1
	s_waitcnt lgkmcnt(0)
	v_max_f32_e32 v2, v2, v2
	v_max_f32_e32 v6, v1, v2
	v_sub_f32_e32 v1, v10, v6
	v_mul_f32_e32 v2, 0x3fb8aa3b, v1
	v_fma_f32 v3, v1, s3, -v2
	v_rndne_f32_e32 v4, v2
	v_fmac_f32_e32 v3, 0x32a5705f, v1
	v_sub_f32_e32 v2, v2, v4
	v_add_f32_e32 v2, v2, v3
	v_exp_f32_e32 v2, v2
	v_cvt_i32_f32_e32 v3, v4
	v_cmp_ngt_f32_e64 s[58:59], s4, v1
	v_ldexp_f32 v2, v2, v3
	s_nop 0
	v_cndmask_b32_e64 v2, 0, v2, s[58:59]
	v_cmp_nlt_f32_e64 s[58:59], s77, v1
	s_nop 1
	v_cndmask_b32_e64 v1, v197, v2, s[58:59]
	v_cndmask_b32_e32 v2, 0, v1, vcc
	v_sub_f32_e32 v1, v11, v6
	v_mul_f32_e32 v3, 0x3fb8aa3b, v1
	v_fma_f32 v4, v1, s3, -v3
	v_rndne_f32_e32 v7, v3
	v_fmac_f32_e32 v4, 0x32a5705f, v1
	v_sub_f32_e32 v3, v3, v7
	v_add_f32_e32 v3, v3, v4
	v_exp_f32_e32 v3, v3
	v_cvt_i32_f32_e32 v4, v7
	v_cmp_ngt_f32_e32 vcc, s4, v1
	v_ldexp_f32 v3, v3, v4
	s_nop 0
	v_cndmask_b32_e32 v3, 0, v3, vcc
	v_cmp_nlt_f32_e32 vcc, s77, v1
	v_mov_b32_e32 v1, s85
	s_nop 0
	v_cndmask_b32_e32 v3, v197, v3, vcc
	v_add_f32_e32 v4, v3, v2
	v_cndmask_b32_e64 v1, v1, v3, s[50:51]
	v_cndmask_b32_e64 v3, v2, v4, s[50:51]
	v_sub_f32_e32 v4, v12, v6
	v_mul_f32_e32 v7, 0x3fb8aa3b, v4
	v_fma_f32 v9, v4, s3, -v7
	v_rndne_f32_e32 v10, v7
	v_fmac_f32_e32 v9, 0x32a5705f, v4
	v_sub_f32_e32 v7, v7, v10
	v_add_f32_e32 v7, v7, v9
	v_exp_f32_e32 v7, v7
	v_cvt_i32_f32_e32 v9, v10
	v_cmp_ngt_f32_e32 vcc, s4, v4
	v_cvt_pk_f16_f32 v2, v2, v1
	v_ldexp_f32 v7, v7, v9
	v_cndmask_b32_e32 v7, 0, v7, vcc
	v_cmp_nlt_f32_e32 vcc, s77, v4
	v_mov_b32_e32 v4, s85
	s_nop 0
	v_cndmask_b32_e32 v7, v197, v7, vcc
	v_add_f32_e32 v9, v3, v7
	v_cndmask_b32_e64 v4, v4, v7, s[54:55]
	v_cndmask_b32_e64 v7, v3, v9, s[54:55]
	v_sub_f32_e32 v3, v13, v6
	v_mul_f32_e32 v9, 0x3fb8aa3b, v3
	v_fma_f32 v10, v3, s3, -v9
	v_rndne_f32_e32 v11, v9
	v_fmac_f32_e32 v10, 0x32a5705f, v3
	v_sub_f32_e32 v9, v9, v11
	v_add_f32_e32 v9, v9, v10
	v_exp_f32_e32 v9, v9
	v_cvt_i32_f32_e32 v10, v11
	v_cmp_ngt_f32_e32 vcc, s4, v3
	v_ldexp_f32 v9, v9, v10
	s_nop 0
	v_cndmask_b32_e32 v9, 0, v9, vcc
	v_cmp_nlt_f32_e32 vcc, s77, v3
	v_mov_b32_e32 v3, s85
	s_nop 0
	v_cndmask_b32_e32 v9, v197, v9, vcc
	v_add_f32_e32 v10, v7, v9
	v_cndmask_b32_e64 v3, v3, v9, s[56:57]
	v_sub_f32_e32 v9, v37, v6
	v_cndmask_b32_e64 v7, v7, v10, s[56:57]
	v_mul_f32_e32 v10, 0x3fb8aa3b, v9
	v_fma_f32 v11, v9, s3, -v10
	v_rndne_f32_e32 v12, v10
	v_fmac_f32_e32 v11, 0x32a5705f, v9
	v_sub_f32_e32 v10, v10, v12
	v_add_f32_e32 v10, v10, v11
	v_exp_f32_e32 v10, v10
	v_cvt_i32_f32_e32 v11, v12
	v_cmp_ngt_f32_e32 vcc, s4, v9
	v_cvt_pk_f16_f32 v3, v4, v3
	v_ldexp_f32 v10, v10, v11
	v_cndmask_b32_e32 v10, 0, v10, vcc
	v_cmp_nlt_f32_e32 vcc, s77, v9
	s_nop 1
	v_cndmask_b32_e32 v10, v197, v10, vcc
	v_cmp_le_f32_e32 vcc, s5, v9
	s_nop 1
	v_cndmask_b32_e32 v9, 0, v10, vcc
	v_fmac_f32_e32 v7, v123, v9
	v_cvt_f16_f32_e32 v9, v9
	v_cmp_ne_u64_e32 vcc, 0, v[118:119]
	v_mul_u32_u24_e32 v27, 0x10001, v9
	v_pk_mul_f16 v23, v89, v27
	v_pk_mul_f16 v22, v88, v27
	;; [unrolled: 1-line block ×32, first 2 shown]
	v_mul_lo_u32 v27, v34, s79
	v_add_u32_e32 v29, v28, v27
	v_mul_lo_u32 v28, v34, s78
	v_lshlrev_b64 v[28:29], 2, v[28:29]
	v_lshl_add_u64 v[28:29], v[120:121], 0, v[28:29]
	v_lshl_add_u64 v[100:101], v[70:71], 2, v[28:29]
	v_mov_b32_e32 v27, s87
	v_lshl_add_u64 v[100:101], v[100:101], 0, v[42:43]
	v_cndmask_b32_e64 v105, v27, v101, s[40:41]
	v_cndmask_b32_e64 v104, v196, v100, s[40:41]
	v_lshl_add_u64 v[100:101], v[72:73], 2, v[28:29]
	v_lshl_add_u64 v[100:101], v[100:101], 0, v[42:43]
	v_cndmask_b32_e64 v107, v27, v101, s[42:43]
	v_cndmask_b32_e64 v106, v196, v100, s[42:43]
	v_lshl_add_u64 v[100:101], v[74:75], 2, v[28:29]
	v_lshl_add_u64 v[32:33], v[64:65], 2, v[28:29]
	;; [unrolled: 1-line block ×4, first 2 shown]
	v_cndmask_b32_e64 v109, v27, v101, s[44:45]
	v_cndmask_b32_e64 v108, v196, v100, s[44:45]
	v_lshl_add_u64 v[100:101], v[76:77], 2, v[28:29]
	v_cndmask_b32_e64 v33, v27, v33, s[34:35]
	v_cndmask_b32_e64 v32, v196, v32, s[34:35]
	v_lshl_add_u64 v[100:101], v[100:101], 0, v[42:43]
	v_cndmask_b32_e64 v111, v27, v101, s[46:47]
	v_cndmask_b32_e64 v110, v196, v100, s[46:47]
	flat_load_dwordx4 v[100:103], v[32:33]
	v_lshl_add_u64 v[36:37], v[66:67], 2, v[28:29]
	v_lshl_add_u64 v[36:37], v[36:37], 0, v[42:43]
	v_cndmask_b32_e64 v37, v27, v37, s[36:37]
	v_cndmask_b32_e64 v36, v196, v36, s[36:37]
	v_lshl_add_u64 v[86:87], v[68:69], 2, v[28:29]
	v_lshl_add_u64 v[86:87], v[86:87], 0, v[42:43]
	v_cndmask_b32_e64 v87, v27, v87, s[38:39]
	v_cndmask_b32_e64 v86, v196, v86, s[38:39]
	;; [unrolled: 4-line block ×3, first 2 shown]
	v_readlane_b32 s38, v255, 30
	v_readlane_b32 s39, v255, 31
	s_and_b64 s[34:35], s[38:39], vcc
	s_waitcnt vmcnt(0) lgkmcnt(0)
	ds_write_b128 v177, v[100:103]
	flat_load_dwordx4 v[100:103], v[36:37]
	s_waitcnt vmcnt(0) lgkmcnt(0)
	ds_write_b128 v245, v[100:103]
	flat_load_dwordx4 v[100:103], v[86:87]
	;; [unrolled: 3-line block ×7, first 2 shown]
	s_waitcnt vmcnt(0) lgkmcnt(0)
	ds_write_b128 v235, v[100:103]
	s_waitcnt lgkmcnt(0)
	s_barrier
	ds_read_u16 v1, v181 offset:528
	ds_read_u16 v4, v181 offset:1056
	ds_read_u16 v27, v182
	ds_read_u16 v31, v182 offset:32
	s_waitcnt lgkmcnt(1)
	v_perm_b32 v29, v27, v4, s82
	ds_read_u16 v4, v181
	ds_read_u16 v27, v181 offset:32
	s_waitcnt lgkmcnt(1)
	v_perm_b32 v28, v1, v4, s82
	v_cvt_f32_f16_e32 v1, v23
	v_cvt_f32_f16_sdwa v4, v23 dst_sel:DWORD dst_unused:UNUSED_PAD src0_sel:WORD_1
	v_cvt_f32_f16_e32 v23, v22
	v_cvt_f32_f16_sdwa v22, v22 dst_sel:DWORD dst_unused:UNUSED_PAD src0_sel:WORD_1
	v_accvgpr_write_b32 a0, v1
	v_accvgpr_write_b32 a1, v4
	;; [unrolled: 1-line block ×4, first 2 shown]
	s_nop 1
	v_mfma_f32_16x16x16_f16 a[0:3], v[28:29], v[2:3], a[0:3]
	s_nop 7
	v_accvgpr_read_b32 v1, a2
	v_accvgpr_read_b32 v4, a3
	v_cvt_f16_f32_e32 v1, v1
	v_cvt_f16_f32_e32 v4, v4
	v_accvgpr_read_b32 v22, a0
	v_accvgpr_read_b32 v23, a1
	v_cvt_f16_f32_e32 v28, v22
	v_perm_b32 v1, v4, v1, s82
	ds_read_u16 v4, v181 offset:560
	ds_read_u16 v32, v181 offset:1088
	v_cvt_f16_f32_e32 v29, v23
	s_waitcnt lgkmcnt(0)
	v_perm_b32 v33, v31, v32, s82
	v_perm_b32 v32, v4, v27, s82
	v_cvt_f32_f16_e32 v4, v25
	v_cvt_f32_f16_sdwa v25, v25 dst_sel:DWORD dst_unused:UNUSED_PAD src0_sel:WORD_1
	v_cvt_f32_f16_e32 v27, v24
	v_cvt_f32_f16_sdwa v24, v24 dst_sel:DWORD dst_unused:UNUSED_PAD src0_sel:WORD_1
	v_accvgpr_write_b32 a0, v4
	v_accvgpr_write_b32 a1, v25
	;; [unrolled: 1-line block ×4, first 2 shown]
	v_perm_b32 v28, v29, v28, s82
	s_nop 0
	v_mfma_f32_16x16x16_f16 a[0:3], v[32:33], v[2:3], a[0:3]
	s_nop 7
	v_accvgpr_read_b32 v4, a2
	v_accvgpr_read_b32 v27, a3
	v_cvt_f16_f32_e32 v4, v4
	v_cvt_f16_f32_e32 v27, v27
	v_accvgpr_read_b32 v24, a0
	v_accvgpr_read_b32 v25, a1
	v_cvt_f16_f32_e32 v32, v24
	v_perm_b32 v4, v27, v4, s82
	ds_read_u16 v27, v181 offset:64
	ds_read_u16 v31, v181 offset:592
	;; [unrolled: 1-line block ×4, first 2 shown]
	v_cvt_f16_f32_e32 v33, v25
	s_waitcnt lgkmcnt(0)
	v_perm_b32 v37, v36, v34, s82
	v_perm_b32 v36, v31, v27, s82
	v_cvt_f32_f16_e32 v27, v26
	v_cvt_f32_f16_sdwa v26, v26 dst_sel:DWORD dst_unused:UNUSED_PAD src0_sel:WORD_1
	v_cvt_f32_f16_e32 v31, v9
	v_cvt_f32_f16_sdwa v9, v9 dst_sel:DWORD dst_unused:UNUSED_PAD src0_sel:WORD_1
	v_accvgpr_write_b32 a0, v27
	v_accvgpr_write_b32 a1, v26
	v_accvgpr_write_b32 a2, v31
	v_accvgpr_write_b32 a3, v9
	v_perm_b32 v32, v33, v32, s82
	s_nop 0
	v_mfma_f32_16x16x16_f16 a[0:3], v[36:37], v[2:3], a[0:3]
	s_nop 7
	v_accvgpr_read_b32 v9, a2
	v_accvgpr_read_b32 v31, a3
	v_cvt_f16_f32_e32 v9, v9
	v_cvt_f16_f32_e32 v31, v31
	v_accvgpr_read_b32 v26, a0
	v_accvgpr_read_b32 v27, a1
	v_cvt_f16_f32_e32 v36, v26
	v_perm_b32 v9, v31, v9, s82
	ds_read_u16 v31, v181 offset:96
	ds_read_u16 v34, v181 offset:624
	ds_read_u16 v42, v181 offset:1152
	ds_read_u16 v46, v182 offset:96
	v_cvt_f16_f32_e32 v37, v27
	s_waitcnt lgkmcnt(2)
	v_perm_b32 v86, v34, v31, s82
	v_cvt_f32_f16_e32 v31, v30
	s_waitcnt lgkmcnt(0)
	v_perm_b32 v87, v46, v42, s82
	v_cvt_f32_f16_sdwa v30, v30 dst_sel:DWORD dst_unused:UNUSED_PAD src0_sel:WORD_1
	v_cvt_f32_f16_e32 v34, v10
	v_cvt_f32_f16_sdwa v10, v10 dst_sel:DWORD dst_unused:UNUSED_PAD src0_sel:WORD_1
	v_accvgpr_write_b32 a0, v31
	v_accvgpr_write_b32 a1, v30
	v_accvgpr_write_b32 a2, v34
	v_accvgpr_write_b32 a3, v10
	v_perm_b32 v36, v37, v36, s82
	s_nop 0
	v_mfma_f32_16x16x16_f16 a[0:3], v[86:87], v[2:3], a[0:3]
	s_nop 7
	v_accvgpr_read_b32 v10, a2
	v_accvgpr_read_b32 v34, a3
	v_cvt_f16_f32_e32 v10, v10
	v_cvt_f16_f32_e32 v34, v34
	v_accvgpr_read_b32 v30, a0
	v_accvgpr_read_b32 v31, a1
	v_cvt_f16_f32_e32 v83, v30
	v_perm_b32 v10, v34, v10, s82
	ds_read_u16 v34, v181 offset:128
	ds_read_u16 v42, v181 offset:656
	ds_read_u16 v46, v181 offset:1184
	ds_read_u16 v47, v182 offset:128
	v_cvt_f16_f32_e32 v84, v31
	s_waitcnt lgkmcnt(2)
	v_perm_b32 v86, v42, v34, s82
	v_cvt_f32_f16_e32 v34, v35
	s_waitcnt lgkmcnt(0)
	v_perm_b32 v87, v47, v46, s82
	;; [unrolled: 29-line block ×4, first 2 shown]
	v_cvt_f32_f16_sdwa v47, v85 dst_sel:DWORD dst_unused:UNUSED_PAD src0_sel:WORD_1
	v_cvt_f32_f16_e32 v85, v13
	v_cvt_f32_f16_sdwa v13, v13 dst_sel:DWORD dst_unused:UNUSED_PAD src0_sel:WORD_1
	v_accvgpr_write_b32 a0, v46
	v_accvgpr_write_b32 a1, v47
	;; [unrolled: 1-line block ×4, first 2 shown]
	s_nop 1
	v_mfma_f32_16x16x16_f16 a[0:3], v[100:101], v[2:3], a[0:3]
	s_nop 7
	v_accvgpr_read_b32 v13, a2
	v_accvgpr_read_b32 v46, a3
	v_cvt_f16_f32_e32 v13, v13
	v_cvt_f16_f32_e32 v46, v46
	v_accvgpr_read_b32 v85, a0
	v_accvgpr_read_b32 v86, a1
	v_cvt_f16_f32_e32 v126, v85
	v_perm_b32 v13, v46, v13, s82
	ds_read_u16 v46, v181 offset:224
	ds_read_u16 v47, v181 offset:752
	;; [unrolled: 1-line block ×4, first 2 shown]
	v_cvt_f16_f32_e32 v128, v86
	s_waitcnt lgkmcnt(0)
	v_perm_b32 v101, v100, v99, s82
	v_perm_b32 v100, v47, v46, s82
	v_cvt_f32_f16_e32 v46, v89
	v_cvt_f32_f16_sdwa v47, v89 dst_sel:DWORD dst_unused:UNUSED_PAD src0_sel:WORD_1
	v_cvt_f32_f16_e32 v89, v14
	v_cvt_f32_f16_sdwa v14, v14 dst_sel:DWORD dst_unused:UNUSED_PAD src0_sel:WORD_1
	v_accvgpr_write_b32 a0, v46
	v_accvgpr_write_b32 a1, v47
	;; [unrolled: 1-line block ×4, first 2 shown]
	s_nop 1
	v_mfma_f32_16x16x16_f16 a[0:3], v[100:101], v[2:3], a[0:3]
	s_nop 7
	v_accvgpr_read_b32 v14, a2
	v_accvgpr_read_b32 v46, a3
	v_cvt_f16_f32_e32 v14, v14
	v_cvt_f16_f32_e32 v46, v46
	v_accvgpr_read_b32 v89, a0
	v_accvgpr_read_b32 v120, a1
	v_cvt_f16_f32_e32 v133, v89
	v_perm_b32 v14, v46, v14, s82
	ds_read_u16 v46, v181 offset:256
	ds_read_u16 v47, v181 offset:784
	;; [unrolled: 1-line block ×4, first 2 shown]
	v_cvt_f16_f32_e32 v134, v120
	s_waitcnt lgkmcnt(0)
	v_perm_b32 v101, v100, v99, s82
	v_perm_b32 v100, v47, v46, s82
	v_cvt_f32_f16_e32 v46, v98
	v_cvt_f32_f16_sdwa v47, v98 dst_sel:DWORD dst_unused:UNUSED_PAD src0_sel:WORD_1
	v_cvt_f32_f16_e32 v98, v15
	v_cvt_f32_f16_sdwa v15, v15 dst_sel:DWORD dst_unused:UNUSED_PAD src0_sel:WORD_1
	v_accvgpr_write_b32 a0, v46
	v_accvgpr_write_b32 a1, v47
	v_accvgpr_write_b32 a2, v98
	v_accvgpr_write_b32 a3, v15
	s_nop 1
	v_mfma_f32_16x16x16_f16 a[0:3], v[100:101], v[2:3], a[0:3]
	v_perm_b32 v100, v123, v121, s82
	s_nop 6
	v_accvgpr_read_b32 v15, a2
	v_accvgpr_read_b32 v46, a3
	v_cvt_f16_f32_e32 v15, v15
	v_cvt_f16_f32_e32 v46, v46
	v_accvgpr_read_b32 v122, a0
	v_accvgpr_read_b32 v124, a1
	v_cvt_f16_f32_e32 v138, v122
	v_perm_b32 v15, v46, v15, s82
	ds_read_u16 v46, v181 offset:288
	ds_read_u16 v47, v181 offset:816
	ds_read_u16 v98, v181 offset:1344
	ds_read_u16 v99, v182 offset:288
	v_cvt_f16_f32_e32 v139, v124
	s_waitcnt lgkmcnt(0)
	v_perm_b32 v99, v99, v98, s82
	v_perm_b32 v98, v47, v46, s82
	v_cvt_f32_f16_e32 v46, v97
	v_cvt_f32_f16_sdwa v47, v97 dst_sel:DWORD dst_unused:UNUSED_PAD src0_sel:WORD_1
	v_cvt_f32_f16_e32 v97, v16
	v_cvt_f32_f16_sdwa v16, v16 dst_sel:DWORD dst_unused:UNUSED_PAD src0_sel:WORD_1
	v_accvgpr_write_b32 a0, v46
	v_accvgpr_write_b32 a1, v47
	v_accvgpr_write_b32 a2, v97
	v_accvgpr_write_b32 a3, v16
	s_nop 1
	v_mfma_f32_16x16x16_f16 a[0:3], v[98:99], v[2:3], a[0:3]
	s_nop 7
	v_accvgpr_read_b32 v16, a2
	v_accvgpr_read_b32 v46, a3
	v_cvt_f16_f32_e32 v16, v16
	v_cvt_f16_f32_e32 v46, v46
	v_accvgpr_read_b32 v125, a0
	v_accvgpr_read_b32 v127, a1
	v_cvt_f16_f32_e32 v142, v125
	v_perm_b32 v16, v46, v16, s82
	ds_read_u16 v46, v181 offset:320
	ds_read_u16 v47, v181 offset:848
	ds_read_u16 v97, v181 offset:1376
	ds_read_u16 v98, v182 offset:320
	v_cvt_f16_f32_e32 v143, v127
	s_waitcnt lgkmcnt(0)
	v_perm_b32 v99, v98, v97, s82
	v_perm_b32 v98, v47, v46, s82
	v_cvt_f32_f16_e32 v46, v96
	v_cvt_f32_f16_sdwa v47, v96 dst_sel:DWORD dst_unused:UNUSED_PAD src0_sel:WORD_1
	v_cvt_f32_f16_e32 v96, v17
	v_cvt_f32_f16_sdwa v17, v17 dst_sel:DWORD dst_unused:UNUSED_PAD src0_sel:WORD_1
	v_accvgpr_write_b32 a0, v46
	v_accvgpr_write_b32 a1, v47
	v_accvgpr_write_b32 a2, v96
	v_accvgpr_write_b32 a3, v17
	s_nop 1
	v_mfma_f32_16x16x16_f16 a[0:3], v[98:99], v[2:3], a[0:3]
	v_perm_b32 v98, v134, v133, s82
	v_perm_b32 v99, v128, v126, s82
	s_nop 5
	v_accvgpr_read_b32 v17, a2
	v_accvgpr_read_b32 v46, a3
	v_cvt_f16_f32_e32 v17, v17
	v_cvt_f16_f32_e32 v46, v46
	v_accvgpr_read_b32 v131, a0
	v_accvgpr_read_b32 v132, a1
	v_cvt_f16_f32_e32 v146, v131
	v_perm_b32 v17, v46, v17, s82
	ds_read_u16 v46, v181 offset:352
	ds_read_u16 v47, v181 offset:880
	ds_read_u16 v96, v181 offset:1408
	ds_read_u16 v97, v182 offset:352
	v_cvt_f16_f32_e32 v147, v132
	s_waitcnt lgkmcnt(0)
	v_perm_b32 v97, v97, v96, s82
	v_perm_b32 v96, v47, v46, s82
	v_cvt_f32_f16_e32 v46, v95
	v_cvt_f32_f16_sdwa v47, v95 dst_sel:DWORD dst_unused:UNUSED_PAD src0_sel:WORD_1
	v_cvt_f32_f16_e32 v95, v18
	v_cvt_f32_f16_sdwa v18, v18 dst_sel:DWORD dst_unused:UNUSED_PAD src0_sel:WORD_1
	v_accvgpr_write_b32 a0, v46
	v_accvgpr_write_b32 a1, v47
	v_accvgpr_write_b32 a2, v95
	v_accvgpr_write_b32 a3, v18
	s_nop 1
	v_mfma_f32_16x16x16_f16 a[0:3], v[96:97], v[2:3], a[0:3]
	s_nop 7
	v_accvgpr_read_b32 v18, a2
	v_accvgpr_read_b32 v46, a3
	v_cvt_f16_f32_e32 v18, v18
	v_cvt_f16_f32_e32 v46, v46
	v_accvgpr_read_b32 v136, a0
	v_accvgpr_read_b32 v137, a1
	v_cvt_f16_f32_e32 v148, v136
	v_perm_b32 v18, v46, v18, s82
	ds_read_u16 v46, v181 offset:384
	ds_read_u16 v47, v181 offset:912
	ds_read_u16 v95, v181 offset:1440
	ds_read_u16 v96, v182 offset:384
	v_cvt_f16_f32_e32 v149, v137
	s_waitcnt lgkmcnt(0)
	v_perm_b32 v97, v96, v95, s82
	v_perm_b32 v96, v47, v46, s82
	v_cvt_f32_f16_e32 v46, v94
	v_cvt_f32_f16_sdwa v47, v94 dst_sel:DWORD dst_unused:UNUSED_PAD src0_sel:WORD_1
	v_cvt_f32_f16_e32 v94, v19
	v_cvt_f32_f16_sdwa v19, v19 dst_sel:DWORD dst_unused:UNUSED_PAD src0_sel:WORD_1
	v_accvgpr_write_b32 a0, v46
	v_accvgpr_write_b32 a1, v47
	v_accvgpr_write_b32 a2, v94
	v_accvgpr_write_b32 a3, v19
	s_nop 1
	v_mfma_f32_16x16x16_f16 a[0:3], v[96:97], v[2:3], a[0:3]
	v_perm_b32 v96, v143, v142, s82
	;; [unrolled: 56-line block ×3, first 2 shown]
	v_perm_b32 v95, v147, v146, s82
	s_nop 5
	v_accvgpr_read_b32 v21, a2
	v_accvgpr_read_b32 v46, a3
	v_cvt_f16_f32_e32 v21, v21
	v_cvt_f16_f32_e32 v46, v46
	v_accvgpr_read_b32 v129, a0
	v_accvgpr_read_b32 v130, a1
	v_cvt_f16_f32_e32 v154, v129
	v_perm_b32 v21, v46, v21, s82
	ds_read_u16 v46, v181 offset:480
	ds_read_u16 v47, v181 offset:1008
	;; [unrolled: 1-line block ×4, first 2 shown]
	v_cvt_f16_f32_e32 v155, v130
	s_waitcnt lgkmcnt(0)
	s_barrier
	v_perm_b32 v93, v93, v92, s82
	v_perm_b32 v92, v47, v46, s82
	v_cvt_f32_f16_e32 v46, v91
	v_cvt_f32_f16_sdwa v47, v91 dst_sel:DWORD dst_unused:UNUSED_PAD src0_sel:WORD_1
	v_cvt_f32_f16_e32 v91, v90
	v_cvt_f32_f16_sdwa v90, v90 dst_sel:DWORD dst_unused:UNUSED_PAD src0_sel:WORD_1
	v_accvgpr_write_b32 a0, v46
	v_accvgpr_write_b32 a1, v47
	v_accvgpr_write_b32 a2, v91
	v_accvgpr_write_b32 a3, v90
	v_perm_b32 v91, v155, v154, s82
	s_nop 0
	v_mfma_f32_16x16x16_f16 a[0:3], v[92:93], v[2:3], a[0:3]
	v_perm_b32 v92, v153, v152, s82
	v_perm_b32 v93, v151, v150, s82
	s_nop 5
	v_accvgpr_read_b32 v2, a2
	v_accvgpr_read_b32 v46, a3
	v_cvt_f16_f32_e32 v2, v2
	v_cvt_f16_f32_e32 v46, v46
	v_accvgpr_read_b32 v3, a0
	v_accvgpr_read_b32 v135, a1
	v_cvt_f16_f32_e32 v156, v3
	v_perm_b32 v2, v46, v2, s82
	ds_bpermute_b32 v46, v5, v7
	v_cvt_f16_f32_e32 v157, v135
	s_waitcnt lgkmcnt(0)
	v_add_f32_e32 v7, v7, v46
	ds_bpermute_b32 v46, v8, v7
	v_perm_b32 v90, v157, v156, s82
	s_waitcnt lgkmcnt(0)
	v_add_f32_e32 v7, v7, v46
	s_and_saveexec_b64 s[36:37], s[34:35]
	s_cbranch_execz .LBB29_184
; %bb.183:                              ;   in Loop: Header=BB29_14 Depth=1
	global_load_dword v28, v[118:119], off
	v_cvt_pk_f16_f32 v29, v22, v23
	v_max_f32_e32 v22, v6, v6
	v_cvt_pk_f16_f32 v24, v24, v25
	v_cvt_pk_f16_f32 v25, v26, v27
	;; [unrolled: 1-line block ×15, first 2 shown]
	s_waitcnt vmcnt(0)
	v_max_f32_e32 v23, v28, v28
	v_max_f32_e32 v22, v22, v23
	v_sub_f32_e32 v6, v6, v22
	v_sub_f32_e32 v23, v28, v22
	v_mul_f32_e32 v28, 0x3fb8aa3b, v6
	v_mul_f32_e32 v32, 0x3fb8aa3b, v23
	v_fma_f32 v36, v6, s3, -v28
	v_rndne_f32_e32 v82, v28
	v_fma_f32 v83, v23, s3, -v32
	v_rndne_f32_e32 v84, v32
	v_fmac_f32_e32 v36, 0x32a5705f, v6
	v_sub_f32_e32 v28, v28, v82
	v_fmac_f32_e32 v83, 0x32a5705f, v23
	v_sub_f32_e32 v32, v32, v84
	v_add_f32_e32 v28, v28, v36
	v_cvt_i32_f32_e32 v82, v82
	v_add_f32_e32 v32, v32, v83
	v_exp_f32_e32 v28, v28
	v_cvt_i32_f32_e32 v84, v84
	v_exp_f32_e32 v32, v32
	v_cmp_ngt_f32_e32 vcc, s4, v6
	v_ldexp_f32 v28, v28, v82
	v_ldexp_f32 v32, v32, v84
	v_cndmask_b32_e32 v28, 0, v28, vcc
	v_cmp_ngt_f32_e32 vcc, s4, v23
	s_nop 1
	v_cndmask_b32_e32 v32, 0, v32, vcc
	v_cmp_nlt_f32_e32 vcc, s77, v6
	s_nop 1
	v_cndmask_b32_e32 v28, v197, v28, vcc
	v_cmp_le_f32_e32 vcc, s5, v6
	s_nop 1
	v_cndmask_b32_e32 v6, 0, v28, vcc
	v_cvt_f16_f32_e32 v28, v6
	v_cmp_nlt_f32_e32 vcc, s77, v23
	s_nop 1
	v_cndmask_b32_e32 v23, v197, v32, vcc
	v_fmac_f32_e32 v23, v7, v6
	v_mul_u32_u24_e32 v6, 0x10001, v28
	v_pk_mul_f16 v28, v29, v6
	v_pk_mul_f16 v1, v1, v6
	;; [unrolled: 1-line block ×32, first 2 shown]
	v_mov_b64_e32 v[6:7], v[22:23]
.LBB29_184:                             ;   in Loop: Header=BB29_14 Depth=1
	s_or_b64 exec, exec, s[36:37]
	s_mov_b64 s[34:35], exec
	v_readlane_b32 s36, v255, 43
	v_readlane_b32 s37, v255, 44
	s_and_b64 s[36:37], s[34:35], s[36:37]
	s_mov_b64 exec, s[36:37]
; %bb.185:                              ;   in Loop: Header=BB29_14 Depth=1
	v_add_u32_e32 v3, 0, v204
	ds_write2_b32 v3, v6, v7 offset0:128 offset1:129
; %bb.186:                              ;   in Loop: Header=BB29_14 Depth=1
	s_or_b64 exec, exec, s[34:35]
	s_waitcnt lgkmcnt(0)
	s_barrier
	s_mov_b64 s[34:35], exec
	v_readlane_b32 s36, v255, 32
	v_readlane_b32 s37, v255, 33
	s_and_b64 s[36:37], s[34:35], s[36:37]
	s_xor_b64 s[34:35], s[36:37], s[34:35]
	s_mov_b64 exec, s[36:37]
	s_cbranch_execz .LBB29_188
; %bb.187:                              ;   in Loop: Header=BB29_14 Depth=1
	s_barrier
                                        ; implicit-def: $vgpr5
                                        ; implicit-def: $vgpr8
.LBB29_188:                             ;   in Loop: Header=BB29_14 Depth=1
	s_andn2_saveexec_b64 s[34:35], s[34:35]
	s_cbranch_execz .LBB29_190
; %bb.189:                              ;   in Loop: Header=BB29_14 Depth=1
	v_add_u32_e32 v3, 0, v204
	ds_read_b64 v[6:7], v3 offset:512
	s_waitcnt lgkmcnt(0)
	s_barrier
	ds_bpermute_b32 v22, v5, v6
	v_max_f32_e32 v23, v6, v6
	s_waitcnt lgkmcnt(0)
	v_max_f32_e32 v22, v22, v22
	v_max_f32_e32 v22, v23, v22
	ds_bpermute_b32 v23, v8, v22
	s_waitcnt lgkmcnt(0)
	v_max_f32_e32 v23, v23, v23
	v_max_f32_e32 v22, v22, v23
	v_sub_f32_e32 v6, v6, v22
	v_mul_f32_e32 v22, 0x3fb8aa3b, v6
	v_fma_f32 v23, v6, s3, -v22
	v_rndne_f32_e32 v24, v22
	v_fmac_f32_e32 v23, 0x32a5705f, v6
	v_sub_f32_e32 v22, v22, v24
	v_add_f32_e32 v22, v22, v23
	v_cvt_i32_f32_e32 v24, v24
	v_exp_f32_e32 v22, v22
	v_cmp_ngt_f32_e32 vcc, s4, v6
	v_ldexp_f32 v22, v22, v24
	s_nop 0
	v_cndmask_b32_e32 v22, 0, v22, vcc
	v_cmp_nlt_f32_e32 vcc, s77, v6
	s_nop 1
	v_cndmask_b32_e32 v6, v197, v22, vcc
	v_mul_f32_e32 v22, v7, v6
	ds_bpermute_b32 v5, v5, v22
	s_waitcnt lgkmcnt(0)
	v_fmac_f32_e32 v5, v7, v6
	ds_bpermute_b32 v7, v8, v5
	s_waitcnt lgkmcnt(0)
	v_add_f32_e32 v7, v5, v7
	ds_write_b64 v3, v[6:7] offset:512
.LBB29_190:                             ;   in Loop: Header=BB29_14 Depth=1
	s_or_b64 exec, exec, s[34:35]
	ds_write2_b32 v183, v28, v1 offset1:1
	ds_write2_b32 v183, v32, v4 offset0:8 offset1:9
	ds_write2_b32 v183, v36, v9 offset0:16 offset1:17
	;; [unrolled: 1-line block ×15, first 2 shown]
	s_waitcnt lgkmcnt(0)
	s_barrier
	s_and_saveexec_b64 s[34:35], s[38:39]
	s_cbranch_execz .LBB29_12
; %bb.191:                              ;   in Loop: Header=BB29_14 Depth=1
	v_add_u32_e32 v2, v184, v195
	v_cmp_gt_i32_e32 vcc, s76, v2
	v_mov_b32_e32 v1, 0x47
	s_and_saveexec_b64 s[36:37], vcc
	s_cbranch_execz .LBB29_193
; %bb.192:                              ;   in Loop: Header=BB29_14 Depth=1
	v_readlane_b32 s38, v255, 37
	s_nop 1
	v_mul_lo_u32 v4, s38, v2
	ds_read2_b32 v[2:3], v205 offset0:128 offset1:129
	ds_read2st64_b32 v[6:7], v205 offset0:35 offset1:68
	ds_read_b32 v8, v205 offset:25856
	ds_read2st64_b32 v[10:11], v222 offset1:1
	ds_read2st64_b32 v[12:13], v222 offset0:33 offset1:34
	ds_read2st64_b32 v[14:15], v222 offset0:66 offset1:67
	;; [unrolled: 1-line block ×3, first 2 shown]
	v_add_u32_e32 v18, v40, v4
	s_waitcnt lgkmcnt(3)
	v_cvt_f32_f16_sdwa v21, v10 dst_sel:DWORD dst_unused:UNUSED_PAD src0_sel:WORD_1
	v_cvt_f32_f16_e32 v20, v10
	s_waitcnt lgkmcnt(2)
	v_cvt_f32_f16_sdwa v23, v12 dst_sel:DWORD dst_unused:UNUSED_PAD src0_sel:WORD_1
	v_cvt_f32_f16_e32 v22, v12
	v_mov_b32_e32 v10, v7
	v_pk_fma_f32 v[20:21], v[2:3], v[20:21], 0 op_sel_hi:[0,1,0]
	v_ashrrev_i32_e32 v19, 31, v18
	v_pk_fma_f32 v[20:21], v[6:7], v[22:23], v[20:21] op_sel_hi:[0,1,1]
	s_waitcnt lgkmcnt(1)
	v_cvt_f32_f16_sdwa v23, v14 dst_sel:DWORD dst_unused:UNUSED_PAD src0_sel:WORD_1
	v_cvt_f32_f16_e32 v22, v14
	v_lshl_add_u64 v[18:19], v[18:19], 3, v[116:117]
	v_pk_fma_f32 v[20:21], v[10:11], v[22:23], v[20:21] op_sel_hi:[0,1,1]
	s_waitcnt lgkmcnt(0)
	v_cvt_f32_f16_sdwa v23, v16 dst_sel:DWORD dst_unused:UNUSED_PAD src0_sel:WORD_1
	v_cvt_f32_f16_e32 v22, v16
	v_pk_fma_f32 v[20:21], v[8:9], v[22:23], v[20:21] op_sel_hi:[0,1,1]
	v_div_scale_f32 v1, s[38:39], v3, v3, v21
	v_rcp_f32_e32 v5, v1
	s_nop 0
	v_fma_f32 v7, -v1, v5, 1.0
	v_fmac_f32_e32 v5, v7, v5
	v_div_scale_f32 v7, vcc, v21, v3, v21
	v_mul_f32_e32 v9, v7, v5
	v_fma_f32 v12, -v1, v9, v7
	v_fmac_f32_e32 v9, v12, v5
	v_fma_f32 v1, -v1, v9, v7
	v_div_fmas_f32 v1, v1, v5, v9
	v_div_fixup_f32 v21, v1, v3, v21
	v_div_scale_f32 v1, s[38:39], v3, v3, v20
	v_rcp_f32_e32 v5, v1
	s_nop 0
	v_fma_f32 v7, -v1, v5, 1.0
	v_fmac_f32_e32 v5, v7, v5
	v_div_scale_f32 v7, vcc, v20, v3, v20
	v_mul_f32_e32 v9, v7, v5
	v_fma_f32 v12, -v1, v9, v7
	v_fmac_f32_e32 v9, v12, v5
	v_fma_f32 v1, -v1, v9, v7
	v_div_fmas_f32 v1, v1, v5, v9
	v_div_fixup_f32 v20, v1, v3, v20
	global_store_dwordx2 v[18:19], v[20:21], off
	v_cvt_f32_f16_sdwa v19, v11 dst_sel:DWORD dst_unused:UNUSED_PAD src0_sel:WORD_1
	v_cvt_f32_f16_e32 v18, v11
	v_cvt_f32_f16_sdwa v21, v13 dst_sel:DWORD dst_unused:UNUSED_PAD src0_sel:WORD_1
	v_cvt_f32_f16_e32 v20, v13
	;; [unrolled: 2-line block ×3, first 2 shown]
	v_pk_fma_f32 v[18:19], v[2:3], v[18:19], 0 op_sel_hi:[0,1,0]
	v_pk_fma_f32 v[6:7], v[6:7], v[20:21], v[18:19] op_sel_hi:[0,1,1]
	v_ashrrev_i32_e32 v5, 31, v4
	v_pk_fma_f32 v[6:7], v[10:11], v[12:13], v[6:7] op_sel_hi:[0,1,1]
	v_cvt_f32_f16_sdwa v11, v17 dst_sel:DWORD dst_unused:UNUSED_PAD src0_sel:WORD_1
	v_cvt_f32_f16_e32 v10, v17
	v_lshl_add_u64 v[4:5], v[40:41], 0, v[4:5]
	v_lshl_add_u64 v[4:5], v[4:5], 3, v[116:117]
	v_pk_fma_f32 v[6:7], v[8:9], v[10:11], v[6:7] op_sel_hi:[0,1,1]
	v_div_scale_f32 v1, s[38:39], v3, v3, v7
	v_rcp_f32_e32 v2, v1
	s_nop 0
	v_fma_f32 v8, -v1, v2, 1.0
	v_fmac_f32_e32 v2, v8, v2
	v_div_scale_f32 v8, vcc, v7, v3, v7
	v_mul_f32_e32 v9, v8, v2
	v_fma_f32 v10, -v1, v9, v8
	v_fmac_f32_e32 v9, v10, v2
	v_fma_f32 v1, -v1, v9, v8
	v_div_fmas_f32 v1, v1, v2, v9
	v_div_fixup_f32 v7, v1, v3, v7
	v_div_scale_f32 v1, s[38:39], v3, v3, v6
	v_rcp_f32_e32 v2, v1
	s_nop 0
	v_fma_f32 v8, -v1, v2, 1.0
	v_fmac_f32_e32 v2, v8, v2
	v_div_scale_f32 v8, vcc, v6, v3, v6
	v_mul_f32_e32 v9, v8, v2
	v_fma_f32 v10, -v1, v9, v8
	v_fmac_f32_e32 v9, v10, v2
	v_fma_f32 v1, -v1, v9, v8
	v_div_fmas_f32 v1, v1, v2, v9
	v_div_fixup_f32 v6, v1, v3, v6
	v_mov_b32_e32 v1, 0
	global_store_dwordx2 v[4:5], v[6:7], off offset:512
.LBB29_193:                             ;   in Loop: Header=BB29_14 Depth=1
	s_or_b64 exec, exec, s[36:37]
	s_movk_i32 s36, 0x47
	v_cmp_gt_i32_e32 vcc, s36, v1
	s_mov_b64 s[36:37], -1
	s_and_saveexec_b64 s[38:39], vcc
; %bb.194:                              ;   in Loop: Header=BB29_14 Depth=1
	v_cmp_eq_u32_e32 vcc, 0, v1
	s_orn2_b64 s[36:37], vcc, exec
; %bb.195:                              ;   in Loop: Header=BB29_14 Depth=1
	s_or_b64 exec, exec, s[38:39]
	s_and_b64 exec, exec, s[36:37]
	s_cbranch_execz .LBB29_12
; %bb.196:                              ;   in Loop: Header=BB29_14 Depth=1
	v_accvgpr_read_b32 v1, a12
	v_add_u32_e32 v2, v1, v195
	v_cmp_gt_i32_e32 vcc, s76, v2
	v_mov_b32_e32 v1, 0x47
	s_and_saveexec_b64 s[36:37], vcc
	s_cbranch_execz .LBB29_198
; %bb.197:                              ;   in Loop: Header=BB29_14 Depth=1
	v_readlane_b32 s38, v255, 37
	s_nop 1
	v_mul_lo_u32 v4, s38, v2
	ds_read2_b32 v[2:3], v0 offset0:128 offset1:129
	ds_read2st64_b32 v[6:7], v0 offset0:35 offset1:68
	ds_read_b32 v8, v0 offset:25856
	ds_read2st64_b32 v[10:11], v223 offset1:1
	ds_read2st64_b32 v[12:13], v223 offset0:33 offset1:34
	ds_read2st64_b32 v[14:15], v223 offset0:66 offset1:67
	;; [unrolled: 1-line block ×3, first 2 shown]
	v_add_u32_e32 v18, v40, v4
	s_waitcnt lgkmcnt(3)
	v_cvt_f32_f16_sdwa v21, v10 dst_sel:DWORD dst_unused:UNUSED_PAD src0_sel:WORD_1
	v_cvt_f32_f16_e32 v20, v10
	s_waitcnt lgkmcnt(2)
	v_cvt_f32_f16_sdwa v23, v12 dst_sel:DWORD dst_unused:UNUSED_PAD src0_sel:WORD_1
	v_cvt_f32_f16_e32 v22, v12
	v_mov_b32_e32 v10, v7
	v_pk_fma_f32 v[20:21], v[2:3], v[20:21], 0 op_sel_hi:[0,1,0]
	v_ashrrev_i32_e32 v19, 31, v18
	v_pk_fma_f32 v[20:21], v[6:7], v[22:23], v[20:21] op_sel_hi:[0,1,1]
	s_waitcnt lgkmcnt(1)
	v_cvt_f32_f16_sdwa v23, v14 dst_sel:DWORD dst_unused:UNUSED_PAD src0_sel:WORD_1
	v_cvt_f32_f16_e32 v22, v14
	v_lshl_add_u64 v[18:19], v[18:19], 3, v[116:117]
	v_pk_fma_f32 v[20:21], v[10:11], v[22:23], v[20:21] op_sel_hi:[0,1,1]
	s_waitcnt lgkmcnt(0)
	v_cvt_f32_f16_sdwa v23, v16 dst_sel:DWORD dst_unused:UNUSED_PAD src0_sel:WORD_1
	v_cvt_f32_f16_e32 v22, v16
	v_pk_fma_f32 v[20:21], v[8:9], v[22:23], v[20:21] op_sel_hi:[0,1,1]
	v_div_scale_f32 v1, s[38:39], v3, v3, v21
	v_rcp_f32_e32 v5, v1
	s_nop 0
	v_fma_f32 v7, -v1, v5, 1.0
	v_fmac_f32_e32 v5, v7, v5
	v_div_scale_f32 v7, vcc, v21, v3, v21
	v_mul_f32_e32 v9, v7, v5
	v_fma_f32 v12, -v1, v9, v7
	v_fmac_f32_e32 v9, v12, v5
	v_fma_f32 v1, -v1, v9, v7
	v_div_fmas_f32 v1, v1, v5, v9
	v_div_fixup_f32 v21, v1, v3, v21
	v_div_scale_f32 v1, s[38:39], v3, v3, v20
	v_rcp_f32_e32 v5, v1
	s_nop 0
	v_fma_f32 v7, -v1, v5, 1.0
	v_fmac_f32_e32 v5, v7, v5
	v_div_scale_f32 v7, vcc, v20, v3, v20
	v_mul_f32_e32 v9, v7, v5
	v_fma_f32 v12, -v1, v9, v7
	v_fmac_f32_e32 v9, v12, v5
	v_fma_f32 v1, -v1, v9, v7
	v_div_fmas_f32 v1, v1, v5, v9
	v_div_fixup_f32 v20, v1, v3, v20
	global_store_dwordx2 v[18:19], v[20:21], off
	v_cvt_f32_f16_sdwa v19, v11 dst_sel:DWORD dst_unused:UNUSED_PAD src0_sel:WORD_1
	v_cvt_f32_f16_e32 v18, v11
	v_cvt_f32_f16_sdwa v21, v13 dst_sel:DWORD dst_unused:UNUSED_PAD src0_sel:WORD_1
	v_cvt_f32_f16_e32 v20, v13
	v_cvt_f32_f16_sdwa v13, v15 dst_sel:DWORD dst_unused:UNUSED_PAD src0_sel:WORD_1
	v_cvt_f32_f16_e32 v12, v15
	v_pk_fma_f32 v[18:19], v[2:3], v[18:19], 0 op_sel_hi:[0,1,0]
	v_pk_fma_f32 v[6:7], v[6:7], v[20:21], v[18:19] op_sel_hi:[0,1,1]
	v_ashrrev_i32_e32 v5, 31, v4
	v_pk_fma_f32 v[6:7], v[10:11], v[12:13], v[6:7] op_sel_hi:[0,1,1]
	v_cvt_f32_f16_sdwa v11, v17 dst_sel:DWORD dst_unused:UNUSED_PAD src0_sel:WORD_1
	v_cvt_f32_f16_e32 v10, v17
	v_lshl_add_u64 v[4:5], v[40:41], 0, v[4:5]
	v_lshl_add_u64 v[4:5], v[4:5], 3, v[116:117]
	v_pk_fma_f32 v[6:7], v[8:9], v[10:11], v[6:7] op_sel_hi:[0,1,1]
	v_div_scale_f32 v1, s[38:39], v3, v3, v7
	v_rcp_f32_e32 v2, v1
	s_nop 0
	v_fma_f32 v8, -v1, v2, 1.0
	v_fmac_f32_e32 v2, v8, v2
	v_div_scale_f32 v8, vcc, v7, v3, v7
	v_mul_f32_e32 v9, v8, v2
	v_fma_f32 v10, -v1, v9, v8
	v_fmac_f32_e32 v9, v10, v2
	v_fma_f32 v1, -v1, v9, v8
	v_div_fmas_f32 v1, v1, v2, v9
	v_div_fixup_f32 v7, v1, v3, v7
	v_div_scale_f32 v1, s[38:39], v3, v3, v6
	v_rcp_f32_e32 v2, v1
	s_nop 0
	v_fma_f32 v8, -v1, v2, 1.0
	v_fmac_f32_e32 v2, v8, v2
	v_div_scale_f32 v8, vcc, v6, v3, v6
	v_mul_f32_e32 v9, v8, v2
	v_fma_f32 v10, -v1, v9, v8
	v_fmac_f32_e32 v9, v10, v2
	v_fma_f32 v1, -v1, v9, v8
	v_div_fmas_f32 v1, v1, v2, v9
	v_div_fixup_f32 v6, v1, v3, v6
	v_mov_b32_e32 v1, 0
	global_store_dwordx2 v[4:5], v[6:7], off offset:512
.LBB29_198:                             ;   in Loop: Header=BB29_14 Depth=1
	s_or_b64 exec, exec, s[36:37]
	s_movk_i32 s36, 0x47
	v_cmp_gt_i32_e32 vcc, s36, v1
	s_mov_b64 s[36:37], -1
	s_and_saveexec_b64 s[38:39], vcc
; %bb.199:                              ;   in Loop: Header=BB29_14 Depth=1
	v_cmp_eq_u32_e32 vcc, 0, v1
	s_orn2_b64 s[36:37], vcc, exec
; %bb.200:                              ;   in Loop: Header=BB29_14 Depth=1
	s_or_b64 exec, exec, s[38:39]
	s_and_b64 exec, exec, s[36:37]
	s_cbranch_execz .LBB29_12
; %bb.201:                              ;   in Loop: Header=BB29_14 Depth=1
	v_accvgpr_read_b32 v1, a13
	v_add_u32_e32 v2, v1, v195
	v_cmp_gt_i32_e32 vcc, s76, v2
	v_mov_b32_e32 v1, 0x47
	s_and_saveexec_b64 s[36:37], vcc
	s_cbranch_execz .LBB29_203
; %bb.202:                              ;   in Loop: Header=BB29_14 Depth=1
	v_readlane_b32 s38, v255, 37
	v_accvgpr_read_b32 v1, a27
	s_nop 0
	v_mul_lo_u32 v4, s38, v2
	ds_read2_b32 v[2:3], v1 offset0:128 offset1:129
	ds_read2st64_b32 v[6:7], v1 offset0:35 offset1:68
	ds_read_b32 v8, v1 offset:25856
	v_accvgpr_read_b32 v1, a43
	ds_read2st64_b32 v[10:11], v1 offset1:1
	ds_read2st64_b32 v[12:13], v1 offset0:33 offset1:34
	ds_read2st64_b32 v[14:15], v1 offset0:66 offset1:67
	;; [unrolled: 1-line block ×3, first 2 shown]
	v_add_u32_e32 v18, v40, v4
	s_waitcnt lgkmcnt(3)
	v_cvt_f32_f16_sdwa v21, v10 dst_sel:DWORD dst_unused:UNUSED_PAD src0_sel:WORD_1
	v_cvt_f32_f16_e32 v20, v10
	s_waitcnt lgkmcnt(2)
	v_cvt_f32_f16_sdwa v23, v12 dst_sel:DWORD dst_unused:UNUSED_PAD src0_sel:WORD_1
	v_cvt_f32_f16_e32 v22, v12
	v_mov_b32_e32 v10, v7
	v_pk_fma_f32 v[20:21], v[2:3], v[20:21], 0 op_sel_hi:[0,1,0]
	v_ashrrev_i32_e32 v19, 31, v18
	v_pk_fma_f32 v[20:21], v[6:7], v[22:23], v[20:21] op_sel_hi:[0,1,1]
	s_waitcnt lgkmcnt(1)
	v_cvt_f32_f16_sdwa v23, v14 dst_sel:DWORD dst_unused:UNUSED_PAD src0_sel:WORD_1
	v_cvt_f32_f16_e32 v22, v14
	v_lshl_add_u64 v[18:19], v[18:19], 3, v[116:117]
	v_pk_fma_f32 v[20:21], v[10:11], v[22:23], v[20:21] op_sel_hi:[0,1,1]
	s_waitcnt lgkmcnt(0)
	v_cvt_f32_f16_sdwa v23, v16 dst_sel:DWORD dst_unused:UNUSED_PAD src0_sel:WORD_1
	v_cvt_f32_f16_e32 v22, v16
	v_pk_fma_f32 v[20:21], v[8:9], v[22:23], v[20:21] op_sel_hi:[0,1,1]
	v_div_scale_f32 v1, s[38:39], v3, v3, v21
	v_rcp_f32_e32 v5, v1
	s_nop 0
	v_fma_f32 v7, -v1, v5, 1.0
	v_fmac_f32_e32 v5, v7, v5
	v_div_scale_f32 v7, vcc, v21, v3, v21
	v_mul_f32_e32 v9, v7, v5
	v_fma_f32 v12, -v1, v9, v7
	v_fmac_f32_e32 v9, v12, v5
	v_fma_f32 v1, -v1, v9, v7
	v_div_fmas_f32 v1, v1, v5, v9
	v_div_fixup_f32 v21, v1, v3, v21
	v_div_scale_f32 v1, s[38:39], v3, v3, v20
	v_rcp_f32_e32 v5, v1
	s_nop 0
	v_fma_f32 v7, -v1, v5, 1.0
	v_fmac_f32_e32 v5, v7, v5
	v_div_scale_f32 v7, vcc, v20, v3, v20
	v_mul_f32_e32 v9, v7, v5
	v_fma_f32 v12, -v1, v9, v7
	v_fmac_f32_e32 v9, v12, v5
	v_fma_f32 v1, -v1, v9, v7
	v_div_fmas_f32 v1, v1, v5, v9
	v_div_fixup_f32 v20, v1, v3, v20
	global_store_dwordx2 v[18:19], v[20:21], off
	v_cvt_f32_f16_sdwa v19, v11 dst_sel:DWORD dst_unused:UNUSED_PAD src0_sel:WORD_1
	v_cvt_f32_f16_e32 v18, v11
	v_cvt_f32_f16_sdwa v21, v13 dst_sel:DWORD dst_unused:UNUSED_PAD src0_sel:WORD_1
	v_cvt_f32_f16_e32 v20, v13
	;; [unrolled: 2-line block ×3, first 2 shown]
	v_pk_fma_f32 v[18:19], v[2:3], v[18:19], 0 op_sel_hi:[0,1,0]
	v_pk_fma_f32 v[6:7], v[6:7], v[20:21], v[18:19] op_sel_hi:[0,1,1]
	v_ashrrev_i32_e32 v5, 31, v4
	v_pk_fma_f32 v[6:7], v[10:11], v[12:13], v[6:7] op_sel_hi:[0,1,1]
	v_cvt_f32_f16_sdwa v11, v17 dst_sel:DWORD dst_unused:UNUSED_PAD src0_sel:WORD_1
	v_cvt_f32_f16_e32 v10, v17
	v_lshl_add_u64 v[4:5], v[40:41], 0, v[4:5]
	v_lshl_add_u64 v[4:5], v[4:5], 3, v[116:117]
	v_pk_fma_f32 v[6:7], v[8:9], v[10:11], v[6:7] op_sel_hi:[0,1,1]
	v_div_scale_f32 v1, s[38:39], v3, v3, v7
	v_rcp_f32_e32 v2, v1
	s_nop 0
	v_fma_f32 v8, -v1, v2, 1.0
	v_fmac_f32_e32 v2, v8, v2
	v_div_scale_f32 v8, vcc, v7, v3, v7
	v_mul_f32_e32 v9, v8, v2
	v_fma_f32 v10, -v1, v9, v8
	v_fmac_f32_e32 v9, v10, v2
	v_fma_f32 v1, -v1, v9, v8
	v_div_fmas_f32 v1, v1, v2, v9
	v_div_fixup_f32 v7, v1, v3, v7
	v_div_scale_f32 v1, s[38:39], v3, v3, v6
	v_rcp_f32_e32 v2, v1
	s_nop 0
	v_fma_f32 v8, -v1, v2, 1.0
	v_fmac_f32_e32 v2, v8, v2
	v_div_scale_f32 v8, vcc, v6, v3, v6
	v_mul_f32_e32 v9, v8, v2
	v_fma_f32 v10, -v1, v9, v8
	v_fmac_f32_e32 v9, v10, v2
	v_fma_f32 v1, -v1, v9, v8
	v_div_fmas_f32 v1, v1, v2, v9
	v_div_fixup_f32 v6, v1, v3, v6
	v_mov_b32_e32 v1, 0
	global_store_dwordx2 v[4:5], v[6:7], off offset:512
.LBB29_203:                             ;   in Loop: Header=BB29_14 Depth=1
	s_or_b64 exec, exec, s[36:37]
	s_movk_i32 s36, 0x47
	v_cmp_gt_i32_e32 vcc, s36, v1
	s_mov_b64 s[36:37], -1
	s_and_saveexec_b64 s[38:39], vcc
; %bb.204:                              ;   in Loop: Header=BB29_14 Depth=1
	v_cmp_eq_u32_e32 vcc, 0, v1
	s_orn2_b64 s[36:37], vcc, exec
; %bb.205:                              ;   in Loop: Header=BB29_14 Depth=1
	s_or_b64 exec, exec, s[38:39]
	s_and_b64 exec, exec, s[36:37]
	s_cbranch_execz .LBB29_12
; %bb.206:                              ;   in Loop: Header=BB29_14 Depth=1
	v_accvgpr_read_b32 v1, a14
	v_add_u32_e32 v2, v1, v195
	v_cmp_gt_i32_e32 vcc, s76, v2
	v_mov_b32_e32 v1, 0x47
	s_and_saveexec_b64 s[36:37], vcc
	s_cbranch_execz .LBB29_208
; %bb.207:                              ;   in Loop: Header=BB29_14 Depth=1
	v_readlane_b32 s38, v255, 37
	v_accvgpr_read_b32 v1, a30
	s_nop 0
	v_mul_lo_u32 v4, s38, v2
	ds_read2_b32 v[2:3], v1 offset0:128 offset1:129
	ds_read2st64_b32 v[6:7], v1 offset0:35 offset1:68
	ds_read_b32 v8, v1 offset:25856
	v_accvgpr_read_b32 v1, a44
	ds_read2st64_b32 v[10:11], v1 offset1:1
	ds_read2st64_b32 v[12:13], v1 offset0:33 offset1:34
	ds_read2st64_b32 v[14:15], v1 offset0:66 offset1:67
	;; [unrolled: 1-line block ×3, first 2 shown]
	v_add_u32_e32 v18, v40, v4
	s_waitcnt lgkmcnt(3)
	v_cvt_f32_f16_sdwa v21, v10 dst_sel:DWORD dst_unused:UNUSED_PAD src0_sel:WORD_1
	v_cvt_f32_f16_e32 v20, v10
	s_waitcnt lgkmcnt(2)
	v_cvt_f32_f16_sdwa v23, v12 dst_sel:DWORD dst_unused:UNUSED_PAD src0_sel:WORD_1
	v_cvt_f32_f16_e32 v22, v12
	v_mov_b32_e32 v10, v7
	v_pk_fma_f32 v[20:21], v[2:3], v[20:21], 0 op_sel_hi:[0,1,0]
	v_ashrrev_i32_e32 v19, 31, v18
	v_pk_fma_f32 v[20:21], v[6:7], v[22:23], v[20:21] op_sel_hi:[0,1,1]
	s_waitcnt lgkmcnt(1)
	v_cvt_f32_f16_sdwa v23, v14 dst_sel:DWORD dst_unused:UNUSED_PAD src0_sel:WORD_1
	v_cvt_f32_f16_e32 v22, v14
	v_lshl_add_u64 v[18:19], v[18:19], 3, v[116:117]
	v_pk_fma_f32 v[20:21], v[10:11], v[22:23], v[20:21] op_sel_hi:[0,1,1]
	s_waitcnt lgkmcnt(0)
	v_cvt_f32_f16_sdwa v23, v16 dst_sel:DWORD dst_unused:UNUSED_PAD src0_sel:WORD_1
	v_cvt_f32_f16_e32 v22, v16
	v_pk_fma_f32 v[20:21], v[8:9], v[22:23], v[20:21] op_sel_hi:[0,1,1]
	v_div_scale_f32 v1, s[38:39], v3, v3, v21
	v_rcp_f32_e32 v5, v1
	s_nop 0
	v_fma_f32 v7, -v1, v5, 1.0
	v_fmac_f32_e32 v5, v7, v5
	v_div_scale_f32 v7, vcc, v21, v3, v21
	v_mul_f32_e32 v9, v7, v5
	v_fma_f32 v12, -v1, v9, v7
	v_fmac_f32_e32 v9, v12, v5
	v_fma_f32 v1, -v1, v9, v7
	v_div_fmas_f32 v1, v1, v5, v9
	v_div_fixup_f32 v21, v1, v3, v21
	v_div_scale_f32 v1, s[38:39], v3, v3, v20
	v_rcp_f32_e32 v5, v1
	s_nop 0
	v_fma_f32 v7, -v1, v5, 1.0
	v_fmac_f32_e32 v5, v7, v5
	v_div_scale_f32 v7, vcc, v20, v3, v20
	v_mul_f32_e32 v9, v7, v5
	v_fma_f32 v12, -v1, v9, v7
	v_fmac_f32_e32 v9, v12, v5
	v_fma_f32 v1, -v1, v9, v7
	v_div_fmas_f32 v1, v1, v5, v9
	v_div_fixup_f32 v20, v1, v3, v20
	global_store_dwordx2 v[18:19], v[20:21], off
	v_cvt_f32_f16_sdwa v19, v11 dst_sel:DWORD dst_unused:UNUSED_PAD src0_sel:WORD_1
	v_cvt_f32_f16_e32 v18, v11
	v_cvt_f32_f16_sdwa v21, v13 dst_sel:DWORD dst_unused:UNUSED_PAD src0_sel:WORD_1
	v_cvt_f32_f16_e32 v20, v13
	;; [unrolled: 2-line block ×3, first 2 shown]
	v_pk_fma_f32 v[18:19], v[2:3], v[18:19], 0 op_sel_hi:[0,1,0]
	v_pk_fma_f32 v[6:7], v[6:7], v[20:21], v[18:19] op_sel_hi:[0,1,1]
	v_ashrrev_i32_e32 v5, 31, v4
	v_pk_fma_f32 v[6:7], v[10:11], v[12:13], v[6:7] op_sel_hi:[0,1,1]
	v_cvt_f32_f16_sdwa v11, v17 dst_sel:DWORD dst_unused:UNUSED_PAD src0_sel:WORD_1
	v_cvt_f32_f16_e32 v10, v17
	v_lshl_add_u64 v[4:5], v[40:41], 0, v[4:5]
	v_lshl_add_u64 v[4:5], v[4:5], 3, v[116:117]
	v_pk_fma_f32 v[6:7], v[8:9], v[10:11], v[6:7] op_sel_hi:[0,1,1]
	v_div_scale_f32 v1, s[38:39], v3, v3, v7
	v_rcp_f32_e32 v2, v1
	s_nop 0
	v_fma_f32 v8, -v1, v2, 1.0
	v_fmac_f32_e32 v2, v8, v2
	v_div_scale_f32 v8, vcc, v7, v3, v7
	v_mul_f32_e32 v9, v8, v2
	v_fma_f32 v10, -v1, v9, v8
	v_fmac_f32_e32 v9, v10, v2
	v_fma_f32 v1, -v1, v9, v8
	v_div_fmas_f32 v1, v1, v2, v9
	v_div_fixup_f32 v7, v1, v3, v7
	v_div_scale_f32 v1, s[38:39], v3, v3, v6
	v_rcp_f32_e32 v2, v1
	s_nop 0
	v_fma_f32 v8, -v1, v2, 1.0
	v_fmac_f32_e32 v2, v8, v2
	v_div_scale_f32 v8, vcc, v6, v3, v6
	v_mul_f32_e32 v9, v8, v2
	v_fma_f32 v10, -v1, v9, v8
	v_fmac_f32_e32 v9, v10, v2
	v_fma_f32 v1, -v1, v9, v8
	v_div_fmas_f32 v1, v1, v2, v9
	v_div_fixup_f32 v6, v1, v3, v6
	v_mov_b32_e32 v1, 0
	global_store_dwordx2 v[4:5], v[6:7], off offset:512
.LBB29_208:                             ;   in Loop: Header=BB29_14 Depth=1
	s_or_b64 exec, exec, s[36:37]
	s_movk_i32 s36, 0x47
	v_cmp_gt_i32_e32 vcc, s36, v1
	s_mov_b64 s[36:37], -1
	s_and_saveexec_b64 s[38:39], vcc
; %bb.209:                              ;   in Loop: Header=BB29_14 Depth=1
	v_cmp_eq_u32_e32 vcc, 0, v1
	s_orn2_b64 s[36:37], vcc, exec
; %bb.210:                              ;   in Loop: Header=BB29_14 Depth=1
	s_or_b64 exec, exec, s[38:39]
	s_and_b64 exec, exec, s[36:37]
	s_cbranch_execz .LBB29_12
; %bb.211:                              ;   in Loop: Header=BB29_14 Depth=1
	v_accvgpr_read_b32 v1, a15
	v_add_u32_e32 v2, v1, v195
	v_cmp_gt_i32_e32 vcc, s76, v2
	v_mov_b32_e32 v1, 0x47
	s_and_saveexec_b64 s[36:37], vcc
	s_cbranch_execz .LBB29_213
; %bb.212:                              ;   in Loop: Header=BB29_14 Depth=1
	v_readlane_b32 s38, v255, 37
	v_accvgpr_read_b32 v1, a31
	s_nop 0
	v_mul_lo_u32 v4, s38, v2
	ds_read2_b32 v[2:3], v1 offset0:128 offset1:129
	ds_read2st64_b32 v[6:7], v1 offset0:35 offset1:68
	ds_read_b32 v8, v1 offset:25856
	v_accvgpr_read_b32 v1, a45
	ds_read2st64_b32 v[10:11], v1 offset1:1
	ds_read2st64_b32 v[12:13], v1 offset0:33 offset1:34
	ds_read2st64_b32 v[14:15], v1 offset0:66 offset1:67
	;; [unrolled: 1-line block ×3, first 2 shown]
	v_add_u32_e32 v18, v40, v4
	s_waitcnt lgkmcnt(3)
	v_cvt_f32_f16_sdwa v21, v10 dst_sel:DWORD dst_unused:UNUSED_PAD src0_sel:WORD_1
	v_cvt_f32_f16_e32 v20, v10
	s_waitcnt lgkmcnt(2)
	v_cvt_f32_f16_sdwa v23, v12 dst_sel:DWORD dst_unused:UNUSED_PAD src0_sel:WORD_1
	v_cvt_f32_f16_e32 v22, v12
	v_mov_b32_e32 v10, v7
	v_pk_fma_f32 v[20:21], v[2:3], v[20:21], 0 op_sel_hi:[0,1,0]
	v_ashrrev_i32_e32 v19, 31, v18
	v_pk_fma_f32 v[20:21], v[6:7], v[22:23], v[20:21] op_sel_hi:[0,1,1]
	s_waitcnt lgkmcnt(1)
	v_cvt_f32_f16_sdwa v23, v14 dst_sel:DWORD dst_unused:UNUSED_PAD src0_sel:WORD_1
	v_cvt_f32_f16_e32 v22, v14
	v_lshl_add_u64 v[18:19], v[18:19], 3, v[116:117]
	v_pk_fma_f32 v[20:21], v[10:11], v[22:23], v[20:21] op_sel_hi:[0,1,1]
	s_waitcnt lgkmcnt(0)
	v_cvt_f32_f16_sdwa v23, v16 dst_sel:DWORD dst_unused:UNUSED_PAD src0_sel:WORD_1
	v_cvt_f32_f16_e32 v22, v16
	v_pk_fma_f32 v[20:21], v[8:9], v[22:23], v[20:21] op_sel_hi:[0,1,1]
	v_div_scale_f32 v1, s[38:39], v3, v3, v21
	v_rcp_f32_e32 v5, v1
	s_nop 0
	v_fma_f32 v7, -v1, v5, 1.0
	v_fmac_f32_e32 v5, v7, v5
	v_div_scale_f32 v7, vcc, v21, v3, v21
	v_mul_f32_e32 v9, v7, v5
	v_fma_f32 v12, -v1, v9, v7
	v_fmac_f32_e32 v9, v12, v5
	v_fma_f32 v1, -v1, v9, v7
	v_div_fmas_f32 v1, v1, v5, v9
	v_div_fixup_f32 v21, v1, v3, v21
	v_div_scale_f32 v1, s[38:39], v3, v3, v20
	v_rcp_f32_e32 v5, v1
	s_nop 0
	v_fma_f32 v7, -v1, v5, 1.0
	v_fmac_f32_e32 v5, v7, v5
	v_div_scale_f32 v7, vcc, v20, v3, v20
	v_mul_f32_e32 v9, v7, v5
	v_fma_f32 v12, -v1, v9, v7
	v_fmac_f32_e32 v9, v12, v5
	v_fma_f32 v1, -v1, v9, v7
	v_div_fmas_f32 v1, v1, v5, v9
	v_div_fixup_f32 v20, v1, v3, v20
	global_store_dwordx2 v[18:19], v[20:21], off
	v_cvt_f32_f16_sdwa v19, v11 dst_sel:DWORD dst_unused:UNUSED_PAD src0_sel:WORD_1
	v_cvt_f32_f16_e32 v18, v11
	v_cvt_f32_f16_sdwa v21, v13 dst_sel:DWORD dst_unused:UNUSED_PAD src0_sel:WORD_1
	v_cvt_f32_f16_e32 v20, v13
	v_cvt_f32_f16_sdwa v13, v15 dst_sel:DWORD dst_unused:UNUSED_PAD src0_sel:WORD_1
	v_cvt_f32_f16_e32 v12, v15
	v_pk_fma_f32 v[18:19], v[2:3], v[18:19], 0 op_sel_hi:[0,1,0]
	v_pk_fma_f32 v[6:7], v[6:7], v[20:21], v[18:19] op_sel_hi:[0,1,1]
	v_ashrrev_i32_e32 v5, 31, v4
	v_pk_fma_f32 v[6:7], v[10:11], v[12:13], v[6:7] op_sel_hi:[0,1,1]
	v_cvt_f32_f16_sdwa v11, v17 dst_sel:DWORD dst_unused:UNUSED_PAD src0_sel:WORD_1
	v_cvt_f32_f16_e32 v10, v17
	v_lshl_add_u64 v[4:5], v[40:41], 0, v[4:5]
	v_lshl_add_u64 v[4:5], v[4:5], 3, v[116:117]
	v_pk_fma_f32 v[6:7], v[8:9], v[10:11], v[6:7] op_sel_hi:[0,1,1]
	v_div_scale_f32 v1, s[38:39], v3, v3, v7
	v_rcp_f32_e32 v2, v1
	s_nop 0
	v_fma_f32 v8, -v1, v2, 1.0
	v_fmac_f32_e32 v2, v8, v2
	v_div_scale_f32 v8, vcc, v7, v3, v7
	v_mul_f32_e32 v9, v8, v2
	v_fma_f32 v10, -v1, v9, v8
	v_fmac_f32_e32 v9, v10, v2
	v_fma_f32 v1, -v1, v9, v8
	v_div_fmas_f32 v1, v1, v2, v9
	v_div_fixup_f32 v7, v1, v3, v7
	v_div_scale_f32 v1, s[38:39], v3, v3, v6
	v_rcp_f32_e32 v2, v1
	s_nop 0
	v_fma_f32 v8, -v1, v2, 1.0
	v_fmac_f32_e32 v2, v8, v2
	v_div_scale_f32 v8, vcc, v6, v3, v6
	v_mul_f32_e32 v9, v8, v2
	v_fma_f32 v10, -v1, v9, v8
	v_fmac_f32_e32 v9, v10, v2
	v_fma_f32 v1, -v1, v9, v8
	v_div_fmas_f32 v1, v1, v2, v9
	v_div_fixup_f32 v6, v1, v3, v6
	v_mov_b32_e32 v1, 0
	global_store_dwordx2 v[4:5], v[6:7], off offset:512
.LBB29_213:                             ;   in Loop: Header=BB29_14 Depth=1
	s_or_b64 exec, exec, s[36:37]
	s_movk_i32 s36, 0x47
	v_cmp_gt_i32_e32 vcc, s36, v1
	s_mov_b64 s[36:37], -1
	s_and_saveexec_b64 s[38:39], vcc
; %bb.214:                              ;   in Loop: Header=BB29_14 Depth=1
	v_cmp_eq_u32_e32 vcc, 0, v1
	s_orn2_b64 s[36:37], vcc, exec
; %bb.215:                              ;   in Loop: Header=BB29_14 Depth=1
	s_or_b64 exec, exec, s[38:39]
	s_and_b64 exec, exec, s[36:37]
	s_cbranch_execz .LBB29_12
; %bb.216:                              ;   in Loop: Header=BB29_14 Depth=1
	v_accvgpr_read_b32 v1, a16
	v_add_u32_e32 v2, v1, v195
	v_cmp_gt_i32_e32 vcc, s76, v2
	v_mov_b32_e32 v1, 0x47
	s_and_saveexec_b64 s[36:37], vcc
	s_cbranch_execz .LBB29_218
; %bb.217:                              ;   in Loop: Header=BB29_14 Depth=1
	v_readlane_b32 s38, v255, 37
	v_accvgpr_read_b32 v1, a32
	s_nop 0
	v_mul_lo_u32 v4, s38, v2
	ds_read2_b32 v[2:3], v1 offset0:128 offset1:129
	ds_read2st64_b32 v[6:7], v1 offset0:35 offset1:68
	ds_read_b32 v8, v1 offset:25856
	v_accvgpr_read_b32 v1, a46
	ds_read2st64_b32 v[10:11], v1 offset1:1
	ds_read2st64_b32 v[12:13], v1 offset0:33 offset1:34
	ds_read2st64_b32 v[14:15], v1 offset0:66 offset1:67
	;; [unrolled: 1-line block ×3, first 2 shown]
	v_add_u32_e32 v18, v40, v4
	s_waitcnt lgkmcnt(3)
	v_cvt_f32_f16_sdwa v21, v10 dst_sel:DWORD dst_unused:UNUSED_PAD src0_sel:WORD_1
	v_cvt_f32_f16_e32 v20, v10
	s_waitcnt lgkmcnt(2)
	v_cvt_f32_f16_sdwa v23, v12 dst_sel:DWORD dst_unused:UNUSED_PAD src0_sel:WORD_1
	v_cvt_f32_f16_e32 v22, v12
	v_mov_b32_e32 v10, v7
	v_pk_fma_f32 v[20:21], v[2:3], v[20:21], 0 op_sel_hi:[0,1,0]
	v_ashrrev_i32_e32 v19, 31, v18
	v_pk_fma_f32 v[20:21], v[6:7], v[22:23], v[20:21] op_sel_hi:[0,1,1]
	s_waitcnt lgkmcnt(1)
	v_cvt_f32_f16_sdwa v23, v14 dst_sel:DWORD dst_unused:UNUSED_PAD src0_sel:WORD_1
	v_cvt_f32_f16_e32 v22, v14
	v_lshl_add_u64 v[18:19], v[18:19], 3, v[116:117]
	v_pk_fma_f32 v[20:21], v[10:11], v[22:23], v[20:21] op_sel_hi:[0,1,1]
	s_waitcnt lgkmcnt(0)
	v_cvt_f32_f16_sdwa v23, v16 dst_sel:DWORD dst_unused:UNUSED_PAD src0_sel:WORD_1
	v_cvt_f32_f16_e32 v22, v16
	v_pk_fma_f32 v[20:21], v[8:9], v[22:23], v[20:21] op_sel_hi:[0,1,1]
	v_div_scale_f32 v1, s[38:39], v3, v3, v21
	v_rcp_f32_e32 v5, v1
	s_nop 0
	v_fma_f32 v7, -v1, v5, 1.0
	v_fmac_f32_e32 v5, v7, v5
	v_div_scale_f32 v7, vcc, v21, v3, v21
	v_mul_f32_e32 v9, v7, v5
	v_fma_f32 v12, -v1, v9, v7
	v_fmac_f32_e32 v9, v12, v5
	v_fma_f32 v1, -v1, v9, v7
	v_div_fmas_f32 v1, v1, v5, v9
	v_div_fixup_f32 v21, v1, v3, v21
	v_div_scale_f32 v1, s[38:39], v3, v3, v20
	v_rcp_f32_e32 v5, v1
	s_nop 0
	v_fma_f32 v7, -v1, v5, 1.0
	v_fmac_f32_e32 v5, v7, v5
	v_div_scale_f32 v7, vcc, v20, v3, v20
	v_mul_f32_e32 v9, v7, v5
	v_fma_f32 v12, -v1, v9, v7
	v_fmac_f32_e32 v9, v12, v5
	v_fma_f32 v1, -v1, v9, v7
	v_div_fmas_f32 v1, v1, v5, v9
	v_div_fixup_f32 v20, v1, v3, v20
	global_store_dwordx2 v[18:19], v[20:21], off
	v_cvt_f32_f16_sdwa v19, v11 dst_sel:DWORD dst_unused:UNUSED_PAD src0_sel:WORD_1
	v_cvt_f32_f16_e32 v18, v11
	v_cvt_f32_f16_sdwa v21, v13 dst_sel:DWORD dst_unused:UNUSED_PAD src0_sel:WORD_1
	v_cvt_f32_f16_e32 v20, v13
	;; [unrolled: 2-line block ×3, first 2 shown]
	v_pk_fma_f32 v[18:19], v[2:3], v[18:19], 0 op_sel_hi:[0,1,0]
	v_pk_fma_f32 v[6:7], v[6:7], v[20:21], v[18:19] op_sel_hi:[0,1,1]
	v_ashrrev_i32_e32 v5, 31, v4
	v_pk_fma_f32 v[6:7], v[10:11], v[12:13], v[6:7] op_sel_hi:[0,1,1]
	v_cvt_f32_f16_sdwa v11, v17 dst_sel:DWORD dst_unused:UNUSED_PAD src0_sel:WORD_1
	v_cvt_f32_f16_e32 v10, v17
	v_lshl_add_u64 v[4:5], v[40:41], 0, v[4:5]
	v_lshl_add_u64 v[4:5], v[4:5], 3, v[116:117]
	v_pk_fma_f32 v[6:7], v[8:9], v[10:11], v[6:7] op_sel_hi:[0,1,1]
	v_div_scale_f32 v1, s[38:39], v3, v3, v7
	v_rcp_f32_e32 v2, v1
	s_nop 0
	v_fma_f32 v8, -v1, v2, 1.0
	v_fmac_f32_e32 v2, v8, v2
	v_div_scale_f32 v8, vcc, v7, v3, v7
	v_mul_f32_e32 v9, v8, v2
	v_fma_f32 v10, -v1, v9, v8
	v_fmac_f32_e32 v9, v10, v2
	v_fma_f32 v1, -v1, v9, v8
	v_div_fmas_f32 v1, v1, v2, v9
	v_div_fixup_f32 v7, v1, v3, v7
	v_div_scale_f32 v1, s[38:39], v3, v3, v6
	v_rcp_f32_e32 v2, v1
	s_nop 0
	v_fma_f32 v8, -v1, v2, 1.0
	v_fmac_f32_e32 v2, v8, v2
	v_div_scale_f32 v8, vcc, v6, v3, v6
	v_mul_f32_e32 v9, v8, v2
	v_fma_f32 v10, -v1, v9, v8
	v_fmac_f32_e32 v9, v10, v2
	v_fma_f32 v1, -v1, v9, v8
	v_div_fmas_f32 v1, v1, v2, v9
	v_div_fixup_f32 v6, v1, v3, v6
	v_mov_b32_e32 v1, 0
	global_store_dwordx2 v[4:5], v[6:7], off offset:512
.LBB29_218:                             ;   in Loop: Header=BB29_14 Depth=1
	s_or_b64 exec, exec, s[36:37]
	s_movk_i32 s36, 0x47
	v_cmp_gt_i32_e32 vcc, s36, v1
	s_mov_b64 s[36:37], -1
	s_and_saveexec_b64 s[38:39], vcc
; %bb.219:                              ;   in Loop: Header=BB29_14 Depth=1
	v_cmp_eq_u32_e32 vcc, 0, v1
	s_orn2_b64 s[36:37], vcc, exec
; %bb.220:                              ;   in Loop: Header=BB29_14 Depth=1
	s_or_b64 exec, exec, s[38:39]
	s_and_b64 exec, exec, s[36:37]
	s_cbranch_execz .LBB29_12
; %bb.221:                              ;   in Loop: Header=BB29_14 Depth=1
	v_accvgpr_read_b32 v1, a17
	v_add_u32_e32 v2, v1, v195
	v_cmp_gt_i32_e32 vcc, s76, v2
	v_mov_b32_e32 v1, 0x47
	s_and_saveexec_b64 s[36:37], vcc
	s_cbranch_execz .LBB29_223
; %bb.222:                              ;   in Loop: Header=BB29_14 Depth=1
	v_readlane_b32 s38, v255, 37
	v_accvgpr_read_b32 v1, a33
	s_nop 0
	v_mul_lo_u32 v4, s38, v2
	ds_read2_b32 v[2:3], v1 offset0:128 offset1:129
	ds_read2st64_b32 v[6:7], v1 offset0:35 offset1:68
	ds_read_b32 v8, v1 offset:25856
	v_accvgpr_read_b32 v1, a47
	ds_read2st64_b32 v[10:11], v1 offset1:1
	ds_read2st64_b32 v[12:13], v1 offset0:33 offset1:34
	ds_read2st64_b32 v[14:15], v1 offset0:66 offset1:67
	;; [unrolled: 1-line block ×3, first 2 shown]
	v_add_u32_e32 v18, v40, v4
	s_waitcnt lgkmcnt(3)
	v_cvt_f32_f16_sdwa v21, v10 dst_sel:DWORD dst_unused:UNUSED_PAD src0_sel:WORD_1
	v_cvt_f32_f16_e32 v20, v10
	s_waitcnt lgkmcnt(2)
	v_cvt_f32_f16_sdwa v23, v12 dst_sel:DWORD dst_unused:UNUSED_PAD src0_sel:WORD_1
	v_cvt_f32_f16_e32 v22, v12
	v_mov_b32_e32 v10, v7
	v_pk_fma_f32 v[20:21], v[2:3], v[20:21], 0 op_sel_hi:[0,1,0]
	v_ashrrev_i32_e32 v19, 31, v18
	v_pk_fma_f32 v[20:21], v[6:7], v[22:23], v[20:21] op_sel_hi:[0,1,1]
	s_waitcnt lgkmcnt(1)
	v_cvt_f32_f16_sdwa v23, v14 dst_sel:DWORD dst_unused:UNUSED_PAD src0_sel:WORD_1
	v_cvt_f32_f16_e32 v22, v14
	v_lshl_add_u64 v[18:19], v[18:19], 3, v[116:117]
	v_pk_fma_f32 v[20:21], v[10:11], v[22:23], v[20:21] op_sel_hi:[0,1,1]
	s_waitcnt lgkmcnt(0)
	v_cvt_f32_f16_sdwa v23, v16 dst_sel:DWORD dst_unused:UNUSED_PAD src0_sel:WORD_1
	v_cvt_f32_f16_e32 v22, v16
	v_pk_fma_f32 v[20:21], v[8:9], v[22:23], v[20:21] op_sel_hi:[0,1,1]
	v_div_scale_f32 v1, s[38:39], v3, v3, v21
	v_rcp_f32_e32 v5, v1
	s_nop 0
	v_fma_f32 v7, -v1, v5, 1.0
	v_fmac_f32_e32 v5, v7, v5
	v_div_scale_f32 v7, vcc, v21, v3, v21
	v_mul_f32_e32 v9, v7, v5
	v_fma_f32 v12, -v1, v9, v7
	v_fmac_f32_e32 v9, v12, v5
	v_fma_f32 v1, -v1, v9, v7
	v_div_fmas_f32 v1, v1, v5, v9
	v_div_fixup_f32 v21, v1, v3, v21
	v_div_scale_f32 v1, s[38:39], v3, v3, v20
	v_rcp_f32_e32 v5, v1
	s_nop 0
	v_fma_f32 v7, -v1, v5, 1.0
	v_fmac_f32_e32 v5, v7, v5
	v_div_scale_f32 v7, vcc, v20, v3, v20
	v_mul_f32_e32 v9, v7, v5
	v_fma_f32 v12, -v1, v9, v7
	v_fmac_f32_e32 v9, v12, v5
	v_fma_f32 v1, -v1, v9, v7
	v_div_fmas_f32 v1, v1, v5, v9
	v_div_fixup_f32 v20, v1, v3, v20
	global_store_dwordx2 v[18:19], v[20:21], off
	v_cvt_f32_f16_sdwa v19, v11 dst_sel:DWORD dst_unused:UNUSED_PAD src0_sel:WORD_1
	v_cvt_f32_f16_e32 v18, v11
	v_cvt_f32_f16_sdwa v21, v13 dst_sel:DWORD dst_unused:UNUSED_PAD src0_sel:WORD_1
	v_cvt_f32_f16_e32 v20, v13
	;; [unrolled: 2-line block ×3, first 2 shown]
	v_pk_fma_f32 v[18:19], v[2:3], v[18:19], 0 op_sel_hi:[0,1,0]
	v_pk_fma_f32 v[6:7], v[6:7], v[20:21], v[18:19] op_sel_hi:[0,1,1]
	v_ashrrev_i32_e32 v5, 31, v4
	v_pk_fma_f32 v[6:7], v[10:11], v[12:13], v[6:7] op_sel_hi:[0,1,1]
	v_cvt_f32_f16_sdwa v11, v17 dst_sel:DWORD dst_unused:UNUSED_PAD src0_sel:WORD_1
	v_cvt_f32_f16_e32 v10, v17
	v_lshl_add_u64 v[4:5], v[40:41], 0, v[4:5]
	v_lshl_add_u64 v[4:5], v[4:5], 3, v[116:117]
	v_pk_fma_f32 v[6:7], v[8:9], v[10:11], v[6:7] op_sel_hi:[0,1,1]
	v_div_scale_f32 v1, s[38:39], v3, v3, v7
	v_rcp_f32_e32 v2, v1
	s_nop 0
	v_fma_f32 v8, -v1, v2, 1.0
	v_fmac_f32_e32 v2, v8, v2
	v_div_scale_f32 v8, vcc, v7, v3, v7
	v_mul_f32_e32 v9, v8, v2
	v_fma_f32 v10, -v1, v9, v8
	v_fmac_f32_e32 v9, v10, v2
	v_fma_f32 v1, -v1, v9, v8
	v_div_fmas_f32 v1, v1, v2, v9
	v_div_fixup_f32 v7, v1, v3, v7
	v_div_scale_f32 v1, s[38:39], v3, v3, v6
	v_rcp_f32_e32 v2, v1
	s_nop 0
	v_fma_f32 v8, -v1, v2, 1.0
	v_fmac_f32_e32 v2, v8, v2
	v_div_scale_f32 v8, vcc, v6, v3, v6
	v_mul_f32_e32 v9, v8, v2
	v_fma_f32 v10, -v1, v9, v8
	v_fmac_f32_e32 v9, v10, v2
	v_fma_f32 v1, -v1, v9, v8
	v_div_fmas_f32 v1, v1, v2, v9
	v_div_fixup_f32 v6, v1, v3, v6
	v_mov_b32_e32 v1, 0
	global_store_dwordx2 v[4:5], v[6:7], off offset:512
.LBB29_223:                             ;   in Loop: Header=BB29_14 Depth=1
	s_or_b64 exec, exec, s[36:37]
	s_movk_i32 s36, 0x47
	v_cmp_gt_i32_e32 vcc, s36, v1
	s_mov_b64 s[36:37], -1
	s_and_saveexec_b64 s[38:39], vcc
; %bb.224:                              ;   in Loop: Header=BB29_14 Depth=1
	v_cmp_eq_u32_e32 vcc, 0, v1
	s_orn2_b64 s[36:37], vcc, exec
; %bb.225:                              ;   in Loop: Header=BB29_14 Depth=1
	s_or_b64 exec, exec, s[38:39]
	s_and_b64 exec, exec, s[36:37]
	s_cbranch_execz .LBB29_12
; %bb.226:                              ;   in Loop: Header=BB29_14 Depth=1
	v_accvgpr_read_b32 v1, a18
	v_add_u32_e32 v2, v1, v195
	v_cmp_gt_i32_e32 vcc, s76, v2
	v_mov_b32_e32 v1, 0x47
	s_and_saveexec_b64 s[36:37], vcc
	s_cbranch_execz .LBB29_228
; %bb.227:                              ;   in Loop: Header=BB29_14 Depth=1
	v_readlane_b32 s38, v255, 37
	v_accvgpr_read_b32 v1, a34
	s_nop 0
	v_mul_lo_u32 v4, s38, v2
	ds_read2_b32 v[2:3], v1 offset0:128 offset1:129
	ds_read2st64_b32 v[6:7], v1 offset0:35 offset1:68
	ds_read_b32 v8, v1 offset:25856
	v_accvgpr_read_b32 v1, a48
	ds_read2st64_b32 v[10:11], v1 offset1:1
	ds_read2st64_b32 v[12:13], v1 offset0:33 offset1:34
	ds_read2st64_b32 v[14:15], v1 offset0:66 offset1:67
	;; [unrolled: 1-line block ×3, first 2 shown]
	v_add_u32_e32 v18, v40, v4
	s_waitcnt lgkmcnt(3)
	v_cvt_f32_f16_sdwa v21, v10 dst_sel:DWORD dst_unused:UNUSED_PAD src0_sel:WORD_1
	v_cvt_f32_f16_e32 v20, v10
	s_waitcnt lgkmcnt(2)
	v_cvt_f32_f16_sdwa v23, v12 dst_sel:DWORD dst_unused:UNUSED_PAD src0_sel:WORD_1
	v_cvt_f32_f16_e32 v22, v12
	v_mov_b32_e32 v10, v7
	v_pk_fma_f32 v[20:21], v[2:3], v[20:21], 0 op_sel_hi:[0,1,0]
	v_ashrrev_i32_e32 v19, 31, v18
	v_pk_fma_f32 v[20:21], v[6:7], v[22:23], v[20:21] op_sel_hi:[0,1,1]
	s_waitcnt lgkmcnt(1)
	v_cvt_f32_f16_sdwa v23, v14 dst_sel:DWORD dst_unused:UNUSED_PAD src0_sel:WORD_1
	v_cvt_f32_f16_e32 v22, v14
	v_lshl_add_u64 v[18:19], v[18:19], 3, v[116:117]
	v_pk_fma_f32 v[20:21], v[10:11], v[22:23], v[20:21] op_sel_hi:[0,1,1]
	s_waitcnt lgkmcnt(0)
	v_cvt_f32_f16_sdwa v23, v16 dst_sel:DWORD dst_unused:UNUSED_PAD src0_sel:WORD_1
	v_cvt_f32_f16_e32 v22, v16
	v_pk_fma_f32 v[20:21], v[8:9], v[22:23], v[20:21] op_sel_hi:[0,1,1]
	v_div_scale_f32 v1, s[38:39], v3, v3, v21
	v_rcp_f32_e32 v5, v1
	s_nop 0
	v_fma_f32 v7, -v1, v5, 1.0
	v_fmac_f32_e32 v5, v7, v5
	v_div_scale_f32 v7, vcc, v21, v3, v21
	v_mul_f32_e32 v9, v7, v5
	v_fma_f32 v12, -v1, v9, v7
	v_fmac_f32_e32 v9, v12, v5
	v_fma_f32 v1, -v1, v9, v7
	v_div_fmas_f32 v1, v1, v5, v9
	v_div_fixup_f32 v21, v1, v3, v21
	v_div_scale_f32 v1, s[38:39], v3, v3, v20
	v_rcp_f32_e32 v5, v1
	s_nop 0
	v_fma_f32 v7, -v1, v5, 1.0
	v_fmac_f32_e32 v5, v7, v5
	v_div_scale_f32 v7, vcc, v20, v3, v20
	v_mul_f32_e32 v9, v7, v5
	v_fma_f32 v12, -v1, v9, v7
	v_fmac_f32_e32 v9, v12, v5
	v_fma_f32 v1, -v1, v9, v7
	v_div_fmas_f32 v1, v1, v5, v9
	v_div_fixup_f32 v20, v1, v3, v20
	global_store_dwordx2 v[18:19], v[20:21], off
	v_cvt_f32_f16_sdwa v19, v11 dst_sel:DWORD dst_unused:UNUSED_PAD src0_sel:WORD_1
	v_cvt_f32_f16_e32 v18, v11
	v_cvt_f32_f16_sdwa v21, v13 dst_sel:DWORD dst_unused:UNUSED_PAD src0_sel:WORD_1
	v_cvt_f32_f16_e32 v20, v13
	;; [unrolled: 2-line block ×3, first 2 shown]
	v_pk_fma_f32 v[18:19], v[2:3], v[18:19], 0 op_sel_hi:[0,1,0]
	v_pk_fma_f32 v[6:7], v[6:7], v[20:21], v[18:19] op_sel_hi:[0,1,1]
	v_ashrrev_i32_e32 v5, 31, v4
	v_pk_fma_f32 v[6:7], v[10:11], v[12:13], v[6:7] op_sel_hi:[0,1,1]
	v_cvt_f32_f16_sdwa v11, v17 dst_sel:DWORD dst_unused:UNUSED_PAD src0_sel:WORD_1
	v_cvt_f32_f16_e32 v10, v17
	v_lshl_add_u64 v[4:5], v[40:41], 0, v[4:5]
	v_lshl_add_u64 v[4:5], v[4:5], 3, v[116:117]
	v_pk_fma_f32 v[6:7], v[8:9], v[10:11], v[6:7] op_sel_hi:[0,1,1]
	v_div_scale_f32 v1, s[38:39], v3, v3, v7
	v_rcp_f32_e32 v2, v1
	s_nop 0
	v_fma_f32 v8, -v1, v2, 1.0
	v_fmac_f32_e32 v2, v8, v2
	v_div_scale_f32 v8, vcc, v7, v3, v7
	v_mul_f32_e32 v9, v8, v2
	v_fma_f32 v10, -v1, v9, v8
	v_fmac_f32_e32 v9, v10, v2
	v_fma_f32 v1, -v1, v9, v8
	v_div_fmas_f32 v1, v1, v2, v9
	v_div_fixup_f32 v7, v1, v3, v7
	v_div_scale_f32 v1, s[38:39], v3, v3, v6
	v_rcp_f32_e32 v2, v1
	s_nop 0
	v_fma_f32 v8, -v1, v2, 1.0
	v_fmac_f32_e32 v2, v8, v2
	v_div_scale_f32 v8, vcc, v6, v3, v6
	v_mul_f32_e32 v9, v8, v2
	v_fma_f32 v10, -v1, v9, v8
	v_fmac_f32_e32 v9, v10, v2
	v_fma_f32 v1, -v1, v9, v8
	v_div_fmas_f32 v1, v1, v2, v9
	v_div_fixup_f32 v6, v1, v3, v6
	v_mov_b32_e32 v1, 0
	global_store_dwordx2 v[4:5], v[6:7], off offset:512
.LBB29_228:                             ;   in Loop: Header=BB29_14 Depth=1
	s_or_b64 exec, exec, s[36:37]
	s_movk_i32 s36, 0x47
	v_cmp_gt_i32_e32 vcc, s36, v1
	s_mov_b64 s[36:37], -1
	s_and_saveexec_b64 s[38:39], vcc
; %bb.229:                              ;   in Loop: Header=BB29_14 Depth=1
	v_cmp_eq_u32_e32 vcc, 0, v1
	s_orn2_b64 s[36:37], vcc, exec
; %bb.230:                              ;   in Loop: Header=BB29_14 Depth=1
	s_or_b64 exec, exec, s[38:39]
	s_and_b64 exec, exec, s[36:37]
	s_cbranch_execz .LBB29_12
; %bb.231:                              ;   in Loop: Header=BB29_14 Depth=1
	v_accvgpr_read_b32 v1, a19
	v_add_u32_e32 v2, v1, v195
	v_cmp_gt_i32_e32 vcc, s76, v2
	v_mov_b32_e32 v1, 0x47
	s_and_saveexec_b64 s[36:37], vcc
	s_cbranch_execz .LBB29_233
; %bb.232:                              ;   in Loop: Header=BB29_14 Depth=1
	v_readlane_b32 s38, v255, 37
	v_accvgpr_read_b32 v1, a35
	s_nop 0
	v_mul_lo_u32 v4, s38, v2
	ds_read2_b32 v[2:3], v1 offset0:128 offset1:129
	ds_read2st64_b32 v[6:7], v1 offset0:35 offset1:68
	ds_read_b32 v8, v1 offset:25856
	v_accvgpr_read_b32 v1, a49
	ds_read2st64_b32 v[10:11], v1 offset1:1
	ds_read2st64_b32 v[12:13], v1 offset0:33 offset1:34
	ds_read2st64_b32 v[14:15], v1 offset0:66 offset1:67
	;; [unrolled: 1-line block ×3, first 2 shown]
	v_add_u32_e32 v18, v40, v4
	s_waitcnt lgkmcnt(3)
	v_cvt_f32_f16_sdwa v21, v10 dst_sel:DWORD dst_unused:UNUSED_PAD src0_sel:WORD_1
	v_cvt_f32_f16_e32 v20, v10
	s_waitcnt lgkmcnt(2)
	v_cvt_f32_f16_sdwa v23, v12 dst_sel:DWORD dst_unused:UNUSED_PAD src0_sel:WORD_1
	v_cvt_f32_f16_e32 v22, v12
	v_mov_b32_e32 v10, v7
	v_pk_fma_f32 v[20:21], v[2:3], v[20:21], 0 op_sel_hi:[0,1,0]
	v_ashrrev_i32_e32 v19, 31, v18
	v_pk_fma_f32 v[20:21], v[6:7], v[22:23], v[20:21] op_sel_hi:[0,1,1]
	s_waitcnt lgkmcnt(1)
	v_cvt_f32_f16_sdwa v23, v14 dst_sel:DWORD dst_unused:UNUSED_PAD src0_sel:WORD_1
	v_cvt_f32_f16_e32 v22, v14
	v_lshl_add_u64 v[18:19], v[18:19], 3, v[116:117]
	v_pk_fma_f32 v[20:21], v[10:11], v[22:23], v[20:21] op_sel_hi:[0,1,1]
	s_waitcnt lgkmcnt(0)
	v_cvt_f32_f16_sdwa v23, v16 dst_sel:DWORD dst_unused:UNUSED_PAD src0_sel:WORD_1
	v_cvt_f32_f16_e32 v22, v16
	v_pk_fma_f32 v[20:21], v[8:9], v[22:23], v[20:21] op_sel_hi:[0,1,1]
	v_div_scale_f32 v1, s[38:39], v3, v3, v21
	v_rcp_f32_e32 v5, v1
	s_nop 0
	v_fma_f32 v7, -v1, v5, 1.0
	v_fmac_f32_e32 v5, v7, v5
	v_div_scale_f32 v7, vcc, v21, v3, v21
	v_mul_f32_e32 v9, v7, v5
	v_fma_f32 v12, -v1, v9, v7
	v_fmac_f32_e32 v9, v12, v5
	v_fma_f32 v1, -v1, v9, v7
	v_div_fmas_f32 v1, v1, v5, v9
	v_div_fixup_f32 v21, v1, v3, v21
	v_div_scale_f32 v1, s[38:39], v3, v3, v20
	v_rcp_f32_e32 v5, v1
	s_nop 0
	v_fma_f32 v7, -v1, v5, 1.0
	v_fmac_f32_e32 v5, v7, v5
	v_div_scale_f32 v7, vcc, v20, v3, v20
	v_mul_f32_e32 v9, v7, v5
	v_fma_f32 v12, -v1, v9, v7
	v_fmac_f32_e32 v9, v12, v5
	v_fma_f32 v1, -v1, v9, v7
	v_div_fmas_f32 v1, v1, v5, v9
	v_div_fixup_f32 v20, v1, v3, v20
	global_store_dwordx2 v[18:19], v[20:21], off
	v_cvt_f32_f16_sdwa v19, v11 dst_sel:DWORD dst_unused:UNUSED_PAD src0_sel:WORD_1
	v_cvt_f32_f16_e32 v18, v11
	v_cvt_f32_f16_sdwa v21, v13 dst_sel:DWORD dst_unused:UNUSED_PAD src0_sel:WORD_1
	v_cvt_f32_f16_e32 v20, v13
	v_cvt_f32_f16_sdwa v13, v15 dst_sel:DWORD dst_unused:UNUSED_PAD src0_sel:WORD_1
	v_cvt_f32_f16_e32 v12, v15
	v_pk_fma_f32 v[18:19], v[2:3], v[18:19], 0 op_sel_hi:[0,1,0]
	v_pk_fma_f32 v[6:7], v[6:7], v[20:21], v[18:19] op_sel_hi:[0,1,1]
	v_ashrrev_i32_e32 v5, 31, v4
	v_pk_fma_f32 v[6:7], v[10:11], v[12:13], v[6:7] op_sel_hi:[0,1,1]
	v_cvt_f32_f16_sdwa v11, v17 dst_sel:DWORD dst_unused:UNUSED_PAD src0_sel:WORD_1
	v_cvt_f32_f16_e32 v10, v17
	v_lshl_add_u64 v[4:5], v[40:41], 0, v[4:5]
	v_lshl_add_u64 v[4:5], v[4:5], 3, v[116:117]
	v_pk_fma_f32 v[6:7], v[8:9], v[10:11], v[6:7] op_sel_hi:[0,1,1]
	v_div_scale_f32 v1, s[38:39], v3, v3, v7
	v_rcp_f32_e32 v2, v1
	s_nop 0
	v_fma_f32 v8, -v1, v2, 1.0
	v_fmac_f32_e32 v2, v8, v2
	v_div_scale_f32 v8, vcc, v7, v3, v7
	v_mul_f32_e32 v9, v8, v2
	v_fma_f32 v10, -v1, v9, v8
	v_fmac_f32_e32 v9, v10, v2
	v_fma_f32 v1, -v1, v9, v8
	v_div_fmas_f32 v1, v1, v2, v9
	v_div_fixup_f32 v7, v1, v3, v7
	v_div_scale_f32 v1, s[38:39], v3, v3, v6
	v_rcp_f32_e32 v2, v1
	s_nop 0
	v_fma_f32 v8, -v1, v2, 1.0
	v_fmac_f32_e32 v2, v8, v2
	v_div_scale_f32 v8, vcc, v6, v3, v6
	v_mul_f32_e32 v9, v8, v2
	v_fma_f32 v10, -v1, v9, v8
	v_fmac_f32_e32 v9, v10, v2
	v_fma_f32 v1, -v1, v9, v8
	v_div_fmas_f32 v1, v1, v2, v9
	v_div_fixup_f32 v6, v1, v3, v6
	v_mov_b32_e32 v1, 0
	global_store_dwordx2 v[4:5], v[6:7], off offset:512
.LBB29_233:                             ;   in Loop: Header=BB29_14 Depth=1
	s_or_b64 exec, exec, s[36:37]
	s_movk_i32 s36, 0x47
	v_cmp_gt_i32_e32 vcc, s36, v1
	s_mov_b64 s[36:37], -1
	s_and_saveexec_b64 s[38:39], vcc
; %bb.234:                              ;   in Loop: Header=BB29_14 Depth=1
	v_cmp_eq_u32_e32 vcc, 0, v1
	s_orn2_b64 s[36:37], vcc, exec
; %bb.235:                              ;   in Loop: Header=BB29_14 Depth=1
	s_or_b64 exec, exec, s[38:39]
	s_and_b64 exec, exec, s[36:37]
	s_cbranch_execz .LBB29_12
; %bb.236:                              ;   in Loop: Header=BB29_14 Depth=1
	v_accvgpr_read_b32 v1, a20
	v_add_u32_e32 v2, v1, v195
	v_cmp_gt_i32_e32 vcc, s76, v2
	v_mov_b32_e32 v1, 0x47
	s_and_saveexec_b64 s[36:37], vcc
	s_cbranch_execz .LBB29_238
; %bb.237:                              ;   in Loop: Header=BB29_14 Depth=1
	v_readlane_b32 s38, v255, 37
	v_accvgpr_read_b32 v1, a36
	s_nop 0
	v_mul_lo_u32 v4, s38, v2
	ds_read2_b32 v[2:3], v1 offset0:128 offset1:129
	ds_read2st64_b32 v[6:7], v1 offset0:35 offset1:68
	ds_read_b32 v8, v1 offset:25856
	v_accvgpr_read_b32 v1, a50
	ds_read2st64_b32 v[10:11], v1 offset1:1
	ds_read2st64_b32 v[12:13], v1 offset0:33 offset1:34
	ds_read2st64_b32 v[14:15], v1 offset0:66 offset1:67
	;; [unrolled: 1-line block ×3, first 2 shown]
	v_add_u32_e32 v18, v40, v4
	s_waitcnt lgkmcnt(3)
	v_cvt_f32_f16_sdwa v21, v10 dst_sel:DWORD dst_unused:UNUSED_PAD src0_sel:WORD_1
	v_cvt_f32_f16_e32 v20, v10
	s_waitcnt lgkmcnt(2)
	v_cvt_f32_f16_sdwa v23, v12 dst_sel:DWORD dst_unused:UNUSED_PAD src0_sel:WORD_1
	v_cvt_f32_f16_e32 v22, v12
	v_mov_b32_e32 v10, v7
	v_pk_fma_f32 v[20:21], v[2:3], v[20:21], 0 op_sel_hi:[0,1,0]
	v_ashrrev_i32_e32 v19, 31, v18
	v_pk_fma_f32 v[20:21], v[6:7], v[22:23], v[20:21] op_sel_hi:[0,1,1]
	s_waitcnt lgkmcnt(1)
	v_cvt_f32_f16_sdwa v23, v14 dst_sel:DWORD dst_unused:UNUSED_PAD src0_sel:WORD_1
	v_cvt_f32_f16_e32 v22, v14
	v_lshl_add_u64 v[18:19], v[18:19], 3, v[116:117]
	v_pk_fma_f32 v[20:21], v[10:11], v[22:23], v[20:21] op_sel_hi:[0,1,1]
	s_waitcnt lgkmcnt(0)
	v_cvt_f32_f16_sdwa v23, v16 dst_sel:DWORD dst_unused:UNUSED_PAD src0_sel:WORD_1
	v_cvt_f32_f16_e32 v22, v16
	v_pk_fma_f32 v[20:21], v[8:9], v[22:23], v[20:21] op_sel_hi:[0,1,1]
	v_div_scale_f32 v1, s[38:39], v3, v3, v21
	v_rcp_f32_e32 v5, v1
	s_nop 0
	v_fma_f32 v7, -v1, v5, 1.0
	v_fmac_f32_e32 v5, v7, v5
	v_div_scale_f32 v7, vcc, v21, v3, v21
	v_mul_f32_e32 v9, v7, v5
	v_fma_f32 v12, -v1, v9, v7
	v_fmac_f32_e32 v9, v12, v5
	v_fma_f32 v1, -v1, v9, v7
	v_div_fmas_f32 v1, v1, v5, v9
	v_div_fixup_f32 v21, v1, v3, v21
	v_div_scale_f32 v1, s[38:39], v3, v3, v20
	v_rcp_f32_e32 v5, v1
	s_nop 0
	v_fma_f32 v7, -v1, v5, 1.0
	v_fmac_f32_e32 v5, v7, v5
	v_div_scale_f32 v7, vcc, v20, v3, v20
	v_mul_f32_e32 v9, v7, v5
	v_fma_f32 v12, -v1, v9, v7
	v_fmac_f32_e32 v9, v12, v5
	v_fma_f32 v1, -v1, v9, v7
	v_div_fmas_f32 v1, v1, v5, v9
	v_div_fixup_f32 v20, v1, v3, v20
	global_store_dwordx2 v[18:19], v[20:21], off
	v_cvt_f32_f16_sdwa v19, v11 dst_sel:DWORD dst_unused:UNUSED_PAD src0_sel:WORD_1
	v_cvt_f32_f16_e32 v18, v11
	v_cvt_f32_f16_sdwa v21, v13 dst_sel:DWORD dst_unused:UNUSED_PAD src0_sel:WORD_1
	v_cvt_f32_f16_e32 v20, v13
	;; [unrolled: 2-line block ×3, first 2 shown]
	v_pk_fma_f32 v[18:19], v[2:3], v[18:19], 0 op_sel_hi:[0,1,0]
	v_pk_fma_f32 v[6:7], v[6:7], v[20:21], v[18:19] op_sel_hi:[0,1,1]
	v_ashrrev_i32_e32 v5, 31, v4
	v_pk_fma_f32 v[6:7], v[10:11], v[12:13], v[6:7] op_sel_hi:[0,1,1]
	v_cvt_f32_f16_sdwa v11, v17 dst_sel:DWORD dst_unused:UNUSED_PAD src0_sel:WORD_1
	v_cvt_f32_f16_e32 v10, v17
	v_lshl_add_u64 v[4:5], v[40:41], 0, v[4:5]
	v_lshl_add_u64 v[4:5], v[4:5], 3, v[116:117]
	v_pk_fma_f32 v[6:7], v[8:9], v[10:11], v[6:7] op_sel_hi:[0,1,1]
	v_div_scale_f32 v1, s[38:39], v3, v3, v7
	v_rcp_f32_e32 v2, v1
	s_nop 0
	v_fma_f32 v8, -v1, v2, 1.0
	v_fmac_f32_e32 v2, v8, v2
	v_div_scale_f32 v8, vcc, v7, v3, v7
	v_mul_f32_e32 v9, v8, v2
	v_fma_f32 v10, -v1, v9, v8
	v_fmac_f32_e32 v9, v10, v2
	v_fma_f32 v1, -v1, v9, v8
	v_div_fmas_f32 v1, v1, v2, v9
	v_div_fixup_f32 v7, v1, v3, v7
	v_div_scale_f32 v1, s[38:39], v3, v3, v6
	v_rcp_f32_e32 v2, v1
	s_nop 0
	v_fma_f32 v8, -v1, v2, 1.0
	v_fmac_f32_e32 v2, v8, v2
	v_div_scale_f32 v8, vcc, v6, v3, v6
	v_mul_f32_e32 v9, v8, v2
	v_fma_f32 v10, -v1, v9, v8
	v_fmac_f32_e32 v9, v10, v2
	v_fma_f32 v1, -v1, v9, v8
	v_div_fmas_f32 v1, v1, v2, v9
	v_div_fixup_f32 v6, v1, v3, v6
	v_mov_b32_e32 v1, 0
	global_store_dwordx2 v[4:5], v[6:7], off offset:512
.LBB29_238:                             ;   in Loop: Header=BB29_14 Depth=1
	s_or_b64 exec, exec, s[36:37]
	s_movk_i32 s36, 0x47
	v_cmp_gt_i32_e32 vcc, s36, v1
	s_mov_b64 s[36:37], -1
	s_and_saveexec_b64 s[38:39], vcc
; %bb.239:                              ;   in Loop: Header=BB29_14 Depth=1
	v_cmp_eq_u32_e32 vcc, 0, v1
	s_orn2_b64 s[36:37], vcc, exec
; %bb.240:                              ;   in Loop: Header=BB29_14 Depth=1
	s_or_b64 exec, exec, s[38:39]
	s_and_b64 exec, exec, s[36:37]
	s_cbranch_execz .LBB29_12
; %bb.241:                              ;   in Loop: Header=BB29_14 Depth=1
	v_accvgpr_read_b32 v1, a21
	v_add_u32_e32 v2, v1, v195
	v_cmp_gt_i32_e32 vcc, s76, v2
	v_mov_b32_e32 v1, 0x47
	s_and_saveexec_b64 s[36:37], vcc
	s_cbranch_execz .LBB29_243
; %bb.242:                              ;   in Loop: Header=BB29_14 Depth=1
	v_readlane_b32 s38, v255, 37
	v_accvgpr_read_b32 v1, a37
	s_nop 0
	v_mul_lo_u32 v4, s38, v2
	ds_read2_b32 v[2:3], v1 offset0:128 offset1:129
	ds_read2st64_b32 v[6:7], v1 offset0:35 offset1:68
	ds_read_b32 v8, v1 offset:25856
	v_accvgpr_read_b32 v1, a51
	ds_read2st64_b32 v[10:11], v1 offset1:1
	ds_read2st64_b32 v[12:13], v1 offset0:33 offset1:34
	ds_read2st64_b32 v[14:15], v1 offset0:66 offset1:67
	;; [unrolled: 1-line block ×3, first 2 shown]
	v_add_u32_e32 v18, v40, v4
	s_waitcnt lgkmcnt(3)
	v_cvt_f32_f16_sdwa v21, v10 dst_sel:DWORD dst_unused:UNUSED_PAD src0_sel:WORD_1
	v_cvt_f32_f16_e32 v20, v10
	s_waitcnt lgkmcnt(2)
	v_cvt_f32_f16_sdwa v23, v12 dst_sel:DWORD dst_unused:UNUSED_PAD src0_sel:WORD_1
	v_cvt_f32_f16_e32 v22, v12
	v_mov_b32_e32 v10, v7
	v_pk_fma_f32 v[20:21], v[2:3], v[20:21], 0 op_sel_hi:[0,1,0]
	v_ashrrev_i32_e32 v19, 31, v18
	v_pk_fma_f32 v[20:21], v[6:7], v[22:23], v[20:21] op_sel_hi:[0,1,1]
	s_waitcnt lgkmcnt(1)
	v_cvt_f32_f16_sdwa v23, v14 dst_sel:DWORD dst_unused:UNUSED_PAD src0_sel:WORD_1
	v_cvt_f32_f16_e32 v22, v14
	v_lshl_add_u64 v[18:19], v[18:19], 3, v[116:117]
	v_pk_fma_f32 v[20:21], v[10:11], v[22:23], v[20:21] op_sel_hi:[0,1,1]
	s_waitcnt lgkmcnt(0)
	v_cvt_f32_f16_sdwa v23, v16 dst_sel:DWORD dst_unused:UNUSED_PAD src0_sel:WORD_1
	v_cvt_f32_f16_e32 v22, v16
	v_pk_fma_f32 v[20:21], v[8:9], v[22:23], v[20:21] op_sel_hi:[0,1,1]
	v_div_scale_f32 v1, s[38:39], v3, v3, v21
	v_rcp_f32_e32 v5, v1
	s_nop 0
	v_fma_f32 v7, -v1, v5, 1.0
	v_fmac_f32_e32 v5, v7, v5
	v_div_scale_f32 v7, vcc, v21, v3, v21
	v_mul_f32_e32 v9, v7, v5
	v_fma_f32 v12, -v1, v9, v7
	v_fmac_f32_e32 v9, v12, v5
	v_fma_f32 v1, -v1, v9, v7
	v_div_fmas_f32 v1, v1, v5, v9
	v_div_fixup_f32 v21, v1, v3, v21
	v_div_scale_f32 v1, s[38:39], v3, v3, v20
	v_rcp_f32_e32 v5, v1
	s_nop 0
	v_fma_f32 v7, -v1, v5, 1.0
	v_fmac_f32_e32 v5, v7, v5
	v_div_scale_f32 v7, vcc, v20, v3, v20
	v_mul_f32_e32 v9, v7, v5
	v_fma_f32 v12, -v1, v9, v7
	v_fmac_f32_e32 v9, v12, v5
	v_fma_f32 v1, -v1, v9, v7
	v_div_fmas_f32 v1, v1, v5, v9
	v_div_fixup_f32 v20, v1, v3, v20
	global_store_dwordx2 v[18:19], v[20:21], off
	v_cvt_f32_f16_sdwa v19, v11 dst_sel:DWORD dst_unused:UNUSED_PAD src0_sel:WORD_1
	v_cvt_f32_f16_e32 v18, v11
	v_cvt_f32_f16_sdwa v21, v13 dst_sel:DWORD dst_unused:UNUSED_PAD src0_sel:WORD_1
	v_cvt_f32_f16_e32 v20, v13
	v_cvt_f32_f16_sdwa v13, v15 dst_sel:DWORD dst_unused:UNUSED_PAD src0_sel:WORD_1
	v_cvt_f32_f16_e32 v12, v15
	v_pk_fma_f32 v[18:19], v[2:3], v[18:19], 0 op_sel_hi:[0,1,0]
	v_pk_fma_f32 v[6:7], v[6:7], v[20:21], v[18:19] op_sel_hi:[0,1,1]
	v_ashrrev_i32_e32 v5, 31, v4
	v_pk_fma_f32 v[6:7], v[10:11], v[12:13], v[6:7] op_sel_hi:[0,1,1]
	v_cvt_f32_f16_sdwa v11, v17 dst_sel:DWORD dst_unused:UNUSED_PAD src0_sel:WORD_1
	v_cvt_f32_f16_e32 v10, v17
	v_lshl_add_u64 v[4:5], v[40:41], 0, v[4:5]
	v_lshl_add_u64 v[4:5], v[4:5], 3, v[116:117]
	v_pk_fma_f32 v[6:7], v[8:9], v[10:11], v[6:7] op_sel_hi:[0,1,1]
	v_div_scale_f32 v1, s[38:39], v3, v3, v7
	v_rcp_f32_e32 v2, v1
	s_nop 0
	v_fma_f32 v8, -v1, v2, 1.0
	v_fmac_f32_e32 v2, v8, v2
	v_div_scale_f32 v8, vcc, v7, v3, v7
	v_mul_f32_e32 v9, v8, v2
	v_fma_f32 v10, -v1, v9, v8
	v_fmac_f32_e32 v9, v10, v2
	v_fma_f32 v1, -v1, v9, v8
	v_div_fmas_f32 v1, v1, v2, v9
	v_div_fixup_f32 v7, v1, v3, v7
	v_div_scale_f32 v1, s[38:39], v3, v3, v6
	v_rcp_f32_e32 v2, v1
	s_nop 0
	v_fma_f32 v8, -v1, v2, 1.0
	v_fmac_f32_e32 v2, v8, v2
	v_div_scale_f32 v8, vcc, v6, v3, v6
	v_mul_f32_e32 v9, v8, v2
	v_fma_f32 v10, -v1, v9, v8
	v_fmac_f32_e32 v9, v10, v2
	v_fma_f32 v1, -v1, v9, v8
	v_div_fmas_f32 v1, v1, v2, v9
	v_div_fixup_f32 v6, v1, v3, v6
	v_mov_b32_e32 v1, 0
	global_store_dwordx2 v[4:5], v[6:7], off offset:512
.LBB29_243:                             ;   in Loop: Header=BB29_14 Depth=1
	s_or_b64 exec, exec, s[36:37]
	s_movk_i32 s36, 0x47
	v_cmp_gt_i32_e32 vcc, s36, v1
	s_mov_b64 s[36:37], -1
	s_and_saveexec_b64 s[38:39], vcc
; %bb.244:                              ;   in Loop: Header=BB29_14 Depth=1
	v_cmp_eq_u32_e32 vcc, 0, v1
	s_orn2_b64 s[36:37], vcc, exec
; %bb.245:                              ;   in Loop: Header=BB29_14 Depth=1
	s_or_b64 exec, exec, s[38:39]
	s_and_b64 exec, exec, s[36:37]
	s_cbranch_execz .LBB29_12
; %bb.246:                              ;   in Loop: Header=BB29_14 Depth=1
	v_accvgpr_read_b32 v1, a22
	v_add_u32_e32 v2, v1, v195
	v_cmp_gt_i32_e32 vcc, s76, v2
	v_mov_b32_e32 v1, 0x47
	s_and_saveexec_b64 s[36:37], vcc
	s_cbranch_execz .LBB29_248
; %bb.247:                              ;   in Loop: Header=BB29_14 Depth=1
	v_readlane_b32 s38, v255, 37
	v_accvgpr_read_b32 v1, a38
	s_nop 0
	v_mul_lo_u32 v4, s38, v2
	ds_read2_b32 v[2:3], v1 offset0:128 offset1:129
	ds_read2st64_b32 v[6:7], v1 offset0:35 offset1:68
	ds_read_b32 v8, v1 offset:25856
	v_accvgpr_read_b32 v1, a52
	ds_read2st64_b32 v[10:11], v1 offset1:1
	ds_read2st64_b32 v[12:13], v1 offset0:33 offset1:34
	ds_read2st64_b32 v[14:15], v1 offset0:66 offset1:67
	;; [unrolled: 1-line block ×3, first 2 shown]
	v_add_u32_e32 v18, v40, v4
	s_waitcnt lgkmcnt(3)
	v_cvt_f32_f16_sdwa v21, v10 dst_sel:DWORD dst_unused:UNUSED_PAD src0_sel:WORD_1
	v_cvt_f32_f16_e32 v20, v10
	s_waitcnt lgkmcnt(2)
	v_cvt_f32_f16_sdwa v23, v12 dst_sel:DWORD dst_unused:UNUSED_PAD src0_sel:WORD_1
	v_cvt_f32_f16_e32 v22, v12
	v_mov_b32_e32 v10, v7
	v_pk_fma_f32 v[20:21], v[2:3], v[20:21], 0 op_sel_hi:[0,1,0]
	v_ashrrev_i32_e32 v19, 31, v18
	v_pk_fma_f32 v[20:21], v[6:7], v[22:23], v[20:21] op_sel_hi:[0,1,1]
	s_waitcnt lgkmcnt(1)
	v_cvt_f32_f16_sdwa v23, v14 dst_sel:DWORD dst_unused:UNUSED_PAD src0_sel:WORD_1
	v_cvt_f32_f16_e32 v22, v14
	v_lshl_add_u64 v[18:19], v[18:19], 3, v[116:117]
	v_pk_fma_f32 v[20:21], v[10:11], v[22:23], v[20:21] op_sel_hi:[0,1,1]
	s_waitcnt lgkmcnt(0)
	v_cvt_f32_f16_sdwa v23, v16 dst_sel:DWORD dst_unused:UNUSED_PAD src0_sel:WORD_1
	v_cvt_f32_f16_e32 v22, v16
	v_pk_fma_f32 v[20:21], v[8:9], v[22:23], v[20:21] op_sel_hi:[0,1,1]
	v_div_scale_f32 v1, s[38:39], v3, v3, v21
	v_rcp_f32_e32 v5, v1
	s_nop 0
	v_fma_f32 v7, -v1, v5, 1.0
	v_fmac_f32_e32 v5, v7, v5
	v_div_scale_f32 v7, vcc, v21, v3, v21
	v_mul_f32_e32 v9, v7, v5
	v_fma_f32 v12, -v1, v9, v7
	v_fmac_f32_e32 v9, v12, v5
	v_fma_f32 v1, -v1, v9, v7
	v_div_fmas_f32 v1, v1, v5, v9
	v_div_fixup_f32 v21, v1, v3, v21
	v_div_scale_f32 v1, s[38:39], v3, v3, v20
	v_rcp_f32_e32 v5, v1
	s_nop 0
	v_fma_f32 v7, -v1, v5, 1.0
	v_fmac_f32_e32 v5, v7, v5
	v_div_scale_f32 v7, vcc, v20, v3, v20
	v_mul_f32_e32 v9, v7, v5
	v_fma_f32 v12, -v1, v9, v7
	v_fmac_f32_e32 v9, v12, v5
	v_fma_f32 v1, -v1, v9, v7
	v_div_fmas_f32 v1, v1, v5, v9
	v_div_fixup_f32 v20, v1, v3, v20
	global_store_dwordx2 v[18:19], v[20:21], off
	v_cvt_f32_f16_sdwa v19, v11 dst_sel:DWORD dst_unused:UNUSED_PAD src0_sel:WORD_1
	v_cvt_f32_f16_e32 v18, v11
	v_cvt_f32_f16_sdwa v21, v13 dst_sel:DWORD dst_unused:UNUSED_PAD src0_sel:WORD_1
	v_cvt_f32_f16_e32 v20, v13
	;; [unrolled: 2-line block ×3, first 2 shown]
	v_pk_fma_f32 v[18:19], v[2:3], v[18:19], 0 op_sel_hi:[0,1,0]
	v_pk_fma_f32 v[6:7], v[6:7], v[20:21], v[18:19] op_sel_hi:[0,1,1]
	v_ashrrev_i32_e32 v5, 31, v4
	v_pk_fma_f32 v[6:7], v[10:11], v[12:13], v[6:7] op_sel_hi:[0,1,1]
	v_cvt_f32_f16_sdwa v11, v17 dst_sel:DWORD dst_unused:UNUSED_PAD src0_sel:WORD_1
	v_cvt_f32_f16_e32 v10, v17
	v_lshl_add_u64 v[4:5], v[40:41], 0, v[4:5]
	v_lshl_add_u64 v[4:5], v[4:5], 3, v[116:117]
	v_pk_fma_f32 v[6:7], v[8:9], v[10:11], v[6:7] op_sel_hi:[0,1,1]
	v_div_scale_f32 v1, s[38:39], v3, v3, v7
	v_rcp_f32_e32 v2, v1
	s_nop 0
	v_fma_f32 v8, -v1, v2, 1.0
	v_fmac_f32_e32 v2, v8, v2
	v_div_scale_f32 v8, vcc, v7, v3, v7
	v_mul_f32_e32 v9, v8, v2
	v_fma_f32 v10, -v1, v9, v8
	v_fmac_f32_e32 v9, v10, v2
	v_fma_f32 v1, -v1, v9, v8
	v_div_fmas_f32 v1, v1, v2, v9
	v_div_fixup_f32 v7, v1, v3, v7
	v_div_scale_f32 v1, s[38:39], v3, v3, v6
	v_rcp_f32_e32 v2, v1
	s_nop 0
	v_fma_f32 v8, -v1, v2, 1.0
	v_fmac_f32_e32 v2, v8, v2
	v_div_scale_f32 v8, vcc, v6, v3, v6
	v_mul_f32_e32 v9, v8, v2
	v_fma_f32 v10, -v1, v9, v8
	v_fmac_f32_e32 v9, v10, v2
	v_fma_f32 v1, -v1, v9, v8
	v_div_fmas_f32 v1, v1, v2, v9
	v_div_fixup_f32 v6, v1, v3, v6
	v_mov_b32_e32 v1, 0
	global_store_dwordx2 v[4:5], v[6:7], off offset:512
.LBB29_248:                             ;   in Loop: Header=BB29_14 Depth=1
	s_or_b64 exec, exec, s[36:37]
	s_movk_i32 s36, 0x47
	v_cmp_gt_i32_e32 vcc, s36, v1
	s_mov_b64 s[36:37], -1
	s_and_saveexec_b64 s[38:39], vcc
; %bb.249:                              ;   in Loop: Header=BB29_14 Depth=1
	v_cmp_eq_u32_e32 vcc, 0, v1
	s_orn2_b64 s[36:37], vcc, exec
; %bb.250:                              ;   in Loop: Header=BB29_14 Depth=1
	s_or_b64 exec, exec, s[38:39]
	s_and_b64 exec, exec, s[36:37]
	s_cbranch_execz .LBB29_12
; %bb.251:                              ;   in Loop: Header=BB29_14 Depth=1
	v_accvgpr_read_b32 v1, a23
	v_add_u32_e32 v2, v1, v195
	v_cmp_gt_i32_e32 vcc, s76, v2
	v_mov_b32_e32 v1, 0x47
	s_and_saveexec_b64 s[36:37], vcc
	s_cbranch_execz .LBB29_253
; %bb.252:                              ;   in Loop: Header=BB29_14 Depth=1
	v_readlane_b32 s38, v255, 37
	v_accvgpr_read_b32 v1, a39
	s_nop 0
	v_mul_lo_u32 v4, s38, v2
	ds_read2_b32 v[2:3], v1 offset0:128 offset1:129
	ds_read2st64_b32 v[6:7], v1 offset0:35 offset1:68
	ds_read_b32 v8, v1 offset:25856
	v_accvgpr_read_b32 v1, a53
	ds_read2st64_b32 v[10:11], v1 offset1:1
	ds_read2st64_b32 v[12:13], v1 offset0:33 offset1:34
	ds_read2st64_b32 v[14:15], v1 offset0:66 offset1:67
	ds_read2st64_b32 v[16:17], v1 offset0:99 offset1:100
	v_add_u32_e32 v18, v40, v4
	s_waitcnt lgkmcnt(3)
	v_cvt_f32_f16_sdwa v21, v10 dst_sel:DWORD dst_unused:UNUSED_PAD src0_sel:WORD_1
	v_cvt_f32_f16_e32 v20, v10
	s_waitcnt lgkmcnt(2)
	v_cvt_f32_f16_sdwa v23, v12 dst_sel:DWORD dst_unused:UNUSED_PAD src0_sel:WORD_1
	v_cvt_f32_f16_e32 v22, v12
	v_mov_b32_e32 v10, v7
	v_pk_fma_f32 v[20:21], v[2:3], v[20:21], 0 op_sel_hi:[0,1,0]
	v_ashrrev_i32_e32 v19, 31, v18
	v_pk_fma_f32 v[20:21], v[6:7], v[22:23], v[20:21] op_sel_hi:[0,1,1]
	s_waitcnt lgkmcnt(1)
	v_cvt_f32_f16_sdwa v23, v14 dst_sel:DWORD dst_unused:UNUSED_PAD src0_sel:WORD_1
	v_cvt_f32_f16_e32 v22, v14
	v_lshl_add_u64 v[18:19], v[18:19], 3, v[116:117]
	v_pk_fma_f32 v[20:21], v[10:11], v[22:23], v[20:21] op_sel_hi:[0,1,1]
	s_waitcnt lgkmcnt(0)
	v_cvt_f32_f16_sdwa v23, v16 dst_sel:DWORD dst_unused:UNUSED_PAD src0_sel:WORD_1
	v_cvt_f32_f16_e32 v22, v16
	v_pk_fma_f32 v[20:21], v[8:9], v[22:23], v[20:21] op_sel_hi:[0,1,1]
	v_div_scale_f32 v1, s[38:39], v3, v3, v21
	v_rcp_f32_e32 v5, v1
	s_nop 0
	v_fma_f32 v7, -v1, v5, 1.0
	v_fmac_f32_e32 v5, v7, v5
	v_div_scale_f32 v7, vcc, v21, v3, v21
	v_mul_f32_e32 v9, v7, v5
	v_fma_f32 v12, -v1, v9, v7
	v_fmac_f32_e32 v9, v12, v5
	v_fma_f32 v1, -v1, v9, v7
	v_div_fmas_f32 v1, v1, v5, v9
	v_div_fixup_f32 v21, v1, v3, v21
	v_div_scale_f32 v1, s[38:39], v3, v3, v20
	v_rcp_f32_e32 v5, v1
	s_nop 0
	v_fma_f32 v7, -v1, v5, 1.0
	v_fmac_f32_e32 v5, v7, v5
	v_div_scale_f32 v7, vcc, v20, v3, v20
	v_mul_f32_e32 v9, v7, v5
	v_fma_f32 v12, -v1, v9, v7
	v_fmac_f32_e32 v9, v12, v5
	v_fma_f32 v1, -v1, v9, v7
	v_div_fmas_f32 v1, v1, v5, v9
	v_div_fixup_f32 v20, v1, v3, v20
	global_store_dwordx2 v[18:19], v[20:21], off
	v_cvt_f32_f16_sdwa v19, v11 dst_sel:DWORD dst_unused:UNUSED_PAD src0_sel:WORD_1
	v_cvt_f32_f16_e32 v18, v11
	v_cvt_f32_f16_sdwa v21, v13 dst_sel:DWORD dst_unused:UNUSED_PAD src0_sel:WORD_1
	v_cvt_f32_f16_e32 v20, v13
	;; [unrolled: 2-line block ×3, first 2 shown]
	v_pk_fma_f32 v[18:19], v[2:3], v[18:19], 0 op_sel_hi:[0,1,0]
	v_pk_fma_f32 v[6:7], v[6:7], v[20:21], v[18:19] op_sel_hi:[0,1,1]
	v_ashrrev_i32_e32 v5, 31, v4
	v_pk_fma_f32 v[6:7], v[10:11], v[12:13], v[6:7] op_sel_hi:[0,1,1]
	v_cvt_f32_f16_sdwa v11, v17 dst_sel:DWORD dst_unused:UNUSED_PAD src0_sel:WORD_1
	v_cvt_f32_f16_e32 v10, v17
	v_lshl_add_u64 v[4:5], v[40:41], 0, v[4:5]
	v_lshl_add_u64 v[4:5], v[4:5], 3, v[116:117]
	v_pk_fma_f32 v[6:7], v[8:9], v[10:11], v[6:7] op_sel_hi:[0,1,1]
	v_div_scale_f32 v1, s[38:39], v3, v3, v7
	v_rcp_f32_e32 v2, v1
	s_nop 0
	v_fma_f32 v8, -v1, v2, 1.0
	v_fmac_f32_e32 v2, v8, v2
	v_div_scale_f32 v8, vcc, v7, v3, v7
	v_mul_f32_e32 v9, v8, v2
	v_fma_f32 v10, -v1, v9, v8
	v_fmac_f32_e32 v9, v10, v2
	v_fma_f32 v1, -v1, v9, v8
	v_div_fmas_f32 v1, v1, v2, v9
	v_div_fixup_f32 v7, v1, v3, v7
	v_div_scale_f32 v1, s[38:39], v3, v3, v6
	v_rcp_f32_e32 v2, v1
	s_nop 0
	v_fma_f32 v8, -v1, v2, 1.0
	v_fmac_f32_e32 v2, v8, v2
	v_div_scale_f32 v8, vcc, v6, v3, v6
	v_mul_f32_e32 v9, v8, v2
	v_fma_f32 v10, -v1, v9, v8
	v_fmac_f32_e32 v9, v10, v2
	v_fma_f32 v1, -v1, v9, v8
	v_div_fmas_f32 v1, v1, v2, v9
	v_div_fixup_f32 v6, v1, v3, v6
	v_mov_b32_e32 v1, 0
	global_store_dwordx2 v[4:5], v[6:7], off offset:512
.LBB29_253:                             ;   in Loop: Header=BB29_14 Depth=1
	s_or_b64 exec, exec, s[36:37]
	s_movk_i32 s36, 0x47
	v_cmp_gt_i32_e32 vcc, s36, v1
	s_mov_b64 s[36:37], -1
	s_and_saveexec_b64 s[38:39], vcc
; %bb.254:                              ;   in Loop: Header=BB29_14 Depth=1
	v_cmp_eq_u32_e32 vcc, 0, v1
	s_orn2_b64 s[36:37], vcc, exec
; %bb.255:                              ;   in Loop: Header=BB29_14 Depth=1
	s_or_b64 exec, exec, s[38:39]
	s_and_b64 exec, exec, s[36:37]
	s_cbranch_execz .LBB29_12
; %bb.256:                              ;   in Loop: Header=BB29_14 Depth=1
	v_accvgpr_read_b32 v1, a24
	v_add_u32_e32 v2, v1, v195
	v_cmp_gt_i32_e32 vcc, s76, v2
	v_mov_b32_e32 v1, 0x47
	s_and_saveexec_b64 s[36:37], vcc
	s_cbranch_execz .LBB29_258
; %bb.257:                              ;   in Loop: Header=BB29_14 Depth=1
	v_readlane_b32 s38, v255, 37
	v_accvgpr_read_b32 v1, a40
	s_nop 0
	v_mul_lo_u32 v4, s38, v2
	ds_read2_b32 v[2:3], v1 offset0:128 offset1:129
	ds_read2st64_b32 v[6:7], v1 offset0:35 offset1:68
	ds_read_b32 v8, v1 offset:25856
	v_accvgpr_read_b32 v1, a54
	ds_read2st64_b32 v[10:11], v1 offset1:1
	ds_read2st64_b32 v[12:13], v1 offset0:33 offset1:34
	ds_read2st64_b32 v[14:15], v1 offset0:66 offset1:67
	;; [unrolled: 1-line block ×3, first 2 shown]
	v_add_u32_e32 v18, v40, v4
	s_waitcnt lgkmcnt(3)
	v_cvt_f32_f16_sdwa v21, v10 dst_sel:DWORD dst_unused:UNUSED_PAD src0_sel:WORD_1
	v_cvt_f32_f16_e32 v20, v10
	s_waitcnt lgkmcnt(2)
	v_cvt_f32_f16_sdwa v23, v12 dst_sel:DWORD dst_unused:UNUSED_PAD src0_sel:WORD_1
	v_cvt_f32_f16_e32 v22, v12
	v_mov_b32_e32 v10, v7
	v_pk_fma_f32 v[20:21], v[2:3], v[20:21], 0 op_sel_hi:[0,1,0]
	v_ashrrev_i32_e32 v19, 31, v18
	v_pk_fma_f32 v[20:21], v[6:7], v[22:23], v[20:21] op_sel_hi:[0,1,1]
	s_waitcnt lgkmcnt(1)
	v_cvt_f32_f16_sdwa v23, v14 dst_sel:DWORD dst_unused:UNUSED_PAD src0_sel:WORD_1
	v_cvt_f32_f16_e32 v22, v14
	v_lshl_add_u64 v[18:19], v[18:19], 3, v[116:117]
	v_pk_fma_f32 v[20:21], v[10:11], v[22:23], v[20:21] op_sel_hi:[0,1,1]
	s_waitcnt lgkmcnt(0)
	v_cvt_f32_f16_sdwa v23, v16 dst_sel:DWORD dst_unused:UNUSED_PAD src0_sel:WORD_1
	v_cvt_f32_f16_e32 v22, v16
	v_pk_fma_f32 v[20:21], v[8:9], v[22:23], v[20:21] op_sel_hi:[0,1,1]
	v_div_scale_f32 v1, s[38:39], v3, v3, v21
	v_rcp_f32_e32 v5, v1
	s_nop 0
	v_fma_f32 v7, -v1, v5, 1.0
	v_fmac_f32_e32 v5, v7, v5
	v_div_scale_f32 v7, vcc, v21, v3, v21
	v_mul_f32_e32 v9, v7, v5
	v_fma_f32 v12, -v1, v9, v7
	v_fmac_f32_e32 v9, v12, v5
	v_fma_f32 v1, -v1, v9, v7
	v_div_fmas_f32 v1, v1, v5, v9
	v_div_fixup_f32 v21, v1, v3, v21
	v_div_scale_f32 v1, s[38:39], v3, v3, v20
	v_rcp_f32_e32 v5, v1
	s_nop 0
	v_fma_f32 v7, -v1, v5, 1.0
	v_fmac_f32_e32 v5, v7, v5
	v_div_scale_f32 v7, vcc, v20, v3, v20
	v_mul_f32_e32 v9, v7, v5
	v_fma_f32 v12, -v1, v9, v7
	v_fmac_f32_e32 v9, v12, v5
	v_fma_f32 v1, -v1, v9, v7
	v_div_fmas_f32 v1, v1, v5, v9
	v_div_fixup_f32 v20, v1, v3, v20
	global_store_dwordx2 v[18:19], v[20:21], off
	v_cvt_f32_f16_sdwa v19, v11 dst_sel:DWORD dst_unused:UNUSED_PAD src0_sel:WORD_1
	v_cvt_f32_f16_e32 v18, v11
	v_cvt_f32_f16_sdwa v21, v13 dst_sel:DWORD dst_unused:UNUSED_PAD src0_sel:WORD_1
	v_cvt_f32_f16_e32 v20, v13
	;; [unrolled: 2-line block ×3, first 2 shown]
	v_pk_fma_f32 v[18:19], v[2:3], v[18:19], 0 op_sel_hi:[0,1,0]
	v_pk_fma_f32 v[6:7], v[6:7], v[20:21], v[18:19] op_sel_hi:[0,1,1]
	v_ashrrev_i32_e32 v5, 31, v4
	v_pk_fma_f32 v[6:7], v[10:11], v[12:13], v[6:7] op_sel_hi:[0,1,1]
	v_cvt_f32_f16_sdwa v11, v17 dst_sel:DWORD dst_unused:UNUSED_PAD src0_sel:WORD_1
	v_cvt_f32_f16_e32 v10, v17
	v_lshl_add_u64 v[4:5], v[40:41], 0, v[4:5]
	v_lshl_add_u64 v[4:5], v[4:5], 3, v[116:117]
	v_pk_fma_f32 v[6:7], v[8:9], v[10:11], v[6:7] op_sel_hi:[0,1,1]
	v_div_scale_f32 v1, s[38:39], v3, v3, v7
	v_rcp_f32_e32 v2, v1
	s_nop 0
	v_fma_f32 v8, -v1, v2, 1.0
	v_fmac_f32_e32 v2, v8, v2
	v_div_scale_f32 v8, vcc, v7, v3, v7
	v_mul_f32_e32 v9, v8, v2
	v_fma_f32 v10, -v1, v9, v8
	v_fmac_f32_e32 v9, v10, v2
	v_fma_f32 v1, -v1, v9, v8
	v_div_fmas_f32 v1, v1, v2, v9
	v_div_fixup_f32 v7, v1, v3, v7
	v_div_scale_f32 v1, s[38:39], v3, v3, v6
	v_rcp_f32_e32 v2, v1
	s_nop 0
	v_fma_f32 v8, -v1, v2, 1.0
	v_fmac_f32_e32 v2, v8, v2
	v_div_scale_f32 v8, vcc, v6, v3, v6
	v_mul_f32_e32 v9, v8, v2
	v_fma_f32 v10, -v1, v9, v8
	v_fmac_f32_e32 v9, v10, v2
	v_fma_f32 v1, -v1, v9, v8
	v_div_fmas_f32 v1, v1, v2, v9
	v_div_fixup_f32 v6, v1, v3, v6
	v_mov_b32_e32 v1, 0
	global_store_dwordx2 v[4:5], v[6:7], off offset:512
.LBB29_258:                             ;   in Loop: Header=BB29_14 Depth=1
	s_or_b64 exec, exec, s[36:37]
	s_movk_i32 s36, 0x47
	v_cmp_gt_i32_e32 vcc, s36, v1
	s_mov_b64 s[36:37], -1
	s_and_saveexec_b64 s[38:39], vcc
; %bb.259:                              ;   in Loop: Header=BB29_14 Depth=1
	v_cmp_eq_u32_e32 vcc, 0, v1
	s_orn2_b64 s[36:37], vcc, exec
; %bb.260:                              ;   in Loop: Header=BB29_14 Depth=1
	s_or_b64 exec, exec, s[38:39]
	s_and_b64 exec, exec, s[36:37]
	s_cbranch_execz .LBB29_12
; %bb.261:                              ;   in Loop: Header=BB29_14 Depth=1
	v_accvgpr_read_b32 v1, a25
	v_add_u32_e32 v2, v1, v195
	v_cmp_gt_i32_e32 vcc, s76, v2
	v_mov_b32_e32 v1, 0x47
	s_and_saveexec_b64 s[36:37], vcc
	s_cbranch_execz .LBB29_263
; %bb.262:                              ;   in Loop: Header=BB29_14 Depth=1
	v_readlane_b32 s38, v255, 37
	v_accvgpr_read_b32 v1, a41
	s_nop 0
	v_mul_lo_u32 v4, s38, v2
	ds_read2_b32 v[2:3], v1 offset0:128 offset1:129
	ds_read2st64_b32 v[6:7], v1 offset0:35 offset1:68
	ds_read_b32 v8, v1 offset:25856
	v_accvgpr_read_b32 v1, a55
	ds_read2st64_b32 v[10:11], v1 offset1:1
	ds_read2st64_b32 v[12:13], v1 offset0:33 offset1:34
	ds_read2st64_b32 v[14:15], v1 offset0:66 offset1:67
	;; [unrolled: 1-line block ×3, first 2 shown]
	v_add_u32_e32 v18, v40, v4
	s_waitcnt lgkmcnt(3)
	v_cvt_f32_f16_sdwa v21, v10 dst_sel:DWORD dst_unused:UNUSED_PAD src0_sel:WORD_1
	v_cvt_f32_f16_e32 v20, v10
	s_waitcnt lgkmcnt(2)
	v_cvt_f32_f16_sdwa v23, v12 dst_sel:DWORD dst_unused:UNUSED_PAD src0_sel:WORD_1
	v_cvt_f32_f16_e32 v22, v12
	v_mov_b32_e32 v10, v7
	v_pk_fma_f32 v[20:21], v[2:3], v[20:21], 0 op_sel_hi:[0,1,0]
	v_ashrrev_i32_e32 v19, 31, v18
	v_pk_fma_f32 v[20:21], v[6:7], v[22:23], v[20:21] op_sel_hi:[0,1,1]
	s_waitcnt lgkmcnt(1)
	v_cvt_f32_f16_sdwa v23, v14 dst_sel:DWORD dst_unused:UNUSED_PAD src0_sel:WORD_1
	v_cvt_f32_f16_e32 v22, v14
	v_lshl_add_u64 v[18:19], v[18:19], 3, v[116:117]
	v_pk_fma_f32 v[20:21], v[10:11], v[22:23], v[20:21] op_sel_hi:[0,1,1]
	s_waitcnt lgkmcnt(0)
	v_cvt_f32_f16_sdwa v23, v16 dst_sel:DWORD dst_unused:UNUSED_PAD src0_sel:WORD_1
	v_cvt_f32_f16_e32 v22, v16
	v_pk_fma_f32 v[20:21], v[8:9], v[22:23], v[20:21] op_sel_hi:[0,1,1]
	v_div_scale_f32 v1, s[38:39], v3, v3, v21
	v_rcp_f32_e32 v5, v1
	s_nop 0
	v_fma_f32 v7, -v1, v5, 1.0
	v_fmac_f32_e32 v5, v7, v5
	v_div_scale_f32 v7, vcc, v21, v3, v21
	v_mul_f32_e32 v9, v7, v5
	v_fma_f32 v12, -v1, v9, v7
	v_fmac_f32_e32 v9, v12, v5
	v_fma_f32 v1, -v1, v9, v7
	v_div_fmas_f32 v1, v1, v5, v9
	v_div_fixup_f32 v21, v1, v3, v21
	v_div_scale_f32 v1, s[38:39], v3, v3, v20
	v_rcp_f32_e32 v5, v1
	s_nop 0
	v_fma_f32 v7, -v1, v5, 1.0
	v_fmac_f32_e32 v5, v7, v5
	v_div_scale_f32 v7, vcc, v20, v3, v20
	v_mul_f32_e32 v9, v7, v5
	v_fma_f32 v12, -v1, v9, v7
	v_fmac_f32_e32 v9, v12, v5
	v_fma_f32 v1, -v1, v9, v7
	v_div_fmas_f32 v1, v1, v5, v9
	v_div_fixup_f32 v20, v1, v3, v20
	global_store_dwordx2 v[18:19], v[20:21], off
	v_cvt_f32_f16_sdwa v19, v11 dst_sel:DWORD dst_unused:UNUSED_PAD src0_sel:WORD_1
	v_cvt_f32_f16_e32 v18, v11
	v_cvt_f32_f16_sdwa v21, v13 dst_sel:DWORD dst_unused:UNUSED_PAD src0_sel:WORD_1
	v_cvt_f32_f16_e32 v20, v13
	;; [unrolled: 2-line block ×3, first 2 shown]
	v_pk_fma_f32 v[18:19], v[2:3], v[18:19], 0 op_sel_hi:[0,1,0]
	v_pk_fma_f32 v[6:7], v[6:7], v[20:21], v[18:19] op_sel_hi:[0,1,1]
	v_ashrrev_i32_e32 v5, 31, v4
	v_pk_fma_f32 v[6:7], v[10:11], v[12:13], v[6:7] op_sel_hi:[0,1,1]
	v_cvt_f32_f16_sdwa v11, v17 dst_sel:DWORD dst_unused:UNUSED_PAD src0_sel:WORD_1
	v_cvt_f32_f16_e32 v10, v17
	v_lshl_add_u64 v[4:5], v[40:41], 0, v[4:5]
	v_lshl_add_u64 v[4:5], v[4:5], 3, v[116:117]
	v_pk_fma_f32 v[6:7], v[8:9], v[10:11], v[6:7] op_sel_hi:[0,1,1]
	v_div_scale_f32 v1, s[38:39], v3, v3, v7
	v_rcp_f32_e32 v2, v1
	s_nop 0
	v_fma_f32 v8, -v1, v2, 1.0
	v_fmac_f32_e32 v2, v8, v2
	v_div_scale_f32 v8, vcc, v7, v3, v7
	v_mul_f32_e32 v9, v8, v2
	v_fma_f32 v10, -v1, v9, v8
	v_fmac_f32_e32 v9, v10, v2
	v_fma_f32 v1, -v1, v9, v8
	v_div_fmas_f32 v1, v1, v2, v9
	v_div_fixup_f32 v7, v1, v3, v7
	v_div_scale_f32 v1, s[38:39], v3, v3, v6
	v_rcp_f32_e32 v2, v1
	s_nop 0
	v_fma_f32 v8, -v1, v2, 1.0
	v_fmac_f32_e32 v2, v8, v2
	v_div_scale_f32 v8, vcc, v6, v3, v6
	v_mul_f32_e32 v9, v8, v2
	v_fma_f32 v10, -v1, v9, v8
	v_fmac_f32_e32 v9, v10, v2
	v_fma_f32 v1, -v1, v9, v8
	v_div_fmas_f32 v1, v1, v2, v9
	v_div_fixup_f32 v6, v1, v3, v6
	v_mov_b32_e32 v1, 0
	global_store_dwordx2 v[4:5], v[6:7], off offset:512
.LBB29_263:                             ;   in Loop: Header=BB29_14 Depth=1
	s_or_b64 exec, exec, s[36:37]
	s_movk_i32 s36, 0x47
	v_cmp_gt_i32_e32 vcc, s36, v1
	s_mov_b64 s[36:37], -1
	s_and_saveexec_b64 s[38:39], vcc
; %bb.264:                              ;   in Loop: Header=BB29_14 Depth=1
	v_cmp_eq_u32_e32 vcc, 0, v1
	s_orn2_b64 s[36:37], vcc, exec
; %bb.265:                              ;   in Loop: Header=BB29_14 Depth=1
	s_or_b64 exec, exec, s[38:39]
	s_and_b64 exec, exec, s[36:37]
	s_cbranch_execz .LBB29_12
; %bb.266:                              ;   in Loop: Header=BB29_14 Depth=1
	v_accvgpr_read_b32 v1, a26
	v_add_u32_e32 v1, v1, v195
	v_cmp_gt_i32_e32 vcc, s76, v1
	s_and_b64 exec, exec, vcc
	s_cbranch_execz .LBB29_12
; %bb.267:                              ;   in Loop: Header=BB29_14 Depth=1
	v_readlane_b32 s36, v255, 37
	s_nop 1
	v_mul_lo_u32 v4, s36, v1
	v_accvgpr_read_b32 v1, a42
	ds_read2_b32 v[2:3], v1 offset0:128 offset1:129
	ds_read2st64_b32 v[6:7], v1 offset0:35 offset1:68
	ds_read_b32 v8, v1 offset:25856
	v_accvgpr_read_b32 v1, a56
	ds_read2st64_b32 v[10:11], v1 offset1:1
	ds_read2st64_b32 v[12:13], v1 offset0:33 offset1:34
	ds_read2st64_b32 v[14:15], v1 offset0:66 offset1:67
	;; [unrolled: 1-line block ×3, first 2 shown]
	v_add_u32_e32 v18, v40, v4
	s_waitcnt lgkmcnt(3)
	v_cvt_f32_f16_sdwa v21, v10 dst_sel:DWORD dst_unused:UNUSED_PAD src0_sel:WORD_1
	v_cvt_f32_f16_e32 v20, v10
	s_waitcnt lgkmcnt(2)
	v_cvt_f32_f16_sdwa v23, v12 dst_sel:DWORD dst_unused:UNUSED_PAD src0_sel:WORD_1
	v_cvt_f32_f16_e32 v22, v12
	v_mov_b32_e32 v10, v7
	v_pk_fma_f32 v[20:21], v[2:3], v[20:21], 0 op_sel_hi:[0,1,0]
	v_ashrrev_i32_e32 v19, 31, v18
	v_pk_fma_f32 v[20:21], v[6:7], v[22:23], v[20:21] op_sel_hi:[0,1,1]
	s_waitcnt lgkmcnt(1)
	v_cvt_f32_f16_sdwa v23, v14 dst_sel:DWORD dst_unused:UNUSED_PAD src0_sel:WORD_1
	v_cvt_f32_f16_e32 v22, v14
	v_lshl_add_u64 v[18:19], v[18:19], 3, v[116:117]
	v_pk_fma_f32 v[20:21], v[10:11], v[22:23], v[20:21] op_sel_hi:[0,1,1]
	s_waitcnt lgkmcnt(0)
	v_cvt_f32_f16_sdwa v23, v16 dst_sel:DWORD dst_unused:UNUSED_PAD src0_sel:WORD_1
	v_cvt_f32_f16_e32 v22, v16
	v_pk_fma_f32 v[20:21], v[8:9], v[22:23], v[20:21] op_sel_hi:[0,1,1]
	v_div_scale_f32 v1, s[36:37], v3, v3, v21
	v_rcp_f32_e32 v5, v1
	s_nop 0
	v_fma_f32 v7, -v1, v5, 1.0
	v_fmac_f32_e32 v5, v7, v5
	v_div_scale_f32 v7, vcc, v21, v3, v21
	v_mul_f32_e32 v9, v7, v5
	v_fma_f32 v12, -v1, v9, v7
	v_fmac_f32_e32 v9, v12, v5
	v_fma_f32 v1, -v1, v9, v7
	v_div_fmas_f32 v1, v1, v5, v9
	v_div_fixup_f32 v21, v1, v3, v21
	v_div_scale_f32 v1, s[36:37], v3, v3, v20
	v_rcp_f32_e32 v5, v1
	s_nop 0
	v_fma_f32 v7, -v1, v5, 1.0
	v_fmac_f32_e32 v5, v7, v5
	v_div_scale_f32 v7, vcc, v20, v3, v20
	v_mul_f32_e32 v9, v7, v5
	v_fma_f32 v12, -v1, v9, v7
	v_fmac_f32_e32 v9, v12, v5
	v_fma_f32 v1, -v1, v9, v7
	v_div_fmas_f32 v1, v1, v5, v9
	v_div_fixup_f32 v20, v1, v3, v20
	global_store_dwordx2 v[18:19], v[20:21], off
	v_cvt_f32_f16_sdwa v19, v11 dst_sel:DWORD dst_unused:UNUSED_PAD src0_sel:WORD_1
	v_cvt_f32_f16_e32 v18, v11
	v_cvt_f32_f16_sdwa v21, v13 dst_sel:DWORD dst_unused:UNUSED_PAD src0_sel:WORD_1
	v_cvt_f32_f16_e32 v20, v13
	;; [unrolled: 2-line block ×3, first 2 shown]
	v_pk_fma_f32 v[18:19], v[2:3], v[18:19], 0 op_sel_hi:[0,1,0]
	v_pk_fma_f32 v[6:7], v[6:7], v[20:21], v[18:19] op_sel_hi:[0,1,1]
	v_ashrrev_i32_e32 v5, 31, v4
	v_pk_fma_f32 v[6:7], v[10:11], v[12:13], v[6:7] op_sel_hi:[0,1,1]
	v_cvt_f32_f16_sdwa v11, v17 dst_sel:DWORD dst_unused:UNUSED_PAD src0_sel:WORD_1
	v_cvt_f32_f16_e32 v10, v17
	v_lshl_add_u64 v[4:5], v[40:41], 0, v[4:5]
	v_lshl_add_u64 v[4:5], v[4:5], 3, v[116:117]
	v_pk_fma_f32 v[6:7], v[8:9], v[10:11], v[6:7] op_sel_hi:[0,1,1]
	v_div_scale_f32 v1, s[36:37], v3, v3, v7
	v_rcp_f32_e32 v2, v1
	s_nop 0
	v_fma_f32 v8, -v1, v2, 1.0
	v_fmac_f32_e32 v2, v8, v2
	v_div_scale_f32 v8, vcc, v7, v3, v7
	v_mul_f32_e32 v9, v8, v2
	v_fma_f32 v10, -v1, v9, v8
	v_fmac_f32_e32 v9, v10, v2
	v_fma_f32 v1, -v1, v9, v8
	v_div_fmas_f32 v1, v1, v2, v9
	v_div_fixup_f32 v7, v1, v3, v7
	v_div_scale_f32 v1, s[36:37], v3, v3, v6
	v_rcp_f32_e32 v2, v1
	s_nop 0
	v_fma_f32 v8, -v1, v2, 1.0
	v_fmac_f32_e32 v2, v8, v2
	v_div_scale_f32 v8, vcc, v6, v3, v6
	v_mul_f32_e32 v9, v8, v2
	v_fma_f32 v10, -v1, v9, v8
	v_fmac_f32_e32 v9, v10, v2
	v_fma_f32 v1, -v1, v9, v8
	v_div_fmas_f32 v1, v1, v2, v9
	v_div_fixup_f32 v6, v1, v3, v6
	global_store_dwordx2 v[4:5], v[6:7], off offset:512
	s_branch .LBB29_12
.LBB29_268:
	v_readlane_b32 s12, v255, 22
	v_readlane_b32 s49, v255, 34
	;; [unrolled: 1-line block ×8, first 2 shown]
	v_accvgpr_read_b32 v192, a8
	v_accvgpr_read_b32 v193, a9
	;; [unrolled: 1-line block ×4, first 2 shown]
	v_readlane_b32 s55, v255, 46
	v_readlane_b32 s17, v255, 36
	s_andn2_b64 vcc, exec, s[34:35]
	s_cbranch_vccnz .LBB29_10
.LBB29_269:
	v_readlane_b32 s7, v255, 7
	s_abs_i32 s0, s7
	v_cvt_f32_u32_e32 v0, s0
	s_sub_i32 s4, 0, s0
	s_abs_i32 s3, s2
	s_xor_b32 s1, s2, s7
	v_rcp_iflag_f32_e32 v0, v0
	s_ashr_i32 s1, s1, 31
	v_readlane_b32 s8, v255, 6
	v_readlane_b32 s9, v255, 3
	v_mul_f32_e32 v0, 0x4f7ffffe, v0
	v_cvt_u32_f32_e32 v0, v0
	s_nop 0
	v_readfirstlane_b32 s5, v0
	s_mul_i32 s4, s4, s5
	s_mul_hi_u32 s4, s5, s4
	s_add_i32 s5, s5, s4
	s_mul_hi_u32 s4, s3, s5
	s_mul_i32 s5, s4, s0
	s_sub_i32 s3, s3, s5
	s_add_i32 s6, s4, 1
	s_sub_i32 s5, s3, s0
	s_cmp_ge_u32 s3, s0
	s_cselect_b32 s4, s6, s4
	s_cselect_b32 s3, s5, s3
	s_add_i32 s5, s4, 1
	s_cmp_ge_u32 s3, s0
	s_cselect_b32 s0, s5, s4
	s_abs_i32 s3, s8
	v_cvt_f32_u32_e32 v0, s3
	s_xor_b32 s0, s0, s1
	s_sub_i32 s4, 0, s3
	s_sub_i32 s6, s0, s1
	v_rcp_iflag_f32_e32 v0, v0
	s_mul_i32 s0, s6, s7
	s_sub_i32 s0, s2, s0
	s_abs_i32 s2, s0
	v_mul_f32_e32 v0, 0x4f7ffffe, v0
	v_cvt_u32_f32_e32 v0, v0
	s_xor_b32 s1, s0, s8
	s_ashr_i32 s1, s1, 31
	v_readfirstlane_b32 s5, v0
	s_mul_i32 s4, s4, s5
	s_mul_hi_u32 s4, s5, s4
	s_add_i32 s5, s5, s4
	s_mul_hi_u32 s4, s2, s5
	s_mul_i32 s5, s4, s3
	s_sub_i32 s2, s2, s5
	s_add_i32 s7, s4, 1
	s_sub_i32 s5, s2, s3
	s_cmp_ge_u32 s2, s3
	s_cselect_b32 s4, s7, s4
	s_cselect_b32 s2, s5, s2
	s_add_i32 s5, s4, 1
	s_cmp_ge_u32 s2, s3
	s_cselect_b32 s2, s5, s4
	s_abs_i32 s3, s9
	v_cvt_f32_u32_e32 v0, s3
	s_xor_b32 s2, s2, s1
	s_sub_i32 s4, 0, s3
	s_sub_i32 s7, s2, s1
	v_rcp_iflag_f32_e32 v0, v0
	s_mul_i32 s1, s7, s8
	s_sub_i32 s1, s0, s1
	s_abs_i32 s2, s1
	v_mul_f32_e32 v0, 0x4f7ffffe, v0
	v_cvt_u32_f32_e32 v0, v0
	s_xor_b32 s0, s1, s9
	s_ashr_i32 s0, s0, 31
	v_readfirstlane_b32 s5, v0
	s_mul_i32 s4, s4, s5
	s_mul_hi_u32 s4, s5, s4
	s_add_i32 s5, s5, s4
	s_mul_hi_u32 s4, s2, s5
	s_mul_i32 s5, s4, s3
	s_sub_i32 s2, s2, s5
	s_add_i32 s8, s4, 1
	s_sub_i32 s5, s2, s3
	s_cmp_ge_u32 s2, s3
	s_cselect_b32 s4, s8, s4
	s_cselect_b32 s2, s5, s2
	s_add_i32 s5, s4, 1
	s_cmp_ge_u32 s2, s3
	s_cselect_b32 s2, s5, s4
	s_xor_b32 s2, s2, s0
	s_sub_i32 s0, s2, s0
	s_mul_i32 s2, s0, s9
	s_sub_i32 s1, s1, s2
	s_abs_i32 s10, s1
	s_ashr_i32 s8, s6, 31
	s_mul_hi_u32 s9, s10, s94
	s_cmp_eq_u64 s[66:67], 0
	s_mov_b64 s[2:3], 0
	s_cbranch_scc1 .LBB29_271
; %bb.270:
	s_abs_i32 s2, s16
	v_cvt_f32_u32_e32 v0, s2
	s_sub_i32 s4, 0, s2
	s_abs_i32 s3, s6
	v_readlane_b32 s16, v255, 11
	v_rcp_iflag_f32_e32 v0, v0
	v_readlane_b32 s17, v255, 12
	v_mul_f32_e32 v0, 0x4f7ffffe, v0
	v_cvt_u32_f32_e32 v0, v0
	s_nop 0
	v_readfirstlane_b32 s5, v0
	s_mul_i32 s4, s4, s5
	s_mul_hi_u32 s4, s5, s4
	s_add_i32 s5, s5, s4
	s_mul_hi_u32 s4, s3, s5
	s_mul_i32 s4, s4, s2
	s_sub_i32 s3, s3, s4
	s_sub_i32 s4, s3, s2
	s_cmp_ge_u32 s3, s2
	s_cselect_b32 s3, s4, s3
	s_sub_i32 s4, s3, s2
	s_cmp_ge_u32 s3, s2
	s_cselect_b32 s2, s4, s3
	s_xor_b32 s2, s2, s8
	s_sub_i32 s2, s2, s8
	s_ashr_i32 s3, s2, 31
	s_mul_hi_u32 s4, s16, s2
	s_mul_i32 s3, s16, s3
	s_mul_i32 s5, s17, s2
	s_add_i32 s3, s4, s3
	s_add_i32 s3, s3, s5
	s_mul_i32 s2, s16, s2
	s_add_u32 s2, s66, s2
	s_addc_u32 s3, s67, s3
.LBB29_271:
	s_ashr_i32 s12, s1, 31
	v_readlane_b32 s1, v255, 2
	s_mul_i32 s11, s7, s1
	s_add_i32 s11, s11, s0
	v_cmp_le_f32_e64 s[0:1], s13, 0
	s_and_b64 vcc, exec, s[0:1]
	v_mov_b32_e32 v44, 1.0
	s_cbranch_vccnz .LBB29_273
; %bb.272:
	v_readlane_b32 s0, v255, 10
	v_mov_b32_e32 v1, s15
	v_mov_b32_e32 v2, s14
	;; [unrolled: 1-line block ×3, first 2 shown]
	v_sub_co_u32_e32 v0, vcc, s11, v0
	s_add_i32 s0, s11, 1
	v_lshlrev_b32_e32 v0, 1, v0
	v_cndmask_b32_e32 v1, v1, v2, vcc
	v_or_b32_e32 v0, 1, v0
	v_mov_b32_e32 v2, s0
	v_cndmask_b32_e32 v0, v0, v2, vcc
	v_cvt_f32_i32_e32 v0, v0
	v_cmp_neq_f32_e32 vcc, 1.0, v1
	s_mov_b32 s0, 0x3f2aaaab
	s_movk_i32 s4, 0x204
	v_cndmask_b32_e32 v0, 1.0, v0, vcc
	v_cmp_neq_f32_e32 vcc, 0, v0
	s_mov_b32 s1, 0x42b17218
	s_mov_b32 s5, 0x3fb8aa3b
	v_cndmask_b32_e32 v1, 1.0, v1, vcc
	v_frexp_mant_f32_e64 v2, |v1|
	v_cmp_gt_f32_e32 vcc, s0, v2
	s_mov_b32 s0, 0x3f317218
	s_brev_b32 s13, -2
	v_cndmask_b32_e64 v3, 1.0, 2.0, vcc
	v_mul_f32_e32 v2, v2, v3
	v_add_f32_e32 v5, 1.0, v2
	v_rcp_f32_e32 v10, v5
	v_add_f32_e32 v3, -1.0, v5
	v_sub_f32_e32 v7, v2, v3
	v_add_f32_e32 v3, -1.0, v2
	v_mul_f32_e32 v11, v3, v10
	v_mul_f32_e32 v4, v5, v11
	v_fma_f32 v6, v11, v5, -v4
	v_fmac_f32_e32 v6, v11, v7
	v_add_f32_e32 v2, v4, v6
	v_sub_f32_e32 v5, v3, v2
	v_pk_add_f32 v[8:9], v[2:3], v[4:5] neg_lo:[0,1] neg_hi:[0,1]
	v_mov_b32_e32 v7, v2
	v_pk_add_f32 v[2:3], v[8:9], v[6:7] neg_lo:[0,1] neg_hi:[0,1]
	v_mov_b32_e32 v6, 0x3e91f4c4
	v_add_f32_e32 v2, v2, v3
	v_add_f32_e32 v2, v5, v2
	v_mul_f32_e32 v3, v10, v2
	v_add_f32_e32 v2, v11, v3
	v_sub_f32_e32 v4, v2, v11
	v_sub_f32_e32 v12, v3, v4
	v_mul_f32_e32 v3, v2, v2
	v_fma_f32 v5, v2, v2, -v3
	v_add_f32_e32 v4, v12, v12
	v_fmac_f32_e32 v5, v2, v4
	v_add_f32_e32 v4, v3, v5
	v_fmac_f32_e32 v6, 0x3e76c4e1, v4
	v_fmaak_f32 v6, v4, v6, 0x3ecccdef
	v_sub_f32_e32 v3, v4, v3
	v_sub_f32_e32 v13, v5, v3
	v_mul_f32_e32 v3, v4, v6
	v_fma_f32 v5, v4, v6, -v3
	v_fmac_f32_e32 v5, v13, v6
	v_add_f32_e32 v6, v3, v5
	v_add_f32_e32 v7, 0x3f2aaaaa, v6
	v_sub_f32_e32 v3, v6, v3
	v_sub_f32_e32 v3, v5, v3
	v_add_f32_e32 v5, 0xbf2aaaaa, v7
	v_add_f32_e32 v3, 0x31739010, v3
	v_sub_f32_e32 v5, v6, v5
	v_pk_mul_f32 v[8:9], v[2:3], v[4:5]
	v_pk_add_f32 v[10:11], v[2:3], v[4:5]
	v_fma_f32 v6, v4, v2, -v8
	v_fmac_f32_e32 v6, v4, v12
	v_mov_b32_e32 v9, v11
	v_fmac_f32_e32 v6, v13, v2
	v_pk_add_f32 v[4:5], v[8:9], v[6:7]
	v_ldexp_f32 v14, v12, 1
	v_sub_f32_e32 v3, v4, v8
	v_sub_f32_e32 v3, v6, v3
	;; [unrolled: 1-line block ×3, first 2 shown]
	v_add_f32_e32 v9, v11, v6
	v_pk_mul_f32 v[6:7], v[4:5], v[4:5] op_sel:[0,1] op_sel_hi:[1,0]
	v_cvt_f64_f32_e64 v[10:11], |v1|
	v_frexp_exp_i32_f64_e32 v7, v[10:11]
	v_subbrev_co_u32_e32 v7, vcc, 0, v7, vcc
	v_cvt_f32_i32_e32 v7, v7
	v_fma_f32 v8, v4, v5, -v6
	v_fmac_f32_e32 v8, v4, v9
	v_fmac_f32_e32 v8, v3, v5
	v_mul_f32_e32 v4, 0x3f317218, v7
	v_fma_f32 v3, v7, s0, -v4
	v_fmamk_f32 v10, v7, 0xb102e308, v3
	v_ldexp_f32 v11, v2, 1
	v_add_f32_e32 v5, v6, v8
	v_pk_add_f32 v[2:3], v[4:5], v[10:11]
	v_mov_b32_e32 v12, v5
	v_mov_b32_e32 v13, v3
	;; [unrolled: 1-line block ×3, first 2 shown]
	v_pk_add_f32 v[6:7], v[12:13], v[6:7] neg_lo:[0,1] neg_hi:[0,1]
	v_mov_b32_e32 v9, v5
	v_pk_add_f32 v[6:7], v[8:9], v[6:7] neg_lo:[0,1] neg_hi:[0,1]
	v_mov_b32_e32 v11, v2
	v_add_f32_e32 v5, v14, v6
	v_add_f32_e32 v5, v5, v7
	v_pk_add_f32 v[6:7], v[2:3], v[4:5] neg_lo:[0,1] neg_hi:[0,1]
	v_pk_add_f32 v[8:9], v[2:3], v[4:5]
	v_mov_b32_e32 v16, v3
	v_mov_b32_e32 v7, v9
	v_pk_add_f32 v[12:13], v[10:11], v[6:7] neg_lo:[0,1] neg_hi:[0,1]
	v_pk_add_f32 v[6:7], v[10:11], v[6:7]
	v_mov_b32_e32 v4, v5
	v_pk_add_f32 v[10:11], v[6:7], v[2:3] op_sel:[1,0] op_sel_hi:[0,1] neg_lo:[0,1] neg_hi:[0,1]
	v_pk_add_f32 v[14:15], v[8:9], v[10:11] op_sel_hi:[1,0] neg_lo:[0,1] neg_hi:[0,1]
	v_mov_b32_e32 v8, v9
	v_mov_b32_e32 v9, v7
	;; [unrolled: 1-line block ×3, first 2 shown]
	v_pk_add_f32 v[8:9], v[8:9], v[16:17] neg_lo:[0,1] neg_hi:[0,1]
	v_mov_b32_e32 v5, v2
	v_pk_add_f32 v[2:3], v[4:5], v[8:9] neg_lo:[0,1] neg_hi:[0,1]
	v_mov_b32_e32 v14, v12
	v_pk_add_f32 v[4:5], v[14:15], v[2:3]
	v_mov_b32_e32 v13, v7
	v_pk_add_f32 v[8:9], v[4:5], v[4:5] op_sel:[0,1] op_sel_hi:[1,0]
	s_mov_b32 s0, 0x7f800000
	v_pk_add_f32 v[6:7], v[6:7], v[8:9] op_sel:[1,0] op_sel_hi:[0,1]
	v_mov_b32_e32 v5, v6
	v_pk_add_f32 v[10:11], v[4:5], v[12:13] neg_lo:[0,1] neg_hi:[0,1]
	v_mov_b32_e32 v3, v8
	v_sub_f32_e32 v4, v4, v10
	v_pk_add_f32 v[2:3], v[2:3], v[10:11] neg_lo:[0,1] neg_hi:[0,1]
	v_sub_f32_e32 v4, v12, v4
	v_add_f32_e32 v2, v2, v4
	v_add_f32_e32 v2, v2, v3
	;; [unrolled: 1-line block ×3, first 2 shown]
	v_sub_f32_e32 v4, v3, v6
	v_sub_f32_e32 v2, v2, v4
	v_mul_f32_e32 v4, v0, v3
	v_fma_f32 v3, v0, v3, -v4
	v_fmac_f32_e32 v3, v0, v2
	v_add_f32_e32 v2, v4, v3
	v_cmp_class_f32_e64 vcc, v4, s4
	v_sub_f32_e32 v5, v2, v4
	v_sub_f32_e32 v3, v3, v5
	v_cndmask_b32_e32 v2, v2, v4, vcc
	v_mov_b32_e32 v4, 0x37000000
	v_cmp_eq_f32_e32 vcc, s1, v2
	v_cmp_class_f32_e64 s[14:15], v1, s4
	s_nop 0
	v_cndmask_b32_e32 v4, 0, v4, vcc
	v_sub_f32_e32 v5, v2, v4
	v_mul_f32_e32 v6, 0x3fb8aa3b, v5
	v_fma_f32 v7, v5, s5, -v6
	v_rndne_f32_e32 v8, v6
	v_fmamk_f32 v7, v5, 0x32a5705f, v7
	v_sub_f32_e32 v6, v6, v8
	v_add_f32_e32 v6, v6, v7
	v_exp_f32_e32 v6, v6
	v_cvt_i32_f32_e32 v7, v8
	v_cmp_neq_f32_e64 vcc, |v2|, s0
	s_mov_b32 s0, 0xc2ce8ed0
	s_nop 0
	v_cndmask_b32_e32 v2, 0, v3, vcc
	v_ldexp_f32 v3, v6, v7
	v_cmp_ngt_f32_e32 vcc, s0, v5
	v_add_f32_e32 v2, v4, v2
	v_mov_b32_e32 v4, 0x7f800000
	v_cndmask_b32_e32 v3, 0, v3, vcc
	v_cmp_nlt_f32_e32 vcc, s1, v5
	v_mov_b32_e32 v5, 0x7fc00000
	s_nop 0
	v_cndmask_b32_e32 v3, v4, v3, vcc
	v_fma_f32 v2, v3, v2, v3
	v_cmp_class_f32_e64 vcc, v3, s4
	v_cmp_gt_f32_e64 s[4:5], 0, v0
	s_nop 0
	v_cndmask_b32_e32 v2, v2, v3, vcc
	v_trunc_f32_e32 v3, v0
	v_cmp_eq_f32_e32 vcc, v3, v0
	v_mul_f32_e32 v3, 0.5, v0
	v_trunc_f32_e32 v6, v3
	v_cmp_neq_f32_e64 s[0:1], v6, v3
	s_and_b64 s[0:1], vcc, s[0:1]
	s_nop 0
	v_cndmask_b32_e64 v3, 1.0, v1, s[0:1]
	v_bfi_b32 v2, s13, v2, v3
	v_cndmask_b32_e32 v3, v5, v2, vcc
	v_cmp_gt_f32_e32 vcc, 0, v1
	s_nop 1
	v_cndmask_b32_e32 v2, v2, v3, vcc
	v_cmp_eq_f32_e32 vcc, 0, v1
	s_xor_b64 s[4:5], s[4:5], vcc
	v_cndmask_b32_e64 v0, v4, 0, s[4:5]
	v_cndmask_b32_e64 v3, 0, v1, s[0:1]
	v_bfi_b32 v0, s13, v0, v3
	s_or_b64 vcc, vcc, s[14:15]
	v_cndmask_b32_e32 v0, v2, v0, vcc
	v_cmp_o_f32_e32 vcc, v1, v1
	s_nop 1
	v_cndmask_b32_e32 v44, v5, v0, vcc
.LBB29_273:
	s_mul_i32 s1, s9, s33
	v_readlane_b32 s0, v255, 15
	s_sub_i32 s1, s10, s1
	s_xor_b32 s0, s12, s0
	s_add_i32 s4, s9, 1
	s_sub_i32 s5, s1, s33
	s_cmp_ge_u32 s1, s33
	s_cselect_b32 s4, s4, s9
	s_cselect_b32 s1, s5, s1
	s_add_i32 s5, s4, 1
	s_cmp_ge_u32 s1, s33
	s_cselect_b32 s1, s5, s4
	s_xor_b32 s1, s1, s0
	s_sub_i32 s4, s1, s0
	s_cmp_eq_u64 s[70:71], 0
	s_cbranch_scc1 .LBB29_275
; %bb.274:
	v_readlane_b32 s0, v255, 0
	s_mul_i32 s0, s6, s0
	s_add_i32 s0, s4, s0
	s_ashr_i32 s1, s0, 31
	s_lshl_b64 s[0:1], s[0:1], 2
	s_add_u32 s0, s70, s0
	s_addc_u32 s1, s71, s1
	v_mov_b32_e32 v0, 0
	global_load_dword v0, v0, s[0:1]
	s_waitcnt vmcnt(0)
	v_ashrrev_i32_e32 v1, 31, v0
	v_lshrrev_b32_e32 v1, 26, v1
	v_add_u32_e32 v0, v0, v1
	v_ashrrev_i32_e32 v0, 6, v0
	v_min_i32_e32 v150, v150, v0
.LBB29_275:
	v_readlane_b32 s12, v255, 8
	v_readlane_b32 s13, v255, 9
	s_mul_i32 s0, s6, s13
	s_ashr_i32 s1, s0, 31
	s_add_u32 s0, s60, s0
	s_mul_i32 s11, s11, s12
	s_addc_u32 s1, s61, s1
	s_ashr_i32 s5, s11, 31
	s_add_u32 s0, s0, s11
	s_addc_u32 s1, s1, s5
	s_lshl_b32 s9, s4, 4
	v_and_b32_e32 v64, 0x3ff, v23
	v_add_u32_e32 v135, s9, v170
	s_mov_b32 s10, 0x10001
	v_lshl_add_u32 v1, v64, 2, 0
	v_cmp_le_i32_e32 vcc, s76, v135
	s_and_saveexec_b64 s[4:5], vcc
	s_xor_b64 s[4:5], exec, s[4:5]
; %bb.276:
	s_movk_i32 s11, 0x210
	v_mad_u32_u24 v0, v170, s11, v1
	v_mov_b32_e32 v2, 0
	ds_write2st64_b32 v0, v2, v2 offset1:1
; %bb.277:
	s_or_saveexec_b64 s[4:5], s[4:5]
	v_mul_lo_u32 v0, v24, s10
	v_lshlrev_b32_e32 v65, 2, v64
	s_xor_b64 exec, exec, s[4:5]
	s_cbranch_execz .LBB29_279
; %bb.278:
	v_mad_u64_u32 v[2:3], s[10:11], v135, s53, v[64:65]
	v_ashrrev_i32_e32 v3, 31, v2
	v_lshl_add_u64 v[2:3], v[2:3], 3, s[0:1]
	global_load_dwordx2 v[4:5], v[2:3], off
	global_load_dwordx2 v[6:7], v[2:3], off offset:512
	v_mul_u32_u24_e32 v2, 0x210, v170
	v_add3_u32 v2, 0, v2, v65
	s_waitcnt vmcnt(1)
	v_cvt_pk_f16_f32 v3, v4, v5
	s_waitcnt vmcnt(0)
	v_cvt_pk_f16_f32 v4, v6, v7
	v_pk_mul_f16 v3, v3, v0
	v_pk_mul_f16 v4, v4, v0
	ds_write2st64_b32 v2, v3, v4 offset1:1
.LBB29_279:
	s_or_b64 exec, exec, s[4:5]
	v_add_u32_e32 v136, s9, v173
	v_cmp_le_i32_e32 vcc, s76, v136
	s_and_saveexec_b64 s[4:5], vcc
	s_xor_b64 s[4:5], exec, s[4:5]
; %bb.280:
	s_movk_i32 s10, 0x210
	v_mad_u32_u24 v2, v173, s10, v1
	v_mov_b32_e32 v3, 0
	ds_write2st64_b32 v2, v3, v3 offset1:1
                                        ; implicit-def: $vgpr173
; %bb.281:
	s_andn2_saveexec_b64 s[4:5], s[4:5]
	s_cbranch_execz .LBB29_283
; %bb.282:
	v_mad_u64_u32 v[2:3], s[10:11], v136, s53, v[64:65]
	v_ashrrev_i32_e32 v3, 31, v2
	v_lshl_add_u64 v[2:3], v[2:3], 3, s[0:1]
	global_load_dwordx2 v[4:5], v[2:3], off
	global_load_dwordx2 v[6:7], v[2:3], off offset:512
	v_mul_u32_u24_e32 v2, 0x210, v173
	v_add3_u32 v2, 0, v2, v65
	s_waitcnt vmcnt(1)
	v_cvt_pk_f16_f32 v3, v4, v5
	s_waitcnt vmcnt(0)
	v_cvt_pk_f16_f32 v4, v6, v7
	v_pk_mul_f16 v3, v3, v0
	v_pk_mul_f16 v4, v4, v0
	ds_write2st64_b32 v2, v3, v4 offset1:1
.LBB29_283:
	s_or_b64 exec, exec, s[4:5]
	v_add_u32_e32 v137, s9, v45
	v_cmp_le_i32_e32 vcc, s76, v137
	s_and_saveexec_b64 s[4:5], vcc
	s_xor_b64 s[4:5], exec, s[4:5]
; %bb.284:
	s_movk_i32 s10, 0x210
	v_mad_u32_u24 v2, v45, s10, v1
	v_mov_b32_e32 v3, 0
	ds_write2st64_b32 v2, v3, v3 offset1:1
                                        ; implicit-def: $vgpr45
; %bb.285:
	s_andn2_saveexec_b64 s[4:5], s[4:5]
	s_cbranch_execz .LBB29_287
; %bb.286:
	v_mad_u64_u32 v[2:3], s[10:11], v137, s53, v[64:65]
	v_ashrrev_i32_e32 v3, 31, v2
	v_lshl_add_u64 v[2:3], v[2:3], 3, s[0:1]
	global_load_dwordx2 v[4:5], v[2:3], off
	global_load_dwordx2 v[6:7], v[2:3], off offset:512
	v_mul_u32_u24_e32 v2, 0x210, v45
	v_add3_u32 v2, 0, v2, v65
	s_waitcnt vmcnt(1)
	v_cvt_pk_f16_f32 v3, v4, v5
	s_waitcnt vmcnt(0)
	v_cvt_pk_f16_f32 v4, v6, v7
	v_pk_mul_f16 v3, v3, v0
	v_pk_mul_f16 v4, v4, v0
	ds_write2st64_b32 v2, v3, v4 offset1:1
.LBB29_287:
	s_or_b64 exec, exec, s[4:5]
	v_add_u32_e32 v138, s9, v39
	v_cmp_le_i32_e32 vcc, s76, v138
	s_and_saveexec_b64 s[4:5], vcc
	s_xor_b64 s[4:5], exec, s[4:5]
; %bb.288:
	s_movk_i32 s9, 0x210
	v_mad_u32_u24 v0, v39, s9, v1
	v_mov_b32_e32 v1, 0
	ds_write2st64_b32 v0, v1, v1 offset1:1
                                        ; implicit-def: $vgpr39
                                        ; implicit-def: $vgpr0
; %bb.289:
	s_andn2_saveexec_b64 s[4:5], s[4:5]
	s_cbranch_execz .LBB29_291
; %bb.290:
	v_mad_u64_u32 v[2:3], s[10:11], v138, s53, v[64:65]
	v_ashrrev_i32_e32 v3, 31, v2
	v_lshl_add_u64 v[2:3], v[2:3], 3, s[0:1]
	global_load_dwordx2 v[4:5], v[2:3], off
	global_load_dwordx2 v[6:7], v[2:3], off offset:512
	v_mul_u32_u24_e32 v1, 0x210, v39
	v_add3_u32 v1, 0, v1, v65
	s_waitcnt vmcnt(1)
	v_cvt_pk_f16_f32 v2, v4, v5
	s_waitcnt vmcnt(0)
	v_cvt_pk_f16_f32 v3, v6, v7
	v_pk_mul_f16 v2, v2, v0
	v_pk_mul_f16 v0, v3, v0
	ds_write2st64_b32 v1, v2, v0 offset1:1
.LBB29_291:
	s_or_b64 exec, exec, s[4:5]
	s_mul_i32 s0, s98, s8
	s_mul_hi_u32 s1, s98, s6
	s_add_i32 s0, s1, s0
	s_mul_i32 s1, s99, s6
	s_add_i32 s0, s0, s1
	s_mul_i32 s1, s98, s6
	s_add_u32 s1, s64, s1
	s_mul_i32 s4, s7, s83
	s_addc_u32 s0, s65, s0
	s_ashr_i32 s5, s4, 31
	s_add_u32 s33, s1, s4
	s_addc_u32 s40, s0, s5
	s_mul_i32 s0, s80, s8
	s_mul_hi_u32 s1, s80, s6
	s_add_i32 s0, s1, s0
	s_mul_i32 s1, s81, s6
	v_readlane_b32 s4, v255, 13
	s_add_i32 s0, s0, s1
	s_mul_i32 s1, s80, s6
	v_readlane_b32 s5, v255, 14
	s_add_u32 s1, s62, s1
	s_mul_i32 s7, s7, s5
	s_addc_u32 s0, s63, s0
	s_ashr_i32 s4, s7, 31
	s_add_u32 s41, s1, s7
	v_lshrrev_b32_e32 v1, 3, v64
	s_addc_u32 s43, s0, s4
	v_and_b32_e32 v32, 0xff0, v193
	s_movk_i32 s4, 0x210
	v_and_b32_e32 v96, 15, v64
	v_and_b32_e32 v1, 0x7e, v1
	v_mad_u32_u24 v0, v32, s4, 0
	v_mul_u32_u24_e32 v120, 0x210, v96
	v_lshlrev_b32_e32 v97, 2, v1
	v_add3_u32 v0, v0, v120, v97
	s_waitcnt lgkmcnt(0)
	s_barrier
	ds_read2_b64 v[28:31], v0 offset1:4
	ds_read2_b64 v[24:27], v0 offset0:8 offset1:12
	ds_read2_b64 v[20:23], v0 offset0:16 offset1:20
	;; [unrolled: 1-line block ×7, first 2 shown]
	v_add_u32_e32 v140, -1, v150
	v_cmp_ge_i32_e32 vcc, s42, v140
	s_mov_b32 s44, 0
	s_and_b64 vcc, exec, vcc
	v_or_b32_e32 v105, v32, v96
	v_lshlrev_b32_e32 v46, 1, v64
	v_mbcnt_lo_u32_b32 v100, -1, 0
	v_lshrrev_b32_e32 v139, 5, v64
	v_lshrrev_b32_e32 v99, 2, v64
	v_lshlrev_b32_e32 v98, 1, v96
	s_waitcnt lgkmcnt(0)
	s_barrier
	s_cbranch_vccnz .LBB29_302
; %bb.292:
	v_mov_b32_e32 v49, 0
	v_mov_b32_e32 v47, v49
	v_mul_u32_u24_e32 v32, 0x90, v170
	v_lshl_add_u64 v[50:51], s[2:3], 0, v[46:47]
	v_add3_u32 v47, 0, v32, v46
	v_mul_hi_u32 v32, s92, v135
	v_add_u32_e32 v32, v135, v32
	v_lshrrev_b32_e32 v32, s93, v32
	v_mul_lo_u32 v32, v32, s76
	v_sub_u32_e32 v32, v135, v32
	v_mad_i64_i32 v[52:53], s[6:7], v32, s54, 0
	v_mul_hi_u32 v32, s92, v136
	v_add_u32_e32 v32, v136, v32
	v_lshrrev_b32_e32 v32, s93, v32
	v_mul_lo_u32 v32, v32, s76
	v_sub_u32_e32 v32, v136, v32
	v_mad_i64_i32 v[54:55], s[6:7], v32, s54, 0
	;; [unrolled: 6-line block ×4, first 2 shown]
	v_mbcnt_hi_u32_b32 v32, -1, v100
	v_and_b32_e32 v35, 64, v32
	v_add_u32_e32 v35, 64, v35
	v_xor_b32_e32 v36, 32, v32
	v_cmp_lt_i32_e32 vcc, v36, v35
	s_cmp_lg_u64 s[2:3], 0
	s_cselect_b64 s[34:35], -1, 0
	v_cndmask_b32_e32 v36, v32, v36, vcc
	v_lshlrev_b32_e32 v144, 2, v36
	v_xor_b32_e32 v36, 16, v32
	v_cmp_lt_i32_e32 vcc, v36, v35
	v_lshl_add_u32 v35, v170, 1, v139
	v_mul_lo_u32 v60, s90, v35
	v_cndmask_b32_e32 v32, v32, v36, vcc
	s_lshl_b32 s18, s90, 3
	v_mul_lo_u32 v78, s78, v35
	s_lshl_b32 s26, s78, 3
	v_lshlrev_b32_e32 v145, 2, v32
	v_and_b32_e32 v32, 0x7c, v65
	v_add_u32_e32 v62, s18, v60
	v_add_u32_e32 v80, s26, v78
	v_mul_u32_u24_e32 v36, 0x210, v35
	v_lshlrev_b32_e32 v37, 2, v32
	v_add_u32_e32 v66, s18, v62
	v_add_u32_e32 v82, s26, v80
	v_and_b32_e32 v33, 48, v192
	v_add3_u32 v146, 0, v36, v37
	v_add_u32_e32 v68, s18, v66
	v_and_b32_e32 v36, 0xfc, v99
	v_add_u32_e32 v84, s26, v82
	v_mad_u32_u24 v34, v33, s4, 0
	v_add_u32_e32 v70, s18, v68
	v_add_u32_e32 v37, v36, v33
	v_add_u16_e32 v33, v36, v33
	v_add_u32_e32 v86, s26, v84
	v_add_u32_e32 v72, s18, v70
	v_lshrrev_b16_e32 v33, 1, v33
	v_add_u32_e32 v88, s26, v86
	v_cmp_gt_u32_e64 s[28:29], 64, v35
	v_cmp_gt_u32_e64 s[4:5], 56, v35
	;; [unrolled: 1-line block ×7, first 2 shown]
	v_add_u32_e32 v74, s18, v72
	v_cmp_gt_u32_e64 s[16:17], 8, v35
	v_mul_u32_u24_e32 v38, 0x90, v105
	v_lshlrev_b32_e32 v33, 2, v33
	v_add_u32_e32 v90, s26, v88
	v_mul_u32_u24_e32 v35, 0x210, v36
	v_or_b32_e32 v36, 3, v99
	s_mov_b64 s[30:31], src_private_base
	v_add_u32_e32 v76, s18, v74
	v_add3_u32 v33, 0, v38, v33
	v_add_u32_e32 v92, s26, v90
	v_mul_u32_u24_e32 v36, 0x210, v36
	v_cmp_gt_u32_e64 s[0:1], 64, v64
	v_add_u32_e32 v141, 0x240, v47
	v_add_u32_e32 v142, 0x480, v47
	;; [unrolled: 1-line block ×3, first 2 shown]
	v_ashrrev_i32_e32 v61, 31, v60
	v_add_u32_e32 v147, 0x1080, v146
	v_ashrrev_i32_e32 v63, 31, v62
	v_add_u32_e32 v148, 0x2100, v146
	;; [unrolled: 2-line block ×7, first 2 shown]
	v_ashrrev_i32_e32 v77, 31, v76
	v_add3_u32 v154, v34, v120, v97
	v_cmp_gt_u32_e64 s[18:19], 64, v37
	v_cmp_gt_u32_e64 s[20:21], 63, v37
	;; [unrolled: 1-line block ×4, first 2 shown]
	v_ashrrev_i32_e32 v79, 31, v78
	v_ashrrev_i32_e32 v81, 31, v80
	;; [unrolled: 1-line block ×8, first 2 shown]
	v_add3_u32 v155, v34, v35, v98
	v_add3_u32 v156, v34, v36, v98
	v_mov_b32_e32 v94, v44
	v_mov_b32_e32 v95, v44
	s_lshl_b32 s36, s42, 6
	v_mov_b32_e32 v161, 0xfeffffff
	v_lshlrev_b32_e32 v48, 2, v32
	v_add_u32_e32 v157, 0x8400, v33
	s_mov_b32 s30, 0x3fb8aa3b
	s_mov_b32 s45, 0xc2ce8ed0
	;; [unrolled: 1-line block ×5, first 2 shown]
	v_mov_b32_e32 v158, 0
	v_mov_b32_e32 v162, v49
	;; [unrolled: 1-line block ×39, first 2 shown]
.LBB29_293:                             ; =>This Inner Loop Header: Depth=1
	v_cndmask_b32_e64 v32, 0, 1, s[34:35]
	v_cmp_ne_u32_e64 s[26:27], 1, v32
	s_andn2_b64 vcc, exec, s[34:35]
	s_ashr_i32 s37, s36, 31
	s_cbranch_vccnz .LBB29_297
; %bb.294:                              ;   in Loop: Header=BB29_293 Depth=1
	v_mov_b32_e32 v32, 0
	v_mov_b32_e32 v33, 0
	;; [unrolled: 1-line block ×4, first 2 shown]
	s_and_saveexec_b64 s[38:39], s[0:1]
	s_cbranch_execz .LBB29_296
; %bb.295:                              ;   in Loop: Header=BB29_293 Depth=1
	v_lshl_add_u64 v[32:33], s[36:37], 1, v[50:51]
	v_lshl_add_u64 v[34:35], v[52:53], 1, v[32:33]
	;; [unrolled: 1-line block ×5, first 2 shown]
	global_load_ushort v32, v[34:35], off
	global_load_ushort v33, v[36:37], off
	s_nop 0
	global_load_ushort v34, v[38:39], off
	global_load_ushort v35, v[40:41], off
.LBB29_296:                             ;   in Loop: Header=BB29_293 Depth=1
	s_or_b64 exec, exec, s[38:39]
	s_waitcnt vmcnt(3)
	ds_write_b16 v47, v32 offset:33792
	s_waitcnt vmcnt(2)
	ds_write_b16 v141, v33 offset:33792
	;; [unrolled: 2-line block ×4, first 2 shown]
.LBB29_297:                             ;   in Loop: Header=BB29_293 Depth=1
	s_mul_hi_i32 s39, s36, s90
	s_mul_i32 s38, s36, s90
	s_lshl_b64 s[38:39], s[38:39], 2
	s_add_u32 s38, s41, s38
	s_addc_u32 s39, s43, s39
	v_lshl_add_u64 v[32:33], v[60:61], 2, s[38:39]
	v_lshl_add_u64 v[32:33], v[32:33], 0, v[48:49]
	v_mov_b32_e32 v38, s31
	v_cndmask_b32_e64 v33, v38, v33, s[28:29]
	v_cndmask_b32_e64 v32, v158, v32, s[28:29]
	scratch_store_dwordx4 off, v[162:165], off
	flat_load_dwordx4 v[32:35], v[32:33]
	v_lshl_add_u64 v[36:37], v[62:63], 2, s[38:39]
	v_lshl_add_u64 v[36:37], v[36:37], 0, v[48:49]
	v_cndmask_b32_e64 v37, v38, v37, s[4:5]
	v_cndmask_b32_e64 v36, v158, v36, s[4:5]
	s_and_b64 vcc, exec, s[26:27]
	s_waitcnt vmcnt(0) lgkmcnt(0)
	ds_write_b128 v146, v[32:35]
	flat_load_dwordx4 v[32:35], v[36:37]
	v_lshl_add_u64 v[36:37], v[66:67], 2, s[38:39]
	v_lshl_add_u64 v[36:37], v[36:37], 0, v[48:49]
	v_cndmask_b32_e64 v37, v38, v37, s[6:7]
	v_cndmask_b32_e64 v36, v158, v36, s[6:7]
	s_waitcnt vmcnt(0) lgkmcnt(0)
	ds_write_b128 v147, v[32:35]
	flat_load_dwordx4 v[32:35], v[36:37]
	v_lshl_add_u64 v[36:37], v[68:69], 2, s[38:39]
	v_lshl_add_u64 v[36:37], v[36:37], 0, v[48:49]
	v_cndmask_b32_e64 v37, v38, v37, s[8:9]
	v_cndmask_b32_e64 v36, v158, v36, s[8:9]
	;; [unrolled: 7-line block ×6, first 2 shown]
	s_waitcnt vmcnt(0) lgkmcnt(0)
	ds_write_b128 v152, v[32:35]
	flat_load_dwordx4 v[32:35], v[36:37]
	s_waitcnt vmcnt(0) lgkmcnt(0)
	ds_write_b128 v153, v[32:35]
	s_waitcnt lgkmcnt(0)
	s_barrier
	ds_read2_b64 v[32:35], v154 offset1:4
	s_waitcnt lgkmcnt(0)
	v_mfma_f32_16x16x16_f16 a[0:3], v[32:33], v[28:29], 0
	v_mfma_f32_16x16x16_f16 a[0:3], v[34:35], v[30:31], a[0:3]
	ds_read2_b64 v[32:35], v154 offset0:8 offset1:12
	s_waitcnt lgkmcnt(0)
	v_mfma_f32_16x16x16_f16 a[0:3], v[32:33], v[24:25], a[0:3]
	v_mfma_f32_16x16x16_f16 a[0:3], v[34:35], v[26:27], a[0:3]
	ds_read2_b64 v[32:35], v154 offset0:16 offset1:20
	;; [unrolled: 4-line block ×7, first 2 shown]
	s_waitcnt lgkmcnt(0)
	s_barrier
	v_mfma_f32_16x16x16_f16 a[0:3], v[32:33], v[0:1], a[0:3]
	v_mfma_f32_16x16x16_f16 a[0:3], v[34:35], v[2:3], a[0:3]
	s_cbranch_vccnz .LBB29_299
; %bb.298:                              ;   in Loop: Header=BB29_293 Depth=1
	ds_read2_b32 v[36:37], v157 offset1:1
	s_nop 5
	v_accvgpr_read_b32 v35, a3
	v_accvgpr_read_b32 v33, a1
	;; [unrolled: 1-line block ×4, first 2 shown]
	s_waitcnt lgkmcnt(0)
	v_cvt_f32_f16_e32 v38, v36
	v_cvt_f32_f16_sdwa v39, v36 dst_sel:DWORD dst_unused:UNUSED_PAD src0_sel:WORD_1
	v_cvt_f32_f16_e32 v40, v37
	v_cvt_f32_f16_sdwa v41, v37 dst_sel:DWORD dst_unused:UNUSED_PAD src0_sel:WORD_1
	v_mov_b32_e32 v45, v44
	v_pk_fma_f32 v[32:33], v[94:95], v[38:39], v[32:33]
	v_pk_fma_f32 v[34:35], v[44:45], v[40:41], v[34:35]
	s_nop 0
	v_accvgpr_write_b32 a0, v32
	v_accvgpr_write_b32 a1, v33
	;; [unrolled: 1-line block ×4, first 2 shown]
.LBB29_299:                             ;   in Loop: Header=BB29_293 Depth=1
	s_mul_hi_i32 s27, s36, s78
	s_mul_i32 s26, s36, s78
	s_lshl_b64 s[26:27], s[26:27], 2
	s_add_u32 s26, s33, s26
	s_addc_u32 s27, s40, s27
	v_lshl_add_u64 v[32:33], v[78:79], 2, s[26:27]
	v_lshl_add_u64 v[32:33], v[32:33], 0, v[48:49]
	v_mov_b32_e32 v45, s31
	v_cndmask_b32_e64 v33, v45, v33, s[28:29]
	v_cndmask_b32_e64 v32, v158, v32, s[28:29]
	scratch_store_dwordx4 off, v[162:165], off
	flat_load_dwordx4 v[32:35], v[32:33]
	v_lshl_add_u64 v[36:37], v[80:81], 2, s[26:27]
	v_lshl_add_u64 v[36:37], v[36:37], 0, v[48:49]
	v_cndmask_b32_e64 v37, v45, v37, s[4:5]
	v_cndmask_b32_e64 v36, v158, v36, s[4:5]
	v_lshl_add_u64 v[168:169], v[90:91], 2, s[26:27]
	v_lshl_add_u64 v[168:169], v[168:169], 0, v[48:49]
	;; [unrolled: 1-line block ×4, first 2 shown]
	v_cndmask_b32_e64 v173, v45, v173, s[16:17]
	v_cndmask_b32_e64 v172, v158, v172, s[16:17]
	s_add_i32 s42, s42, 1
	v_cmp_lt_i32_e32 vcc, s42, v140
	s_and_b64 vcc, exec, vcc
	s_add_i32 s36, s36, 64
	s_waitcnt vmcnt(0) lgkmcnt(0)
	ds_write_b128 v146, v[32:35]
	flat_load_dwordx4 v[32:35], v[36:37]
	v_lshl_add_u64 v[36:37], v[82:83], 2, s[26:27]
	v_lshl_add_u64 v[36:37], v[36:37], 0, v[48:49]
	v_cndmask_b32_e64 v37, v45, v37, s[6:7]
	v_cndmask_b32_e64 v36, v158, v36, s[6:7]
	s_waitcnt vmcnt(0) lgkmcnt(0)
	ds_write_b128 v147, v[32:35]
	flat_load_dwordx4 v[32:35], v[36:37]
	v_lshl_add_u64 v[36:37], v[84:85], 2, s[26:27]
	v_lshl_add_u64 v[36:37], v[36:37], 0, v[48:49]
	v_cndmask_b32_e64 v37, v45, v37, s[8:9]
	v_cndmask_b32_e64 v36, v158, v36, s[8:9]
	;; [unrolled: 7-line block ×3, first 2 shown]
	s_waitcnt vmcnt(0) lgkmcnt(0)
	ds_write_b128 v149, v[32:35]
	flat_load_dwordx4 v[40:43], v[36:37]
	v_accvgpr_read_b32 v39, a3
	v_accvgpr_read_b32 v36, a0
	v_max_f32_e32 v34, v161, v161
	v_add_f32_e32 v166, 0x40051340, v36
	v_max_f32_e32 v34, v34, v166
	v_accvgpr_read_b32 v37, a1
	v_cndmask_b32_e64 v34, v161, v34, s[18:19]
	v_add_f32_e32 v171, 0x40051340, v37
	v_max_f32_e32 v176, v34, v34
	v_max_f32_e32 v171, v176, v171
	v_accvgpr_read_b32 v38, a2
	v_cndmask_b32_e64 v34, v34, v171, s[20:21]
	v_add_f32_e32 v174, 0x40051340, v38
	v_max_f32_e32 v171, v34, v34
	v_max_f32_e32 v171, v171, v174
	v_cndmask_b32_e64 v34, v34, v171, s[22:23]
	v_add_f32_e32 v175, 0x40051340, v39
	v_max_f32_e32 v171, v34, v34
	v_max_f32_e32 v171, v171, v175
	v_cndmask_b32_e64 v34, v34, v171, s[24:25]
	ds_bpermute_b32 v171, v144, v34
	v_lshl_add_u64 v[166:167], v[88:89], 2, s[26:27]
	v_lshl_add_u64 v[166:167], v[166:167], 0, v[48:49]
	v_cndmask_b32_e64 v167, v45, v167, s[12:13]
	v_cndmask_b32_e64 v166, v158, v166, s[12:13]
	;; [unrolled: 1-line block ×3, first 2 shown]
	v_max_f32_e32 v34, v34, v34
	s_waitcnt lgkmcnt(0)
	v_max_f32_e32 v168, v171, v171
	v_cndmask_b32_e64 v175, v45, v169, s[14:15]
	v_max_f32_e32 v34, v34, v168
	ds_bpermute_b32 v171, v145, v34
	v_mov_b32_e32 v33, s44
	v_mov_b32_e32 v35, s44
	;; [unrolled: 1-line block ×3, first 2 shown]
	s_waitcnt vmcnt(0)
	ds_write_b128 v150, v[40:43]
	flat_load_dwordx4 v[166:169], v[166:167]
	s_waitcnt lgkmcnt(0)
	v_max_f32_e32 v40, v171, v171
	v_max_f32_e32 v40, v34, v40
	v_sub_f32_e32 v34, v36, v40
	v_sub_f32_e32 v36, v37, v40
	v_mul_f32_e32 v41, 0x3fb8aa3b, v34
	v_sub_f32_e32 v37, v38, v40
	v_mul_f32_e32 v42, 0x3fb8aa3b, v36
	v_fma_f32 v171, v34, s30, -v41
	v_rndne_f32_e32 v176, v41
	v_sub_f32_e32 v38, v39, v40
	v_mul_f32_e32 v43, 0x3fb8aa3b, v37
	v_fma_f32 v177, v36, s30, -v42
	v_rndne_f32_e32 v178, v42
	v_fmac_f32_e32 v171, 0x32a5705f, v34
	v_sub_f32_e32 v41, v41, v176
	v_sub_f32_e32 v39, v161, v40
	v_mul_f32_e32 v45, 0x3fb8aa3b, v38
	v_fma_f32 v179, v37, s30, -v43
	v_rndne_f32_e32 v180, v43
	v_fmac_f32_e32 v177, 0x32a5705f, v36
	v_sub_f32_e32 v42, v42, v178
	v_add_f32_e32 v41, v41, v171
	v_mul_f32_e32 v161, 0x3fb8aa3b, v39
	v_fma_f32 v181, v38, s30, -v45
	v_rndne_f32_e32 v182, v45
	v_cvt_i32_f32_e32 v176, v176
	v_fmac_f32_e32 v179, 0x32a5705f, v37
	v_sub_f32_e32 v43, v43, v180
	v_add_f32_e32 v42, v42, v177
	v_exp_f32_e32 v41, v41
	v_fma_f32 v183, v39, s30, -v161
	v_rndne_f32_e32 v184, v161
	v_cvt_i32_f32_e32 v178, v178
	v_fmac_f32_e32 v181, 0x32a5705f, v38
	v_sub_f32_e32 v45, v45, v182
	v_add_f32_e32 v43, v43, v179
	v_exp_f32_e32 v42, v42
	v_cvt_i32_f32_e32 v180, v180
	v_fmac_f32_e32 v183, 0x32a5705f, v39
	v_sub_f32_e32 v161, v161, v184
	v_add_f32_e32 v45, v45, v181
	v_exp_f32_e32 v43, v43
	v_cvt_i32_f32_e32 v182, v182
	v_add_f32_e32 v161, v161, v183
	v_exp_f32_e32 v45, v45
	v_cvt_i32_f32_e32 v184, v184
	v_exp_f32_e32 v161, v161
	v_ldexp_f32 v41, v41, v176
	v_cmp_ngt_f32_e64 s[26:27], s45, v34
	v_ldexp_f32 v42, v42, v178
	v_ldexp_f32 v43, v43, v180
	v_cndmask_b32_e64 v41, 0, v41, s[26:27]
	v_cmp_ngt_f32_e64 s[26:27], s45, v36
	v_ldexp_f32 v45, v45, v182
	v_ldexp_f32 v161, v161, v184
	v_cndmask_b32_e64 v42, 0, v42, s[26:27]
	v_cmp_ngt_f32_e64 s[26:27], s45, v37
	s_waitcnt vmcnt(0)
	ds_write_b128 v151, v[166:169]
	flat_load_dwordx4 v[166:169], v[174:175]
	v_cndmask_b32_e64 v43, 0, v43, s[26:27]
	v_cmp_ngt_f32_e64 s[26:27], s45, v38
	s_waitcnt vmcnt(0) lgkmcnt(0)
	ds_write_b128 v152, v[166:169]
	v_cndmask_b32_e64 v45, 0, v45, s[26:27]
	v_cmp_ngt_f32_e64 s[26:27], s45, v39
	s_nop 1
	v_cndmask_b32_e64 v161, 0, v161, s[26:27]
	v_cmp_nlt_f32_e64 s[26:27], s46, v34
	s_nop 1
	v_cndmask_b32_e64 v34, v159, v41, s[26:27]
	v_cmp_nlt_f32_e64 s[26:27], s46, v36
	v_cndmask_b32_e64 v34, 0, v34, s[18:19]
	s_nop 0
	v_cndmask_b32_e64 v36, v159, v42, s[26:27]
	v_cmp_nlt_f32_e64 s[26:27], s46, v37
	v_cndmask_b32_e64 v37, v33, v36, s[20:21]
	v_add_f32_e32 v36, v36, v34
	v_cndmask_b32_e64 v41, v159, v43, s[26:27]
	v_cmp_nlt_f32_e64 s[26:27], s46, v38
	v_cndmask_b32_e64 v32, v32, v41, s[22:23]
	s_nop 0
	v_cndmask_b32_e64 v38, v159, v45, s[26:27]
	v_cmp_nlt_f32_e64 s[26:27], s46, v39
	v_cndmask_b32_e64 v33, v35, v38, s[24:25]
	v_cvt_pk_f16_f32 v33, v32, v33
	v_cndmask_b32_e64 v42, v159, v161, s[26:27]
	v_cmp_le_f32_e64 s[26:27], s47, v39
	v_cvt_pk_f16_f32 v32, v34, v37
	v_cndmask_b32_e64 v34, v34, v36, s[20:21]
	v_cndmask_b32_e64 v35, 0, v42, s[26:27]
	v_cvt_f16_f32_e32 v39, v35
	v_add_f32_e32 v36, v34, v41
	v_cndmask_b32_e64 v34, v34, v36, s[22:23]
	v_add_f32_e32 v36, v34, v38
	v_mul_u32_u24_e32 v37, 0x10001, v39
	v_cndmask_b32_e64 v34, v34, v36, s[24:25]
	v_pk_mul_f16 v36, v134, v37
	v_pk_mul_f16 v38, v133, v37
	;; [unrolled: 1-line block ×32, first 2 shown]
	v_fmac_f32_e32 v34, v160, v35
	v_cvt_f32_f16_e32 v35, v36
	v_cvt_f32_f16_sdwa v128, v36 dst_sel:DWORD dst_unused:UNUSED_PAD src0_sel:WORD_1
	v_cvt_f32_f16_e32 v129, v38
	v_cvt_f32_f16_sdwa v130, v38 dst_sel:DWORD dst_unused:UNUSED_PAD src0_sel:WORD_1
	;; [unrolled: 2-line block ×3, first 2 shown]
	flat_load_dwordx4 v[36:39], v[172:173]
	v_cvt_f32_f16_e32 v133, v41
	v_cvt_f32_f16_sdwa v41, v41 dst_sel:DWORD dst_unused:UNUSED_PAD src0_sel:WORD_1
	v_cvt_f32_f16_e32 v134, v42
	v_cvt_f32_f16_sdwa v42, v42 dst_sel:DWORD dst_unused:UNUSED_PAD src0_sel:WORD_1
	;; [unrolled: 2-line block ×23, first 2 shown]
	v_accvgpr_write_b32 a0, v35
	v_accvgpr_write_b32 a1, v128
	;; [unrolled: 1-line block ×33, first 2 shown]
	s_waitcnt vmcnt(0) lgkmcnt(0)
	ds_write_b128 v153, v[36:39]
	s_waitcnt lgkmcnt(0)
	s_barrier
	ds_read_u16 v35, v155
	ds_read_u16 v38, v155 offset:32
	ds_read_u16 v41, v155 offset:64
	;; [unrolled: 1-line block ×23, first 2 shown]
	ds_read_u16 v124, v156
	ds_read_u16 v125, v156 offset:32
	ds_read_u16 v126, v156 offset:64
	;; [unrolled: 1-line block ×7, first 2 shown]
	s_waitcnt lgkmcnt(7)
	v_perm_b32 v37, v124, v37, s48
	v_perm_b32 v36, v36, v35, s48
	s_waitcnt lgkmcnt(6)
	v_perm_b32 v39, v125, v39, s48
	v_perm_b32 v38, v110, v38, s48
	v_mfma_f32_16x16x16_f16 a[0:3], v[36:37], v[32:33], a[0:3]
	s_waitcnt lgkmcnt(5)
	v_perm_b32 v37, v126, v117, s48
	v_perm_b32 v36, v111, v41, s48
	v_accvgpr_write_b32 a14, v171
	v_mfma_f32_16x16x16_f16 a[4:7], v[38:39], v[32:33], a[4:7]
	s_waitcnt lgkmcnt(4)
	v_perm_b32 v39, v127, v118, s48
	v_perm_b32 v38, v112, v42, s48
	v_accvgpr_write_b32 a16, v174
	;; [unrolled: 5-line block ×4, first 2 shown]
	v_accvgpr_write_b32 a22, v177
	v_mfma_f32_16x16x16_f16 a[16:19], v[36:37], v[32:33], a[16:19]
	s_waitcnt lgkmcnt(1)
	v_perm_b32 v37, v130, v122, s48
	v_perm_b32 v36, v115, v108, s48
	v_cvt_f32_f16_e32 v186, v107
	v_cvt_f32_f16_sdwa v107, v107 dst_sel:DWORD dst_unused:UNUSED_PAD src0_sel:WORD_1
	v_cvt_f32_f16_e32 v187, v106
	v_cvt_f32_f16_sdwa v106, v106 dst_sel:DWORD dst_unused:UNUSED_PAD src0_sel:WORD_1
	v_mfma_f32_16x16x16_f16 a[20:23], v[38:39], v[32:33], a[20:23]
	s_waitcnt lgkmcnt(0)
	v_perm_b32 v39, v131, v123, s48
	v_perm_b32 v38, v116, v109, s48
	v_accvgpr_write_b32 a24, v178
	v_accvgpr_write_b32 a26, v179
	;; [unrolled: 1-line block ×6, first 2 shown]
	ds_read_u16 v35, v155 offset:256
	ds_read_u16 v41, v155 offset:288
	;; [unrolled: 1-line block ×24, first 2 shown]
	v_mfma_f32_16x16x16_f16 a[24:27], v[36:37], v[32:33], a[24:27]
	ds_read_u16 v36, v156 offset:256
	ds_read_u16 v109, v156 offset:288
	;; [unrolled: 1-line block ×8, first 2 shown]
	s_waitcnt lgkmcnt(7)
	v_perm_b32 v37, v36, v108, s48
	v_perm_b32 v36, v45, v35, s48
	v_mfma_f32_16x16x16_f16 a[28:31], v[38:39], v[32:33], a[28:31]
	s_waitcnt lgkmcnt(6)
	v_perm_b32 v39, v109, v115, s48
	v_perm_b32 v38, v112, v41, s48
	v_accvgpr_write_b32 a32, v182
	v_accvgpr_write_b32 a34, v183
	v_accvgpr_write_b32 a36, v184
	v_accvgpr_write_b32 a38, v166
	v_mfma_f32_16x16x16_f16 a[32:35], v[36:37], v[32:33], a[32:35]
	s_waitcnt lgkmcnt(5)
	v_perm_b32 v37, v116, v122, s48
	v_perm_b32 v36, v113, v42, s48
	v_accvgpr_write_b32 a40, v167
	v_mfma_f32_16x16x16_f16 a[36:39], v[38:39], v[32:33], a[36:39]
	s_waitcnt lgkmcnt(4)
	v_perm_b32 v39, v123, v124, s48
	v_perm_b32 v38, v114, v43, s48
	v_accvgpr_write_b32 a42, v168
	v_accvgpr_write_b32 a44, v169
	;; [unrolled: 1-line block ×3, first 2 shown]
	v_mfma_f32_16x16x16_f16 a[40:43], v[36:37], v[32:33], a[40:43]
	s_waitcnt lgkmcnt(3)
	v_perm_b32 v37, v129, v125, s48
	v_perm_b32 v36, v117, v106, s48
	v_accvgpr_write_b32 a48, v173
	v_mfma_f32_16x16x16_f16 a[44:47], v[38:39], v[32:33], a[44:47]
	s_waitcnt lgkmcnt(2)
	v_perm_b32 v39, v130, v126, s48
	v_perm_b32 v38, v118, v107, s48
	v_accvgpr_write_b32 a50, v185
	v_accvgpr_write_b32 a52, v186
	;; [unrolled: 1-line block ×3, first 2 shown]
	v_cvt_f32_f16_e32 v188, v104
	v_cvt_f32_f16_sdwa v104, v104 dst_sel:DWORD dst_unused:UNUSED_PAD src0_sel:WORD_1
	v_cvt_f32_f16_e32 v189, v103
	v_cvt_f32_f16_sdwa v103, v103 dst_sel:DWORD dst_unused:UNUSED_PAD src0_sel:WORD_1
	;; [unrolled: 2-line block ×4, first 2 shown]
	v_mfma_f32_16x16x16_f16 a[48:51], v[36:37], v[32:33], a[48:51]
	s_waitcnt lgkmcnt(1)
	v_perm_b32 v37, v131, v127, s48
	v_perm_b32 v36, v119, v110, s48
	v_accvgpr_write_b32 a56, v188
	v_mfma_f32_16x16x16_f16 a[52:55], v[38:39], v[32:33], a[52:55]
	s_waitcnt lgkmcnt(0)
	v_perm_b32 v39, v132, v128, s48
	v_perm_b32 v38, v121, v111, s48
	v_accvgpr_write_b32 a57, v104
	v_accvgpr_write_b32 a58, v189
	v_accvgpr_write_b32 a59, v103
	v_accvgpr_write_b32 a60, v190
	v_accvgpr_write_b32 a61, v102
	v_accvgpr_write_b32 a62, v191
	v_accvgpr_write_b32 a63, v101
	v_mfma_f32_16x16x16_f16 a[56:59], v[36:37], v[32:33], a[56:59]
	v_accvgpr_read_b32 v35, a2
	v_accvgpr_read_b32 v36, a3
	;; [unrolled: 1-line block ×3, first 2 shown]
	v_mfma_f32_16x16x16_f16 a[60:63], v[38:39], v[32:33], a[60:63]
	v_accvgpr_read_b32 v32, a0
	v_accvgpr_read_b32 v33, a1
	;; [unrolled: 1-line block ×61, first 2 shown]
	v_cvt_pk_f16_f32 v102, v101, v102
	v_cvt_pk_f16_f32 v101, v184, v185
	;; [unrolled: 1-line block ×32, first 2 shown]
	s_barrier
	s_cbranch_vccz .LBB29_303
; %bb.300:                              ;   in Loop: Header=BB29_293 Depth=1
	v_mov_b32_e32 v160, v34
	v_mov_b32_e32 v161, v40
	s_branch .LBB29_293
.LBB29_301:
                                        ; implicit-def: $sgpr6_sgpr7
	s_load_dwordx2 s[92:93], s[0:1], 0x5c
	v_mov_b64_e32 v[38:39], s[6:7]
	s_branch .LBB29_7
.LBB29_302:
	v_mov_b32_e32 v40, 0xfeffffff
	v_mov_b32_e32 v34, 0
	;; [unrolled: 1-line block ×34, first 2 shown]
.LBB29_303:
	s_lshl_b32 s18, s42, 6
	v_readlane_b32 s0, v255, 4
	s_sub_i32 s22, s0, s18
	s_cmp_lg_u64 s[2:3], 0
	s_cselect_b64 s[20:21], -1, 0
	s_ashr_i32 s19, s18, 31
	s_cmp_eq_u64 s[2:3], 0
	v_readlane_b32 s1, v255, 5
	s_cbranch_scc1 .LBB29_313
; %bb.304:
	s_lshl_b64 s[0:1], s[18:19], 1
	s_add_u32 s0, s2, s0
	s_addc_u32 s1, s3, s1
	v_mov_b32_e32 v47, 0
	v_cmp_gt_i32_e32 vcc, s22, v64
	v_lshl_add_u64 v[32:33], s[0:1], 0, v[46:47]
	v_mov_b32_e32 v36, 0
	s_and_saveexec_b64 s[0:1], vcc
	s_cbranch_execz .LBB29_306
; %bb.305:
	v_mul_hi_u32 v35, s92, v135
	v_add_u32_e32 v35, v135, v35
	v_lshrrev_b32_e32 v35, s93, v35
	v_mul_lo_u32 v35, v35, s76
	v_sub_u32_e32 v35, v135, v35
	v_mad_i64_i32 v[36:37], s[2:3], v35, s54, 0
	v_lshl_add_u64 v[36:37], v[36:37], 1, v[32:33]
	global_load_ushort v36, v[36:37], off
.LBB29_306:
	s_or_b64 exec, exec, s[0:1]
	s_movk_i32 s0, 0x90
	v_mad_u32_u24 v35, v170, s0, 0
	v_lshl_add_u32 v37, v64, 1, v35
	s_waitcnt vmcnt(0)
	ds_write_b16 v37, v36 offset:33792
	s_and_saveexec_b64 s[0:1], vcc
	s_cbranch_execz .LBB29_308
; %bb.307:
	v_mul_hi_u32 v36, s92, v136
	v_add_u32_e32 v36, v136, v36
	v_lshrrev_b32_e32 v36, s93, v36
	v_mul_lo_u32 v36, v36, s76
	v_sub_u32_e32 v36, v136, v36
	v_mad_i64_i32 v[36:37], s[2:3], v36, s54, 0
	v_lshl_add_u64 v[36:37], v[36:37], 1, v[32:33]
	global_load_ushort v47, v[36:37], off
.LBB29_308:
	s_or_b64 exec, exec, s[0:1]
	v_add_u32_e32 v35, 0x240, v35
	v_lshl_add_u32 v36, v64, 1, v35
	s_waitcnt vmcnt(0)
	ds_write_b16 v36, v47 offset:33792
	v_mov_b32_e32 v36, 0
	v_mov_b32_e32 v37, 0
	s_and_saveexec_b64 s[0:1], vcc
	s_cbranch_execz .LBB29_310
; %bb.309:
	v_mul_hi_u32 v37, s92, v137
	v_add_u32_e32 v37, v137, v37
	v_lshrrev_b32_e32 v37, s93, v37
	v_mul_lo_u32 v37, v37, s76
	v_sub_u32_e32 v37, v137, v37
	v_mad_i64_i32 v[38:39], s[2:3], v37, s54, 0
	v_lshl_add_u64 v[38:39], v[38:39], 1, v[32:33]
	global_load_ushort v37, v[38:39], off
.LBB29_310:
	s_or_b64 exec, exec, s[0:1]
	v_add_u32_e32 v35, 0x240, v35
	v_lshl_add_u32 v35, v64, 1, v35
	s_waitcnt vmcnt(0)
	ds_write_b16 v35, v37 offset:33792
	s_and_saveexec_b64 s[0:1], vcc
	s_cbranch_execz .LBB29_312
; %bb.311:
	v_mul_hi_u32 v36, s92, v138
	v_add_u32_e32 v36, v138, v36
	v_lshrrev_b32_e32 v36, s93, v36
	v_mul_lo_u32 v36, v36, s76
	v_sub_u32_e32 v36, v138, v36
	v_mad_i64_i32 v[36:37], s[2:3], v36, s54, 0
	v_lshl_add_u64 v[32:33], v[36:37], 1, v[32:33]
	global_load_ushort v36, v[32:33], off
.LBB29_312:
	s_or_b64 exec, exec, s[0:1]
	s_waitcnt vmcnt(0)
	ds_write_b16 v35, v36 offset:34368
.LBB29_313:
	s_mul_hi_i32 s3, s18, s90
	s_mul_i32 s2, s18, s90
	s_lshl_b64 s[2:3], s[2:3], 2
	v_lshl_add_u32 v36, v170, 1, v139
	s_add_u32 s2, s41, s2
	v_mul_lo_u32 v38, s90, v36
	s_addc_u32 s3, s43, s3
	v_and_b32_e32 v32, 0x7c, v65
	v_ashrrev_i32_e32 v39, 31, v38
	s_mov_b64 s[0:1], src_private_base
	v_mov_b32_e32 v33, 0
	v_lshlrev_b32_e32 v32, 2, v32
	v_lshl_add_u64 v[42:43], v[38:39], 2, s[2:3]
	v_lshl_add_u64 v[42:43], v[42:43], 0, v[32:33]
	v_mov_b32_e32 v41, s1
	v_cmp_gt_i32_e64 s[6:7], s22, v36
	v_mov_b32_e32 v35, 0
	v_mov_b32_e32 v46, v33
	;; [unrolled: 1-line block ×5, first 2 shown]
	v_cndmask_b32_e64 v43, v41, v43, s[6:7]
	v_cndmask_b32_e64 v42, v35, v42, s[6:7]
	scratch_store_dwordx4 off, v[46:49], off
	flat_load_dwordx4 v[50:53], v[42:43]
	s_lshl_b32 s4, s90, 3
	v_add_u32_e32 v38, s4, v38
	v_ashrrev_i32_e32 v39, 31, v38
	v_mul_u32_u24_e32 v37, 0x210, v36
	v_add_u32_e32 v45, 8, v36
	v_lshl_add_u64 v[42:43], v[38:39], 2, s[2:3]
	v_add3_u32 v37, 0, v37, v32
	v_lshl_add_u64 v[42:43], v[42:43], 0, v[32:33]
	v_cmp_gt_i32_e64 s[8:9], s22, v45
	v_add_u32_e32 v38, s4, v38
	v_ashrrev_i32_e32 v39, 31, v38
	v_cndmask_b32_e64 v43, v41, v43, s[8:9]
	v_cndmask_b32_e64 v42, v35, v42, s[8:9]
	v_add_u32_e32 v45, 16, v36
	v_cmp_gt_i32_e64 s[10:11], s22, v45
	v_add_u32_e32 v45, 24, v36
	v_cmp_gt_i32_e64 s[12:13], s22, v45
	;; [unrolled: 2-line block ×5, first 2 shown]
	s_andn2_b64 vcc, exec, s[20:21]
	s_waitcnt vmcnt(0) lgkmcnt(0)
	ds_write_b128 v37, v[50:53]
	flat_load_dwordx4 v[50:53], v[42:43]
	v_lshl_add_u64 v[42:43], v[38:39], 2, s[2:3]
	v_lshl_add_u64 v[42:43], v[42:43], 0, v[32:33]
	v_cndmask_b32_e64 v43, v41, v43, s[10:11]
	v_cndmask_b32_e64 v42, v35, v42, s[10:11]
	v_add_u32_e32 v38, s4, v38
	v_ashrrev_i32_e32 v39, 31, v38
	s_waitcnt vmcnt(0) lgkmcnt(0)
	ds_write_b128 v37, v[50:53] offset:4224
	flat_load_dwordx4 v[50:53], v[42:43]
	v_lshl_add_u64 v[42:43], v[38:39], 2, s[2:3]
	v_lshl_add_u64 v[42:43], v[42:43], 0, v[32:33]
	v_cndmask_b32_e64 v43, v41, v43, s[12:13]
	v_cndmask_b32_e64 v42, v35, v42, s[12:13]
	v_add_u32_e32 v38, s4, v38
	v_ashrrev_i32_e32 v39, 31, v38
	s_waitcnt vmcnt(0) lgkmcnt(0)
	ds_write_b128 v37, v[50:53] offset:8448
	;; [unrolled: 9-line block ×4, first 2 shown]
	flat_load_dwordx4 v[50:53], v[42:43]
	v_lshl_add_u64 v[42:43], v[38:39], 2, s[2:3]
	v_lshl_add_u64 v[42:43], v[42:43], 0, v[32:33]
	v_cndmask_b32_e64 v43, v41, v43, s[16:17]
	v_cndmask_b32_e64 v42, v35, v42, s[16:17]
	v_add_u32_e32 v38, s4, v38
	v_ashrrev_i32_e32 v39, 31, v38
	v_lshl_add_u64 v[38:39], v[38:39], 2, s[2:3]
	v_lshl_add_u64 v[38:39], v[38:39], 0, v[32:33]
	s_movk_i32 s2, 0x210
	s_waitcnt vmcnt(0) lgkmcnt(0)
	ds_write_b128 v37, v[50:53] offset:21120
	flat_load_dwordx4 v[50:53], v[42:43]
	v_add_u32_e32 v42, 56, v36
	v_cmp_gt_i32_e64 s[4:5], s22, v42
	s_waitcnt vmcnt(0) lgkmcnt(0)
	ds_write_b128 v37, v[50:53] offset:25344
	v_cndmask_b32_e64 v39, v41, v39, s[4:5]
	v_cndmask_b32_e64 v38, v35, v38, s[4:5]
	flat_load_dwordx4 v[50:53], v[38:39]
	v_and_b32_e32 v39, 48, v192
	v_mad_u32_u24 v38, v39, s2, 0
	v_add3_u32 v41, v38, v120, v97
	s_waitcnt vmcnt(0) lgkmcnt(0)
	ds_write_b128 v37, v[50:53] offset:29568
	s_waitcnt lgkmcnt(0)
	s_barrier
	ds_read2_b64 v[50:53], v41 offset1:4
	s_waitcnt lgkmcnt(0)
	v_mfma_f32_16x16x16_f16 a[0:3], v[50:51], v[28:29], 0
	v_mfma_f32_16x16x16_f16 a[0:3], v[52:53], v[30:31], a[0:3]
	ds_read2_b64 v[28:31], v41 offset0:8 offset1:12
	s_waitcnt lgkmcnt(0)
	v_mfma_f32_16x16x16_f16 a[0:3], v[28:29], v[24:25], a[0:3]
	v_mfma_f32_16x16x16_f16 a[0:3], v[30:31], v[26:27], a[0:3]
	ds_read2_b64 v[24:27], v41 offset0:16 offset1:20
	;; [unrolled: 4-line block ×4, first 2 shown]
	ds_read2_b64 v[20:23], v41 offset0:56 offset1:60
	s_waitcnt lgkmcnt(1)
	v_mfma_f32_16x16x16_f16 a[0:3], v[16:17], v[12:13], a[0:3]
	v_mfma_f32_16x16x16_f16 a[0:3], v[18:19], v[14:15], a[0:3]
	ds_read2_b64 v[12:15], v41 offset0:40 offset1:44
	ds_read2_b64 v[16:19], v41 offset0:48 offset1:52
	s_waitcnt lgkmcnt(0)
	v_mfma_f32_16x16x16_f16 a[0:3], v[12:13], v[8:9], a[0:3]
	v_and_b32_e32 v8, 0xfc, v99
	v_add_u32_e32 v13, 0x1080, v37
	v_add_u32_e32 v12, 0x2100, v37
	v_mfma_f32_16x16x16_f16 a[0:3], v[14:15], v[10:11], a[0:3]
	v_add_u32_e32 v11, 0x3180, v37
	v_add_u32_e32 v9, 0x5280, v37
	;; [unrolled: 1-line block ×3, first 2 shown]
	v_mfma_f32_16x16x16_f16 a[0:3], v[16:17], v[4:5], a[0:3]
	v_add_u32_e32 v5, 0x6300, v37
	v_add_u32_e32 v4, 0x7380, v37
	s_barrier
	v_mfma_f32_16x16x16_f16 a[0:3], v[18:19], v[6:7], a[0:3]
	v_add_u32_e32 v6, 0x4200, v37
	v_mfma_f32_16x16x16_f16 a[0:3], v[20:21], v[0:1], a[0:3]
	v_mfma_f32_16x16x16_f16 a[0:3], v[22:23], v[2:3], a[0:3]
	s_cbranch_vccnz .LBB29_315
; %bb.314:
	s_movk_i32 s2, 0x90
	v_mad_u32_u24 v7, v105, s2, 0
	v_lshlrev_b32_e32 v14, 1, v10
	s_mov_b32 s2, 0x8400
	v_add3_u32 v7, v7, v14, s2
	ds_read2_b32 v[14:15], v7 offset1:1
	s_nop 0
	v_accvgpr_read_b32 v0, a0
	v_accvgpr_read_b32 v1, a1
	;; [unrolled: 1-line block ×4, first 2 shown]
	s_waitcnt lgkmcnt(0)
	v_cvt_f32_f16_e32 v16, v14
	v_cvt_f32_f16_sdwa v17, v14 dst_sel:DWORD dst_unused:UNUSED_PAD src0_sel:WORD_1
	v_cvt_f32_f16_e32 v18, v15
	v_cvt_f32_f16_sdwa v19, v15 dst_sel:DWORD dst_unused:UNUSED_PAD src0_sel:WORD_1
	v_pk_fma_f32 v[0:1], v[44:45], v[16:17], v[0:1] op_sel_hi:[0,1,1]
	v_pk_fma_f32 v[2:3], v[44:45], v[18:19], v[2:3] op_sel_hi:[0,1,1]
	v_accvgpr_write_b32 a0, v0
	v_accvgpr_write_b32 a1, v1
	;; [unrolled: 1-line block ×4, first 2 shown]
.LBB29_315:
	s_mul_hi_i32 s3, s18, s78
	s_mul_i32 s2, s18, s78
	s_lshl_b64 s[2:3], s[2:3], 2
	s_add_u32 s2, s33, s2
	v_mul_lo_u32 v14, s78, v36
	s_addc_u32 s3, s40, s3
	v_ashrrev_i32_e32 v15, 31, v14
	s_mov_b64 s[20:21], src_private_base
	v_lshl_add_u64 v[0:1], v[14:15], 2, s[2:3]
	v_lshl_add_u64 v[0:1], v[0:1], 0, v[32:33]
	v_mov_b32_e32 v21, s21
	v_cndmask_b32_e64 v1, v21, v1, s[6:7]
	v_cndmask_b32_e64 v0, v35, v0, s[6:7]
	scratch_store_dwordx4 off, v[46:49], off
	flat_load_dwordx4 v[0:3], v[0:1]
	s_lshl_b32 s18, s78, 3
	v_add_u32_e32 v14, s18, v14
	v_ashrrev_i32_e32 v15, 31, v14
	v_lshl_add_u64 v[16:17], v[14:15], 2, s[2:3]
	v_lshl_add_u64 v[16:17], v[16:17], 0, v[32:33]
	v_cndmask_b32_e64 v17, v21, v17, s[8:9]
	v_cndmask_b32_e64 v16, v35, v16, s[8:9]
	v_add_u32_e32 v14, s18, v14
	v_ashrrev_i32_e32 v15, 31, v14
	s_mov_b32 s6, 0
	v_mov_b32_e32 v20, s6
	v_or_b32_e32 v26, 3, v10
	v_mul_u32_u24_e32 v7, 0x210, v8
	v_or_b32_e32 v8, 3, v99
	v_mov_b32_e32 v28, 0x7f800000
	s_mov_b32 s19, 0xc1a00000
	s_waitcnt vmcnt(0) lgkmcnt(0)
	ds_write_b128 v37, v[0:3]
	flat_load_dwordx4 v[0:3], v[16:17]
	v_lshl_add_u64 v[16:17], v[14:15], 2, s[2:3]
	v_lshl_add_u64 v[16:17], v[16:17], 0, v[32:33]
	v_cndmask_b32_e64 v17, v21, v17, s[10:11]
	v_cndmask_b32_e64 v16, v35, v16, s[10:11]
	v_add_u32_e32 v14, s18, v14
	v_ashrrev_i32_e32 v15, 31, v14
	v_add_u32_e32 v22, s18, v14
	v_ashrrev_i32_e32 v23, 31, v22
	v_cmp_gt_u32_e64 s[10:11], s22, v26
	v_mul_u32_u24_e32 v37, 0x210, v8
	v_add3_u32 v8, v38, v7, v98
	v_add3_u32 v7, v38, v37, v98
	s_waitcnt vmcnt(0) lgkmcnt(0)
	ds_write_b128 v13, v[0:3]
	flat_load_dwordx4 v[0:3], v[16:17]
	v_lshl_add_u64 v[16:17], v[14:15], 2, s[2:3]
	v_lshl_add_u64 v[16:17], v[16:17], 0, v[32:33]
	v_cndmask_b32_e64 v17, v21, v17, s[12:13]
	v_cndmask_b32_e64 v16, v35, v16, s[12:13]
	s_mov_b32 s13, 0x3fb8aa3b
	s_mov_b32 s12, 0x5040100
	s_waitcnt vmcnt(0) lgkmcnt(0)
	ds_write_b128 v12, v[0:3]
	flat_load_dwordx4 v[0:3], v[16:17]
	v_lshl_add_u64 v[12:13], v[22:23], 2, s[2:3]
	v_lshl_add_u64 v[12:13], v[12:13], 0, v[32:33]
	v_cndmask_b32_e64 v13, v21, v13, s[14:15]
	v_cndmask_b32_e64 v12, v35, v12, s[14:15]
	v_accvgpr_read_b32 v19, a3
	v_accvgpr_read_b32 v16, a0
	v_mbcnt_hi_u32_b32 v23, -1, v100
	v_add_f32_e32 v24, 0x40051340, v16
	v_and_b32_e32 v30, 64, v23
	v_xor_b32_e32 v31, 32, v23
	v_accvgpr_read_b32 v17, a1
	v_xor_b32_e32 v36, 16, v23
	v_add_f32_e32 v25, 0x40051340, v17
	v_accvgpr_read_b32 v18, a2
	v_add_f32_e32 v27, 0x40051340, v18
	v_add_f32_e32 v29, 0x40051340, v19
	s_mov_b32 s14, 0xc2ce8ed0
	s_mov_b32 s15, 0x42b17218
	s_waitcnt vmcnt(0) lgkmcnt(0)
	ds_write_b128 v11, v[0:3]
	flat_load_dwordx4 v[12:15], v[12:13]
	v_max_f32_e32 v0, v40, v40
	v_mov_b32_e32 v1, s6
	v_mov_b32_e32 v11, s6
	v_max_f32_e32 v0, v0, v24
	v_add_u32_e32 v24, 64, v30
	v_cmp_gt_u32_e64 s[6:7], s22, v10
	v_cmp_lt_i32_e32 vcc, v31, v24
	v_or_b32_e32 v2, 1, v10
	v_cndmask_b32_e64 v0, v40, v0, s[6:7]
	v_or_b32_e32 v3, 2, v10
	v_cndmask_b32_e32 v10, v23, v31, vcc
	v_cmp_lt_i32_e32 vcc, v36, v24
	v_max_f32_e32 v24, v0, v0
	v_lshlrev_b32_e32 v69, 2, v10
	v_cndmask_b32_e32 v23, v23, v36, vcc
	v_max_f32_e32 v10, v24, v25
	v_cmp_gt_u32_e32 vcc, s22, v2
	v_cmp_gt_u32_e64 s[8:9], s22, v3
	v_lshlrev_b32_e32 v67, 2, v23
	v_cndmask_b32_e32 v0, v0, v10, vcc
	v_max_f32_e32 v2, v0, v0
	v_max_f32_e32 v10, v2, v27
	v_add_u32_e32 v2, s18, v22
	v_ashrrev_i32_e32 v3, 31, v2
	v_add_u32_e32 v22, s18, v2
	v_lshl_add_u64 v[2:3], v[2:3], 2, s[2:3]
	v_lshl_add_u64 v[2:3], v[2:3], 0, v[32:33]
	v_cndmask_b32_e64 v27, v21, v3, s[0:1]
	v_cndmask_b32_e64 v26, v35, v2, s[0:1]
	v_ashrrev_i32_e32 v23, 31, v22
	v_add_u32_e32 v24, s18, v22
	v_lshl_add_u64 v[22:23], v[22:23], 2, s[2:3]
	v_ashrrev_i32_e32 v25, 31, v24
	v_lshl_add_u64 v[2:3], v[22:23], 0, v[32:33]
	v_lshl_add_u64 v[22:23], v[24:25], 2, s[2:3]
	v_cndmask_b32_e64 v25, v21, v3, s[16:17]
	v_cndmask_b32_e64 v24, v35, v2, s[16:17]
	;; [unrolled: 1-line block ×3, first 2 shown]
	v_max_f32_e32 v10, v0, v0
	v_max_f32_e32 v10, v10, v29
	v_cndmask_b32_e64 v0, v0, v10, s[10:11]
	ds_bpermute_b32 v10, v69, v0
	v_max_f32_e32 v0, v0, v0
	v_lshl_add_u64 v[2:3], v[22:23], 0, v[32:33]
	v_cndmask_b32_e64 v3, v21, v3, s[4:5]
	v_cndmask_b32_e64 v2, v35, v2, s[4:5]
	s_waitcnt lgkmcnt(0)
	v_max_f32_e32 v10, v10, v10
	v_max_f32_e32 v0, v0, v10
	ds_bpermute_b32 v10, v67, v0
	s_waitcnt vmcnt(0)
	ds_write_b128 v6, v[12:15]
	flat_load_dwordx4 v[12:15], v[26:27]
	s_waitcnt lgkmcnt(0)
	v_max_f32_e32 v6, v10, v10
	v_max_f32_e32 v6, v0, v6
	v_sub_f32_e32 v0, v16, v6
	v_sub_f32_e32 v10, v17, v6
	;; [unrolled: 1-line block ×3, first 2 shown]
	v_mul_f32_e32 v19, 0x3fb8aa3b, v0
	v_sub_f32_e32 v16, v18, v6
	v_mul_f32_e32 v21, 0x3fb8aa3b, v10
	v_fma_f32 v27, v0, s13, -v19
	v_rndne_f32_e32 v29, v19
	v_mul_f32_e32 v22, 0x3fb8aa3b, v16
	v_fma_f32 v30, v10, s13, -v21
	v_rndne_f32_e32 v31, v21
	v_fmac_f32_e32 v27, 0x32a5705f, v0
	v_sub_f32_e32 v19, v19, v29
	v_sub_f32_e32 v18, v40, v6
	v_mul_f32_e32 v23, 0x3fb8aa3b, v17
	v_fma_f32 v32, v16, s13, -v22
	v_rndne_f32_e32 v33, v22
	v_fmac_f32_e32 v30, 0x32a5705f, v10
	v_sub_f32_e32 v21, v21, v31
	v_add_f32_e32 v19, v19, v27
	v_mul_f32_e32 v26, 0x3fb8aa3b, v18
	v_fma_f32 v35, v17, s13, -v23
	v_rndne_f32_e32 v36, v23
	v_cvt_i32_f32_e32 v29, v29
	v_fmac_f32_e32 v32, 0x32a5705f, v16
	v_sub_f32_e32 v22, v22, v33
	v_add_f32_e32 v21, v21, v30
	v_exp_f32_e32 v19, v19
	v_fma_f32 v37, v18, s13, -v26
	v_rndne_f32_e32 v38, v26
	v_cvt_i32_f32_e32 v31, v31
	v_fmac_f32_e32 v35, 0x32a5705f, v17
	v_sub_f32_e32 v23, v23, v36
	v_add_f32_e32 v22, v22, v32
	v_exp_f32_e32 v21, v21
	v_cvt_i32_f32_e32 v33, v33
	v_fmac_f32_e32 v37, 0x32a5705f, v18
	v_sub_f32_e32 v26, v26, v38
	v_add_f32_e32 v23, v23, v35
	v_exp_f32_e32 v22, v22
	v_cvt_i32_f32_e32 v36, v36
	v_add_f32_e32 v26, v26, v37
	v_exp_f32_e32 v23, v23
	v_cvt_i32_f32_e32 v38, v38
	v_exp_f32_e32 v26, v26
	v_ldexp_f32 v19, v19, v29
	v_cmp_ngt_f32_e64 s[0:1], s14, v0
	v_ldexp_f32 v21, v21, v31
	v_ldexp_f32 v22, v22, v33
	v_cndmask_b32_e64 v19, 0, v19, s[0:1]
	v_cmp_ngt_f32_e64 s[0:1], s14, v10
	v_ldexp_f32 v23, v23, v36
	v_ldexp_f32 v26, v26, v38
	v_cndmask_b32_e64 v21, 0, v21, s[0:1]
	v_cmp_ngt_f32_e64 s[0:1], s14, v16
	s_waitcnt vmcnt(0)
	ds_write_b128 v9, v[12:15]
	flat_load_dwordx4 v[12:15], v[24:25]
	v_cndmask_b32_e64 v22, 0, v22, s[0:1]
	v_cmp_ngt_f32_e64 s[0:1], s14, v17
	s_waitcnt vmcnt(0) lgkmcnt(0)
	ds_write_b128 v5, v[12:15]
	v_cndmask_b32_e64 v23, 0, v23, s[0:1]
	v_cmp_ngt_f32_e64 s[0:1], s14, v18
	s_nop 1
	v_cndmask_b32_e64 v26, 0, v26, s[0:1]
	v_cmp_nlt_f32_e64 s[0:1], s15, v0
	s_nop 1
	v_cndmask_b32_e64 v0, v28, v19, s[0:1]
	v_cmp_nlt_f32_e64 s[0:1], s15, v10
	v_cndmask_b32_e64 v10, 0, v0, s[6:7]
	s_nop 0
	v_cndmask_b32_e64 v19, v28, v21, s[0:1]
	v_cmp_nlt_f32_e64 s[0:1], s15, v16
	s_nop 1
	v_cndmask_b32_e64 v21, v28, v22, s[0:1]
	v_cmp_nlt_f32_e64 s[0:1], s15, v17
	v_cndmask_b32_e32 v17, v1, v19, vcc
	v_cndmask_b32_e64 v16, v20, v21, s[8:9]
	v_cndmask_b32_e64 v22, v28, v23, s[0:1]
	v_cmp_nlt_f32_e64 s[0:1], s15, v18
	v_cndmask_b32_e64 v0, v11, v22, s[10:11]
	v_cvt_pk_f16_f32 v1, v16, v0
	v_cndmask_b32_e64 v23, v28, v26, s[0:1]
	v_cmp_le_f32_e64 s[0:1], s19, v18
	v_add_f32_e32 v18, v19, v10
	v_cvt_pk_f16_f32 v0, v10, v17
	v_cndmask_b32_e64 v11, 0, v23, s[0:1]
	v_cvt_f16_f32_e32 v9, v11
	v_cndmask_b32_e32 v10, v10, v18, vcc
	v_add_f32_e32 v16, v10, v21
	v_cndmask_b32_e64 v10, v10, v16, s[8:9]
	v_add_f32_e32 v16, v10, v22
	v_mul_u32_u24_e32 v9, 0x10001, v9
	v_cndmask_b32_e64 v16, v10, v16, s[10:11]
	v_pk_mul_f16 v10, v134, v9
	v_fmac_f32_e32 v16, v34, v11
	v_cvt_f32_f16_e32 v34, v10
	v_cvt_f32_f16_sdwa v48, v10 dst_sel:DWORD dst_unused:UNUSED_PAD src0_sel:WORD_1
	flat_load_dwordx4 v[10:13], v[2:3]
	v_pk_mul_f16 v17, v133, v9
	v_pk_mul_f16 v18, v132, v9
	;; [unrolled: 1-line block ×22, first 2 shown]
	v_cvt_f32_f16_e32 v49, v17
	v_cvt_f32_f16_sdwa v17, v17 dst_sel:DWORD dst_unused:UNUSED_PAD src0_sel:WORD_1
	v_cvt_f32_f16_e32 v50, v18
	v_cvt_f32_f16_sdwa v18, v18 dst_sel:DWORD dst_unused:UNUSED_PAD src0_sel:WORD_1
	v_cvt_f32_f16_e32 v51, v19
	v_cvt_f32_f16_sdwa v19, v19 dst_sel:DWORD dst_unused:UNUSED_PAD src0_sel:WORD_1
	v_cvt_f32_f16_e32 v52, v20
	v_cvt_f32_f16_sdwa v20, v20 dst_sel:DWORD dst_unused:UNUSED_PAD src0_sel:WORD_1
	v_cvt_f32_f16_e32 v53, v21
	v_cvt_f32_f16_sdwa v21, v21 dst_sel:DWORD dst_unused:UNUSED_PAD src0_sel:WORD_1
	v_cvt_f32_f16_e32 v54, v22
	v_cvt_f32_f16_sdwa v22, v22 dst_sel:DWORD dst_unused:UNUSED_PAD src0_sel:WORD_1
	v_cvt_f32_f16_e32 v55, v23
	v_cvt_f32_f16_sdwa v23, v23 dst_sel:DWORD dst_unused:UNUSED_PAD src0_sel:WORD_1
	v_cvt_f32_f16_e32 v56, v24
	v_cvt_f32_f16_sdwa v24, v24 dst_sel:DWORD dst_unused:UNUSED_PAD src0_sel:WORD_1
	v_cvt_f32_f16_e32 v57, v25
	v_cvt_f32_f16_sdwa v25, v25 dst_sel:DWORD dst_unused:UNUSED_PAD src0_sel:WORD_1
	v_cvt_f32_f16_e32 v58, v26
	v_cvt_f32_f16_sdwa v26, v26 dst_sel:DWORD dst_unused:UNUSED_PAD src0_sel:WORD_1
	v_cvt_f32_f16_e32 v59, v27
	v_cvt_f32_f16_sdwa v27, v27 dst_sel:DWORD dst_unused:UNUSED_PAD src0_sel:WORD_1
	v_cvt_f32_f16_e32 v60, v28
	v_cvt_f32_f16_sdwa v28, v28 dst_sel:DWORD dst_unused:UNUSED_PAD src0_sel:WORD_1
	v_cvt_f32_f16_e32 v61, v29
	v_cvt_f32_f16_sdwa v29, v29 dst_sel:DWORD dst_unused:UNUSED_PAD src0_sel:WORD_1
	v_cvt_f32_f16_e32 v62, v30
	v_cvt_f32_f16_sdwa v30, v30 dst_sel:DWORD dst_unused:UNUSED_PAD src0_sel:WORD_1
	v_cvt_f32_f16_e32 v63, v31
	v_cvt_f32_f16_sdwa v31, v31 dst_sel:DWORD dst_unused:UNUSED_PAD src0_sel:WORD_1
	v_cvt_f32_f16_e32 v66, v32
	v_cvt_f32_f16_sdwa v32, v32 dst_sel:DWORD dst_unused:UNUSED_PAD src0_sel:WORD_1
	v_cvt_f32_f16_e32 v68, v33
	v_cvt_f32_f16_sdwa v33, v33 dst_sel:DWORD dst_unused:UNUSED_PAD src0_sel:WORD_1
	v_cvt_f32_f16_e32 v70, v35
	v_cvt_f32_f16_sdwa v2, v35 dst_sel:DWORD dst_unused:UNUSED_PAD src0_sel:WORD_1
	v_cvt_f32_f16_e32 v3, v36
	v_cvt_f32_f16_sdwa v5, v36 dst_sel:DWORD dst_unused:UNUSED_PAD src0_sel:WORD_1
	v_cvt_f32_f16_e32 v14, v37
	v_cvt_f32_f16_sdwa v15, v37 dst_sel:DWORD dst_unused:UNUSED_PAD src0_sel:WORD_1
	v_cvt_f32_f16_e32 v35, v38
	v_cvt_f32_f16_sdwa v36, v38 dst_sel:DWORD dst_unused:UNUSED_PAD src0_sel:WORD_1
	v_cvt_f32_f16_e32 v37, v39
	v_cvt_f32_f16_sdwa v38, v39 dst_sel:DWORD dst_unused:UNUSED_PAD src0_sel:WORD_1
	v_accvgpr_write_b32 a0, v34
	v_accvgpr_write_b32 a3, v17
	;; [unrolled: 1-line block ×27, first 2 shown]
	s_waitcnt vmcnt(0) lgkmcnt(0)
	ds_write_b128 v4, v[10:13]
	s_waitcnt lgkmcnt(0)
	s_barrier
	ds_read_u16 v2, v8
	ds_read_u16 v4, v8 offset:32
	ds_read_u16 v10, v8 offset:64
	;; [unrolled: 1-line block ×23, first 2 shown]
	ds_read_u16 v31, v7
	ds_read_u16 v32, v7 offset:32
	ds_read_u16 v33, v7 offset:64
	;; [unrolled: 1-line block ×7, first 2 shown]
	s_waitcnt lgkmcnt(7)
	v_perm_b32 v3, v31, v3, s12
	v_perm_b32 v2, v5, v2, s12
	s_waitcnt lgkmcnt(6)
	v_perm_b32 v5, v32, v24, s12
	v_perm_b32 v4, v17, v4, s12
	v_accvgpr_write_b32 a1, v48
	v_accvgpr_write_b32 a2, v49
	;; [unrolled: 1-line block ×4, first 2 shown]
	v_mfma_f32_16x16x16_f16 a[0:3], v[2:3], v[0:1], a[0:3]
	s_waitcnt lgkmcnt(5)
	v_perm_b32 v3, v33, v25, s12
	v_perm_b32 v2, v18, v10, s12
	v_accvgpr_write_b32 a8, v52
	v_mfma_f32_16x16x16_f16 a[4:7], v[4:5], v[0:1], a[4:7]
	s_waitcnt lgkmcnt(4)
	v_perm_b32 v5, v34, v26, s12
	v_perm_b32 v4, v19, v11, s12
	v_accvgpr_write_b32 a10, v53
	v_accvgpr_write_b32 a12, v54
	;; [unrolled: 1-line block ×3, first 2 shown]
	v_mfma_f32_16x16x16_f16 a[8:11], v[2:3], v[0:1], a[8:11]
	s_waitcnt lgkmcnt(3)
	v_perm_b32 v3, v35, v27, s12
	v_perm_b32 v2, v20, v12, s12
	v_accvgpr_write_b32 a16, v56
	v_mfma_f32_16x16x16_f16 a[12:15], v[4:5], v[0:1], a[12:15]
	s_waitcnt lgkmcnt(2)
	v_perm_b32 v5, v36, v28, s12
	v_perm_b32 v4, v21, v13, s12
	v_accvgpr_write_b32 a18, v57
	v_pk_mul_f16 v40, v110, v9
	v_accvgpr_write_b32 a20, v58
	v_mfma_f32_16x16x16_f16 a[16:19], v[2:3], v[0:1], a[16:19]
	s_waitcnt lgkmcnt(1)
	v_perm_b32 v3, v37, v29, s12
	v_perm_b32 v2, v22, v14, s12
	v_cvt_f32_f16_e32 v39, v40
	v_accvgpr_write_b32 a22, v59
	v_accvgpr_write_b32 a24, v60
	;; [unrolled: 1-line block ×3, first 2 shown]
	v_mfma_f32_16x16x16_f16 a[20:23], v[4:5], v[0:1], a[20:23]
	s_waitcnt lgkmcnt(0)
	v_perm_b32 v5, v38, v30, s12
	v_perm_b32 v4, v23, v15, s12
	v_accvgpr_write_b32 a46, v39
	ds_read_u16 v10, v8 offset:256
	ds_read_u16 v11, v8 offset:288
	ds_read_u16 v12, v8 offset:320
	ds_read_u16 v17, v8 offset:352
	ds_read_u16 v18, v8 offset:384
	ds_read_u16 v19, v8 offset:416
	ds_read_u16 v20, v8 offset:448
	ds_read_u16 v24, v8 offset:480
	ds_read_u16 v13, v8 offset:784
	ds_read_u16 v21, v8 offset:816
	ds_read_u16 v25, v8 offset:848
	ds_read_u16 v26, v8 offset:880
	ds_read_u16 v27, v8 offset:912
	ds_read_u16 v28, v8 offset:944
	ds_read_u16 v31, v8 offset:976
	ds_read_u16 v32, v8 offset:1008
	ds_read_u16 v14, v8 offset:1312
	ds_read_u16 v22, v8 offset:1344
	ds_read_u16 v29, v8 offset:1376
	ds_read_u16 v33, v8 offset:1408
	ds_read_u16 v34, v8 offset:1440
	ds_read_u16 v35, v8 offset:1472
	ds_read_u16 v36, v8 offset:1504
	ds_read_u16 v8, v8 offset:1536
	v_mfma_f32_16x16x16_f16 a[24:27], v[2:3], v[0:1], a[24:27]
	ds_read_u16 v2, v7 offset:256
	ds_read_u16 v15, v7 offset:288
	;; [unrolled: 1-line block ×8, first 2 shown]
	s_waitcnt lgkmcnt(7)
	v_perm_b32 v3, v2, v14, s12
	v_perm_b32 v2, v13, v10, s12
	v_accvgpr_write_b32 a28, v62
	v_accvgpr_write_b32 a30, v63
	;; [unrolled: 1-line block ×4, first 2 shown]
	v_mfma_f32_16x16x16_f16 a[28:31], v[4:5], v[0:1], a[28:31]
	s_waitcnt lgkmcnt(6)
	v_perm_b32 v5, v15, v22, s12
	v_perm_b32 v4, v21, v11, s12
	v_accvgpr_write_b32 a36, v70
	v_mfma_f32_16x16x16_f16 a[32:35], v[2:3], v[0:1], a[32:35]
	s_waitcnt lgkmcnt(5)
	v_perm_b32 v3, v23, v29, s12
	v_perm_b32 v2, v25, v12, s12
	v_cvt_f32_f16_sdwa v40, v40 dst_sel:DWORD dst_unused:UNUSED_PAD src0_sel:WORD_1
	v_mfma_f32_16x16x16_f16 a[36:39], v[4:5], v[0:1], a[36:39]
	s_waitcnt lgkmcnt(4)
	v_perm_b32 v5, v30, v33, s12
	v_perm_b32 v4, v26, v17, s12
	v_pk_mul_f16 v41, v109, v9
	v_pk_mul_f16 v42, v108, v9
	v_cvt_f32_f16_e32 v71, v41
	v_cvt_f32_f16_sdwa v41, v41 dst_sel:DWORD dst_unused:UNUSED_PAD src0_sel:WORD_1
	v_cvt_f32_f16_e32 v72, v42
	v_cvt_f32_f16_sdwa v42, v42 dst_sel:DWORD dst_unused:UNUSED_PAD src0_sel:WORD_1
	v_mfma_f32_16x16x16_f16 a[40:43], v[2:3], v[0:1], a[40:43]
	s_waitcnt lgkmcnt(3)
	v_perm_b32 v3, v37, v34, s12
	v_perm_b32 v2, v27, v18, s12
	v_pk_mul_f16 v43, v107, v9
	v_pk_mul_f16 v44, v106, v9
	v_accvgpr_write_b32 a47, v40
	v_cvt_f32_f16_e32 v73, v43
	v_cvt_f32_f16_sdwa v43, v43 dst_sel:DWORD dst_unused:UNUSED_PAD src0_sel:WORD_1
	v_cvt_f32_f16_e32 v74, v44
	v_cvt_f32_f16_sdwa v44, v44 dst_sel:DWORD dst_unused:UNUSED_PAD src0_sel:WORD_1
	v_mfma_f32_16x16x16_f16 a[44:47], v[4:5], v[0:1], a[44:47]
	s_waitcnt lgkmcnt(2)
	v_perm_b32 v5, v38, v35, s12
	v_perm_b32 v4, v28, v19, s12
	v_pk_mul_f16 v45, v104, v9
	v_pk_mul_f16 v46, v103, v9
	v_accvgpr_write_b32 a48, v71
	v_accvgpr_write_b32 a49, v41
	;; [unrolled: 1-line block ×4, first 2 shown]
	v_cvt_f32_f16_e32 v75, v45
	v_cvt_f32_f16_sdwa v45, v45 dst_sel:DWORD dst_unused:UNUSED_PAD src0_sel:WORD_1
	v_cvt_f32_f16_e32 v76, v46
	v_cvt_f32_f16_sdwa v46, v46 dst_sel:DWORD dst_unused:UNUSED_PAD src0_sel:WORD_1
	ds_bpermute_b32 v79, v69, v16
	v_mfma_f32_16x16x16_f16 a[48:51], v[2:3], v[0:1], a[48:51]
	s_waitcnt lgkmcnt(2)
	v_perm_b32 v3, v39, v36, s12
	v_perm_b32 v2, v31, v20, s12
	v_pk_mul_f16 v47, v102, v9
	v_pk_mul_f16 v9, v101, v9
	v_accvgpr_write_b32 a52, v73
	v_accvgpr_write_b32 a53, v43
	;; [unrolled: 1-line block ×4, first 2 shown]
	v_cvt_f32_f16_e32 v77, v47
	v_cvt_f32_f16_sdwa v47, v47 dst_sel:DWORD dst_unused:UNUSED_PAD src0_sel:WORD_1
	v_cvt_f32_f16_e32 v78, v9
	v_cvt_f32_f16_sdwa v9, v9 dst_sel:DWORD dst_unused:UNUSED_PAD src0_sel:WORD_1
	v_mfma_f32_16x16x16_f16 a[52:55], v[4:5], v[0:1], a[52:55]
	s_waitcnt lgkmcnt(1)
	v_perm_b32 v5, v7, v8, s12
	v_perm_b32 v4, v32, v24, s12
	v_accvgpr_write_b32 a56, v75
	v_accvgpr_write_b32 a57, v45
	;; [unrolled: 1-line block ×6, first 2 shown]
	v_mfma_f32_16x16x16_f16 a[56:59], v[2:3], v[0:1], a[56:59]
	s_waitcnt lgkmcnt(0)
	v_add_f32_e32 v2, v16, v79
	v_accvgpr_write_b32 a62, v78
	v_accvgpr_write_b32 a63, v9
	ds_bpermute_b32 v3, v67, v2
	v_cmp_gt_u32_e64 s[0:1], 16, v64
	v_mfma_f32_16x16x16_f16 a[60:63], v[4:5], v[0:1], a[60:63]
	s_waitcnt lgkmcnt(0)
	s_barrier
	s_and_saveexec_b64 s[2:3], s[0:1]
; %bb.316:
	v_or_b32_e32 v1, v192, v64
	s_movk_i32 s4, 0x210
	v_add_f32_e32 v0, v2, v3
	v_mad_u32_u24 v1, v1, s4, 0
	ds_write2_b32 v1, v6, v0 offset0:128 offset1:129
; %bb.317:
	s_or_b64 exec, exec, s[2:3]
	v_and_b32_e32 v0, 3, v170
	v_cmp_eq_u32_e32 vcc, 0, v0
	v_cmp_ne_u32_e64 s[4:5], 0, v0
	s_waitcnt lgkmcnt(0)
	s_barrier
	s_and_saveexec_b64 s[2:3], s[4:5]
	s_xor_b64 s[2:3], exec, s[2:3]
	s_cbranch_execz .LBB29_319
; %bb.318:
	s_barrier
                                        ; implicit-def: $vgpr69
                                        ; implicit-def: $vgpr67
                                        ; implicit-def: $vgpr193
.LBB29_319:
	s_or_saveexec_b64 s[2:3], s[2:3]
	v_accvgpr_read_b32 v63, a3
	v_accvgpr_read_b32 v59, a7
	;; [unrolled: 1-line block ×64, first 2 shown]
	s_xor_b64 exec, exec, s[2:3]
	s_cbranch_execz .LBB29_323
; %bb.320:
	v_add_u32_e32 v66, v192, v64
	s_movk_i32 s4, 0x210
	v_mad_u32_u24 v72, v66, s4, 0
	ds_read_b64 v[70:71], v72 offset:512
	s_mov_b32 s4, 0x3fb8aa3b
	s_mov_b32 s6, 0x42b17218
	s_mov_b32 s7, 0
	s_waitcnt lgkmcnt(0)
	ds_bpermute_b32 v66, v69, v70
	v_max_f32_e32 v68, v70, v70
	s_barrier
	s_waitcnt lgkmcnt(0)
	v_max_f32_e32 v66, v66, v66
	v_max_f32_e32 v66, v68, v66
	ds_bpermute_b32 v68, v67, v66
	s_waitcnt lgkmcnt(0)
	v_max_f32_e32 v68, v68, v68
	v_max_f32_e32 v66, v66, v68
	v_sub_f32_e32 v68, v70, v66
	v_mul_f32_e32 v70, 0x3fb8aa3b, v68
	v_fma_f32 v73, v68, s4, -v70
	v_rndne_f32_e32 v74, v70
	v_fmamk_f32 v73, v68, 0x32a5705f, v73
	v_sub_f32_e32 v70, v70, v74
	v_add_f32_e32 v70, v70, v73
	v_cvt_i32_f32_e32 v74, v74
	v_exp_f32_e32 v70, v70
	s_mov_b32 s4, 0xc2ce8ed0
	v_cmp_ngt_f32_e64 s[4:5], s4, v68
	v_mov_b32_e32 v73, 0x7f800000
	v_ldexp_f32 v70, v70, v74
	v_cndmask_b32_e64 v70, 0, v70, s[4:5]
	v_cmp_nlt_f32_e64 s[4:5], s6, v68
	s_nop 1
	v_cndmask_b32_e64 v68, v73, v70, s[4:5]
	v_mul_f32_e32 v70, v71, v68
	ds_bpermute_b32 v69, v69, v70
	s_waitcnt lgkmcnt(0)
	v_fmac_f32_e32 v69, v71, v68
	ds_bpermute_b32 v67, v67, v69
	s_waitcnt lgkmcnt(0)
	v_add_f32_e32 v69, v69, v67
	ds_write_b64 v72, v[68:69] offset:512
	s_and_saveexec_b64 s[4:5], s[0:1]
	s_cbranch_execz .LBB29_322
; %bb.321:
	s_add_i32 s0, s52, s49
	s_lshl_b32 s6, s0, 4
	s_lshl_b64 s[0:1], s[6:7], 3
	s_add_u32 s0, s74, s0
	v_or_b32_e32 v67, v193, v64
	s_addc_u32 s1, s75, s1
	v_lshlrev_b32_e32 v68, 3, v67
	v_mov_b32_e32 v67, v69
	global_store_dwordx2 v68, v[66:67], s[0:1]
.LBB29_322:
	s_or_b64 exec, exec, s[4:5]
.LBB29_323:
	s_or_b64 exec, exec, s[2:3]
	v_cvt_pk_f16_f32 v4, v4, v5
	v_or_b32_e32 v5, v192, v96
	v_mul_u32_u24_e32 v5, 0x210, v5
	v_cvt_pk_f16_f32 v62, v62, v63
	v_cvt_pk_f16_f32 v60, v60, v61
	s_movk_i32 s4, 0x210
	s_mov_b32 s3, 0
	v_add3_u32 v5, 0, v5, v97
	v_cvt_pk_f16_f32 v58, v58, v59
	v_cvt_pk_f16_f32 v56, v56, v57
	;; [unrolled: 1-line block ×29, first 2 shown]
	ds_write2_b32 v5, v60, v62 offset1:1
	ds_write2_b32 v5, v56, v58 offset0:8 offset1:9
	ds_write2_b32 v5, v52, v54 offset0:16 offset1:17
	;; [unrolled: 1-line block ×15, first 2 shown]
	s_waitcnt lgkmcnt(0)
	s_barrier
	s_and_saveexec_b64 s[0:1], vcc
	s_cbranch_execz .LBB29_325
; %bb.324:
	s_lshl_b32 s2, s49, 11
	s_lshl_b64 s[6:7], s[2:3], 3
	s_add_u32 s5, s74, s6
	s_addc_u32 s6, s75, s7
	s_lshl_b32 s2, s52, 5
	s_lshl_b64 s[2:3], s[2:3], 3
	s_add_u32 s2, s5, s2
	v_bfe_u32 v1, v170, 2, 4
	s_movk_i32 s5, 0x3c0
	v_and_or_b32 v1, v170, s5, v1
	v_mad_u32_u24 v1, v1, s4, 0
	v_add_u32_e32 v10, v1, v65
	ds_read2st64_b32 v[2:3], v10 offset1:1
	ds_read2st64_b32 v[4:5], v1 offset0:2 offset1:35
	ds_read2st64_b32 v[6:7], v10 offset0:33 offset1:34
	;; [unrolled: 1-line block ×4, first 2 shown]
	s_waitcnt lgkmcnt(4)
	v_cvt_f32_f16_e32 v12, v2
	v_cvt_f32_f16_sdwa v13, v2 dst_sel:DWORD dst_unused:UNUSED_PAD src0_sel:WORD_1
	ds_read2st64_b32 v[14:15], v1 offset0:68 offset1:101
	s_waitcnt lgkmcnt(3)
	v_cvt_f32_f16_e32 v16, v6
	v_cvt_f32_f16_sdwa v17, v6 dst_sel:DWORD dst_unused:UNUSED_PAD src0_sel:WORD_1
	s_waitcnt lgkmcnt(2)
	v_cvt_f32_f16_e32 v18, v8
	v_cvt_f32_f16_sdwa v19, v8 dst_sel:DWORD dst_unused:UNUSED_PAD src0_sel:WORD_1
	v_lshlrev_b32_e32 v2, 5, v170
	s_waitcnt lgkmcnt(1)
	v_cvt_f32_f16_e32 v20, v10
	v_cvt_f32_f16_sdwa v21, v10 dst_sel:DWORD dst_unused:UNUSED_PAD src0_sel:WORD_1
	v_add_lshl_u32 v1, v64, v2, 3
	v_pk_fma_f32 v[12:13], v[4:5], v[12:13], 0 op_sel_hi:[0,1,0]
	v_mov_b32_e32 v2, v5
	v_pk_fma_f32 v[12:13], v[2:3], v[16:17], v[12:13] op_sel_hi:[0,1,1]
	s_waitcnt lgkmcnt(0)
	v_pk_fma_f32 v[12:13], v[14:15], v[18:19], v[12:13] op_sel_hi:[0,1,1]
	v_mov_b32_e32 v6, v15
	s_addc_u32 s3, s6, s3
	v_pk_fma_f32 v[12:13], v[6:7], v[20:21], v[12:13] op_sel_hi:[0,1,1]
	global_store_dwordx2 v1, v[12:13], s[2:3]
	v_cvt_f32_f16_e32 v12, v3
	v_cvt_f32_f16_sdwa v13, v3 dst_sel:DWORD dst_unused:UNUSED_PAD src0_sel:WORD_1
	v_cvt_f32_f16_e32 v16, v7
	v_cvt_f32_f16_sdwa v17, v7 dst_sel:DWORD dst_unused:UNUSED_PAD src0_sel:WORD_1
	;; [unrolled: 2-line block ×4, first 2 shown]
	v_pk_fma_f32 v[4:5], v[4:5], v[12:13], 0 op_sel_hi:[0,1,0]
	v_pk_fma_f32 v[2:3], v[2:3], v[16:17], v[4:5] op_sel_hi:[0,1,1]
	;; [unrolled: 1-line block ×3, first 2 shown]
	v_lshrrev_b32_e32 v0, 2, v170
	v_pk_fma_f32 v[2:3], v[6:7], v[10:11], v[2:3] op_sel_hi:[0,1,1]
	global_store_dwordx2 v1, v[2:3], s[2:3] offset:512
	v_add_u32_e32 v1, 1, v0
	v_lshlrev_b32_e32 v2, 2, v1
	v_and_b32_e32 v3, 15, v1
	s_movk_i32 s5, 0x7c0
	v_and_or_b32 v2, v2, s5, v3
	v_mad_u32_u24 v14, v2, s4, 0
	v_add_u32_e32 v10, v14, v65
	ds_read2st64_b32 v[2:3], v10 offset1:1
	ds_read2st64_b32 v[4:5], v14 offset0:2 offset1:35
	ds_read2st64_b32 v[6:7], v10 offset0:33 offset1:34
	ds_read2st64_b32 v[8:9], v10 offset0:66 offset1:67
	ds_read2st64_b32 v[10:11], v10 offset0:99 offset1:100
	s_waitcnt lgkmcnt(4)
	v_cvt_f32_f16_e32 v12, v2
	v_cvt_f32_f16_sdwa v13, v2 dst_sel:DWORD dst_unused:UNUSED_PAD src0_sel:WORD_1
	ds_read2st64_b32 v[14:15], v14 offset0:68 offset1:101
	s_waitcnt lgkmcnt(3)
	v_cvt_f32_f16_e32 v16, v6
	v_cvt_f32_f16_sdwa v17, v6 dst_sel:DWORD dst_unused:UNUSED_PAD src0_sel:WORD_1
	s_waitcnt lgkmcnt(2)
	v_cvt_f32_f16_e32 v18, v8
	v_cvt_f32_f16_sdwa v19, v8 dst_sel:DWORD dst_unused:UNUSED_PAD src0_sel:WORD_1
	s_waitcnt lgkmcnt(1)
	v_cvt_f32_f16_e32 v20, v10
	v_cvt_f32_f16_sdwa v21, v10 dst_sel:DWORD dst_unused:UNUSED_PAD src0_sel:WORD_1
	v_pk_fma_f32 v[12:13], v[4:5], v[12:13], 0 op_sel_hi:[0,1,0]
	v_mov_b32_e32 v2, v5
	v_pk_fma_f32 v[12:13], v[2:3], v[16:17], v[12:13] op_sel_hi:[0,1,1]
	v_lshlrev_b32_e32 v1, 7, v1
	s_waitcnt lgkmcnt(0)
	v_pk_fma_f32 v[12:13], v[14:15], v[18:19], v[12:13] op_sel_hi:[0,1,1]
	v_mov_b32_e32 v6, v15
	v_add_lshl_u32 v1, v64, v1, 3
	v_pk_fma_f32 v[12:13], v[6:7], v[20:21], v[12:13] op_sel_hi:[0,1,1]
	global_store_dwordx2 v1, v[12:13], s[2:3]
	v_cvt_f32_f16_e32 v12, v3
	v_cvt_f32_f16_sdwa v13, v3 dst_sel:DWORD dst_unused:UNUSED_PAD src0_sel:WORD_1
	v_cvt_f32_f16_e32 v16, v7
	v_cvt_f32_f16_sdwa v17, v7 dst_sel:DWORD dst_unused:UNUSED_PAD src0_sel:WORD_1
	v_cvt_f32_f16_e32 v8, v9
	v_cvt_f32_f16_sdwa v9, v9 dst_sel:DWORD dst_unused:UNUSED_PAD src0_sel:WORD_1
	v_cvt_f32_f16_e32 v10, v11
	v_cvt_f32_f16_sdwa v11, v11 dst_sel:DWORD dst_unused:UNUSED_PAD src0_sel:WORD_1
	v_pk_fma_f32 v[4:5], v[4:5], v[12:13], 0 op_sel_hi:[0,1,0]
	v_pk_fma_f32 v[2:3], v[2:3], v[16:17], v[4:5] op_sel_hi:[0,1,1]
	v_pk_fma_f32 v[2:3], v[14:15], v[8:9], v[2:3] op_sel_hi:[0,1,1]
	v_pk_fma_f32 v[2:3], v[6:7], v[10:11], v[2:3] op_sel_hi:[0,1,1]
	global_store_dwordx2 v1, v[2:3], s[2:3] offset:512
	v_add_u32_e32 v1, 2, v0
	v_lshlrev_b32_e32 v2, 2, v1
	v_and_b32_e32 v3, 15, v1
	v_and_or_b32 v2, v2, s5, v3
	v_mad_u32_u24 v14, v2, s4, 0
	v_add_u32_e32 v10, v14, v65
	ds_read2st64_b32 v[2:3], v10 offset1:1
	ds_read2st64_b32 v[4:5], v14 offset0:2 offset1:35
	ds_read2st64_b32 v[6:7], v10 offset0:33 offset1:34
	ds_read2st64_b32 v[8:9], v10 offset0:66 offset1:67
	ds_read2st64_b32 v[10:11], v10 offset0:99 offset1:100
	s_waitcnt lgkmcnt(4)
	v_cvt_f32_f16_e32 v12, v2
	v_cvt_f32_f16_sdwa v13, v2 dst_sel:DWORD dst_unused:UNUSED_PAD src0_sel:WORD_1
	ds_read2st64_b32 v[14:15], v14 offset0:68 offset1:101
	s_waitcnt lgkmcnt(3)
	v_cvt_f32_f16_e32 v16, v6
	v_cvt_f32_f16_sdwa v17, v6 dst_sel:DWORD dst_unused:UNUSED_PAD src0_sel:WORD_1
	s_waitcnt lgkmcnt(2)
	v_cvt_f32_f16_e32 v18, v8
	v_cvt_f32_f16_sdwa v19, v8 dst_sel:DWORD dst_unused:UNUSED_PAD src0_sel:WORD_1
	s_waitcnt lgkmcnt(1)
	v_cvt_f32_f16_e32 v20, v10
	v_cvt_f32_f16_sdwa v21, v10 dst_sel:DWORD dst_unused:UNUSED_PAD src0_sel:WORD_1
	v_pk_fma_f32 v[12:13], v[4:5], v[12:13], 0 op_sel_hi:[0,1,0]
	v_mov_b32_e32 v2, v5
	v_pk_fma_f32 v[12:13], v[2:3], v[16:17], v[12:13] op_sel_hi:[0,1,1]
	v_lshlrev_b32_e32 v1, 7, v1
	s_waitcnt lgkmcnt(0)
	v_pk_fma_f32 v[12:13], v[14:15], v[18:19], v[12:13] op_sel_hi:[0,1,1]
	v_mov_b32_e32 v6, v15
	v_add_lshl_u32 v1, v64, v1, 3
	v_pk_fma_f32 v[12:13], v[6:7], v[20:21], v[12:13] op_sel_hi:[0,1,1]
	global_store_dwordx2 v1, v[12:13], s[2:3]
	v_cvt_f32_f16_e32 v12, v3
	v_cvt_f32_f16_sdwa v13, v3 dst_sel:DWORD dst_unused:UNUSED_PAD src0_sel:WORD_1
	v_cvt_f32_f16_e32 v16, v7
	v_cvt_f32_f16_sdwa v17, v7 dst_sel:DWORD dst_unused:UNUSED_PAD src0_sel:WORD_1
	v_cvt_f32_f16_e32 v8, v9
	v_cvt_f32_f16_sdwa v9, v9 dst_sel:DWORD dst_unused:UNUSED_PAD src0_sel:WORD_1
	v_cvt_f32_f16_e32 v10, v11
	v_cvt_f32_f16_sdwa v11, v11 dst_sel:DWORD dst_unused:UNUSED_PAD src0_sel:WORD_1
	v_pk_fma_f32 v[4:5], v[4:5], v[12:13], 0 op_sel_hi:[0,1,0]
	v_pk_fma_f32 v[2:3], v[2:3], v[16:17], v[4:5] op_sel_hi:[0,1,1]
	v_pk_fma_f32 v[2:3], v[14:15], v[8:9], v[2:3] op_sel_hi:[0,1,1]
	v_pk_fma_f32 v[2:3], v[6:7], v[10:11], v[2:3] op_sel_hi:[0,1,1]
	global_store_dwordx2 v1, v[2:3], s[2:3] offset:512
	v_add_u32_e32 v1, 3, v0
	v_lshlrev_b32_e32 v2, 2, v1
	v_and_b32_e32 v3, 15, v1
	;; [unrolled: 47-line block ×13, first 2 shown]
	v_and_or_b32 v2, v2, s5, v3
	v_mad_u32_u24 v14, v2, s4, 0
	v_add_u32_e32 v10, v14, v65
	ds_read2st64_b32 v[2:3], v10 offset1:1
	ds_read2st64_b32 v[4:5], v14 offset0:2 offset1:35
	ds_read2st64_b32 v[6:7], v10 offset0:33 offset1:34
	;; [unrolled: 1-line block ×4, first 2 shown]
	s_waitcnt lgkmcnt(4)
	v_cvt_f32_f16_e32 v12, v2
	v_cvt_f32_f16_sdwa v13, v2 dst_sel:DWORD dst_unused:UNUSED_PAD src0_sel:WORD_1
	ds_read2st64_b32 v[14:15], v14 offset0:68 offset1:101
	s_waitcnt lgkmcnt(3)
	v_cvt_f32_f16_e32 v16, v6
	v_cvt_f32_f16_sdwa v17, v6 dst_sel:DWORD dst_unused:UNUSED_PAD src0_sel:WORD_1
	s_waitcnt lgkmcnt(2)
	v_cvt_f32_f16_e32 v18, v8
	v_cvt_f32_f16_sdwa v19, v8 dst_sel:DWORD dst_unused:UNUSED_PAD src0_sel:WORD_1
	s_waitcnt lgkmcnt(1)
	v_cvt_f32_f16_e32 v20, v10
	v_cvt_f32_f16_sdwa v21, v10 dst_sel:DWORD dst_unused:UNUSED_PAD src0_sel:WORD_1
	v_pk_fma_f32 v[12:13], v[4:5], v[12:13], 0 op_sel_hi:[0,1,0]
	v_mov_b32_e32 v2, v5
	v_pk_fma_f32 v[12:13], v[2:3], v[16:17], v[12:13] op_sel_hi:[0,1,1]
	v_lshlrev_b32_e32 v1, 7, v1
	s_waitcnt lgkmcnt(0)
	v_pk_fma_f32 v[12:13], v[14:15], v[18:19], v[12:13] op_sel_hi:[0,1,1]
	v_mov_b32_e32 v6, v15
	v_add_lshl_u32 v1, v64, v1, 3
	v_pk_fma_f32 v[12:13], v[6:7], v[20:21], v[12:13] op_sel_hi:[0,1,1]
	global_store_dwordx2 v1, v[12:13], s[2:3]
	v_cvt_f32_f16_e32 v12, v3
	v_cvt_f32_f16_sdwa v13, v3 dst_sel:DWORD dst_unused:UNUSED_PAD src0_sel:WORD_1
	v_cvt_f32_f16_e32 v16, v7
	v_cvt_f32_f16_sdwa v17, v7 dst_sel:DWORD dst_unused:UNUSED_PAD src0_sel:WORD_1
	;; [unrolled: 2-line block ×4, first 2 shown]
	v_pk_fma_f32 v[4:5], v[4:5], v[12:13], 0 op_sel_hi:[0,1,0]
	v_pk_fma_f32 v[2:3], v[2:3], v[16:17], v[4:5] op_sel_hi:[0,1,1]
	;; [unrolled: 1-line block ×4, first 2 shown]
	v_add_u32_e32 v12, 15, v0
	global_store_dwordx2 v1, v[2:3], s[2:3] offset:512
	v_lshlrev_b32_e32 v0, 2, v12
	v_and_b32_e32 v1, 15, v12
	v_and_or_b32 v0, v0, s5, v1
	v_mad_u32_u24 v13, v0, s4, 0
	v_add_u32_e32 v8, v13, v65
	ds_read2st64_b32 v[0:1], v8 offset1:1
	ds_read2st64_b32 v[2:3], v13 offset0:2 offset1:35
	ds_read2st64_b32 v[4:5], v8 offset0:33 offset1:34
	;; [unrolled: 1-line block ×4, first 2 shown]
	s_waitcnt lgkmcnt(4)
	v_cvt_f32_f16_e32 v10, v0
	v_cvt_f32_f16_sdwa v11, v0 dst_sel:DWORD dst_unused:UNUSED_PAD src0_sel:WORD_1
	v_lshlrev_b32_e32 v0, 7, v12
	ds_read2st64_b32 v[12:13], v13 offset0:68 offset1:101
	s_waitcnt lgkmcnt(3)
	v_cvt_f32_f16_e32 v14, v4
	v_cvt_f32_f16_sdwa v15, v4 dst_sel:DWORD dst_unused:UNUSED_PAD src0_sel:WORD_1
	s_waitcnt lgkmcnt(2)
	v_cvt_f32_f16_e32 v16, v6
	v_cvt_f32_f16_sdwa v17, v6 dst_sel:DWORD dst_unused:UNUSED_PAD src0_sel:WORD_1
	;; [unrolled: 3-line block ×3, first 2 shown]
	v_add_lshl_u32 v20, v64, v0, 3
	v_pk_fma_f32 v[10:11], v[2:3], v[10:11], 0 op_sel_hi:[0,1,0]
	v_mov_b32_e32 v0, v3
	v_pk_fma_f32 v[10:11], v[0:1], v[14:15], v[10:11] op_sel_hi:[0,1,1]
	s_waitcnt lgkmcnt(0)
	v_pk_fma_f32 v[10:11], v[12:13], v[16:17], v[10:11] op_sel_hi:[0,1,1]
	v_mov_b32_e32 v4, v13
	v_pk_fma_f32 v[10:11], v[4:5], v[18:19], v[10:11] op_sel_hi:[0,1,1]
	global_store_dwordx2 v20, v[10:11], s[2:3]
	v_cvt_f32_f16_e32 v10, v1
	v_cvt_f32_f16_sdwa v11, v1 dst_sel:DWORD dst_unused:UNUSED_PAD src0_sel:WORD_1
	v_cvt_f32_f16_e32 v14, v5
	v_cvt_f32_f16_sdwa v15, v5 dst_sel:DWORD dst_unused:UNUSED_PAD src0_sel:WORD_1
	;; [unrolled: 2-line block ×4, first 2 shown]
	v_pk_fma_f32 v[2:3], v[2:3], v[10:11], 0 op_sel_hi:[0,1,0]
	v_pk_fma_f32 v[0:1], v[0:1], v[14:15], v[2:3] op_sel_hi:[0,1,1]
	v_pk_fma_f32 v[0:1], v[12:13], v[6:7], v[0:1] op_sel_hi:[0,1,1]
	v_pk_fma_f32 v[0:1], v[4:5], v[8:9], v[0:1] op_sel_hi:[0,1,1]
	global_store_dwordx2 v20, v[0:1], s[2:3] offset:512
.LBB29_325:
	s_or_b64 exec, exec, s[0:1]
	s_barrier
	s_endpgm
	.section	.rodata,"a",@progbits
	.p2align	6, 0x0
	.amdhsa_kernel _ZL18flash_attn_ext_f16ILi256ELi256ELi16ELi1ELb0ELb0EEvPKcS1_S1_S1_S1_PKiPfP15HIP_vector_typeIfLj2EEffffjfiS5_IjLj3EEiiiiiiiiiiiliiliiiiil
		.amdhsa_group_segment_fixed_size 0
		.amdhsa_private_segment_fixed_size 32
		.amdhsa_kernarg_size 464
		.amdhsa_user_sgpr_count 2
		.amdhsa_user_sgpr_dispatch_ptr 0
		.amdhsa_user_sgpr_queue_ptr 0
		.amdhsa_user_sgpr_kernarg_segment_ptr 1
		.amdhsa_user_sgpr_dispatch_id 0
		.amdhsa_user_sgpr_kernarg_preload_length 0
		.amdhsa_user_sgpr_kernarg_preload_offset 0
		.amdhsa_user_sgpr_private_segment_size 0
		.amdhsa_uses_dynamic_stack 0
		.amdhsa_enable_private_segment 1
		.amdhsa_system_sgpr_workgroup_id_x 1
		.amdhsa_system_sgpr_workgroup_id_y 0
		.amdhsa_system_sgpr_workgroup_id_z 0
		.amdhsa_system_sgpr_workgroup_info 0
		.amdhsa_system_vgpr_workitem_id 1
		.amdhsa_next_free_vgpr 350
		.amdhsa_next_free_sgpr 100
		.amdhsa_accum_offset 256
		.amdhsa_reserve_vcc 1
		.amdhsa_float_round_mode_32 0
		.amdhsa_float_round_mode_16_64 0
		.amdhsa_float_denorm_mode_32 3
		.amdhsa_float_denorm_mode_16_64 3
		.amdhsa_dx10_clamp 1
		.amdhsa_ieee_mode 1
		.amdhsa_fp16_overflow 0
		.amdhsa_tg_split 0
		.amdhsa_exception_fp_ieee_invalid_op 0
		.amdhsa_exception_fp_denorm_src 0
		.amdhsa_exception_fp_ieee_div_zero 0
		.amdhsa_exception_fp_ieee_overflow 0
		.amdhsa_exception_fp_ieee_underflow 0
		.amdhsa_exception_fp_ieee_inexact 0
		.amdhsa_exception_int_div_zero 0
	.end_amdhsa_kernel
	.section	.text._ZL18flash_attn_ext_f16ILi256ELi256ELi16ELi1ELb0ELb0EEvPKcS1_S1_S1_S1_PKiPfP15HIP_vector_typeIfLj2EEffffjfiS5_IjLj3EEiiiiiiiiiiiliiliiiiil,"axG",@progbits,_ZL18flash_attn_ext_f16ILi256ELi256ELi16ELi1ELb0ELb0EEvPKcS1_S1_S1_S1_PKiPfP15HIP_vector_typeIfLj2EEffffjfiS5_IjLj3EEiiiiiiiiiiiliiliiiiil,comdat
.Lfunc_end29:
	.size	_ZL18flash_attn_ext_f16ILi256ELi256ELi16ELi1ELb0ELb0EEvPKcS1_S1_S1_S1_PKiPfP15HIP_vector_typeIfLj2EEffffjfiS5_IjLj3EEiiiiiiiiiiiliiliiiiil, .Lfunc_end29-_ZL18flash_attn_ext_f16ILi256ELi256ELi16ELi1ELb0ELb0EEvPKcS1_S1_S1_S1_PKiPfP15HIP_vector_typeIfLj2EEffffjfiS5_IjLj3EEiiiiiiiiiiiliiliiiiil
                                        ; -- End function
	.set _ZL18flash_attn_ext_f16ILi256ELi256ELi16ELi1ELb0ELb0EEvPKcS1_S1_S1_S1_PKiPfP15HIP_vector_typeIfLj2EEffffjfiS5_IjLj3EEiiiiiiiiiiiliiliiiiil.num_vgpr, 256
	.set _ZL18flash_attn_ext_f16ILi256ELi256ELi16ELi1ELb0ELb0EEvPKcS1_S1_S1_S1_PKiPfP15HIP_vector_typeIfLj2EEffffjfiS5_IjLj3EEiiiiiiiiiiiliiliiiiil.num_agpr, 94
	.set _ZL18flash_attn_ext_f16ILi256ELi256ELi16ELi1ELb0ELb0EEvPKcS1_S1_S1_S1_PKiPfP15HIP_vector_typeIfLj2EEffffjfiS5_IjLj3EEiiiiiiiiiiiliiliiiiil.numbered_sgpr, 100
	.set _ZL18flash_attn_ext_f16ILi256ELi256ELi16ELi1ELb0ELb0EEvPKcS1_S1_S1_S1_PKiPfP15HIP_vector_typeIfLj2EEffffjfiS5_IjLj3EEiiiiiiiiiiiliiliiiiil.num_named_barrier, 0
	.set _ZL18flash_attn_ext_f16ILi256ELi256ELi16ELi1ELb0ELb0EEvPKcS1_S1_S1_S1_PKiPfP15HIP_vector_typeIfLj2EEffffjfiS5_IjLj3EEiiiiiiiiiiiliiliiiiil.private_seg_size, 32
	.set _ZL18flash_attn_ext_f16ILi256ELi256ELi16ELi1ELb0ELb0EEvPKcS1_S1_S1_S1_PKiPfP15HIP_vector_typeIfLj2EEffffjfiS5_IjLj3EEiiiiiiiiiiiliiliiiiil.uses_vcc, 1
	.set _ZL18flash_attn_ext_f16ILi256ELi256ELi16ELi1ELb0ELb0EEvPKcS1_S1_S1_S1_PKiPfP15HIP_vector_typeIfLj2EEffffjfiS5_IjLj3EEiiiiiiiiiiiliiliiiiil.uses_flat_scratch, 0
	.set _ZL18flash_attn_ext_f16ILi256ELi256ELi16ELi1ELb0ELb0EEvPKcS1_S1_S1_S1_PKiPfP15HIP_vector_typeIfLj2EEffffjfiS5_IjLj3EEiiiiiiiiiiiliiliiiiil.has_dyn_sized_stack, 0
	.set _ZL18flash_attn_ext_f16ILi256ELi256ELi16ELi1ELb0ELb0EEvPKcS1_S1_S1_S1_PKiPfP15HIP_vector_typeIfLj2EEffffjfiS5_IjLj3EEiiiiiiiiiiiliiliiiiil.has_recursion, 0
	.set _ZL18flash_attn_ext_f16ILi256ELi256ELi16ELi1ELb0ELb0EEvPKcS1_S1_S1_S1_PKiPfP15HIP_vector_typeIfLj2EEffffjfiS5_IjLj3EEiiiiiiiiiiiliiliiiiil.has_indirect_call, 0
	.section	.AMDGPU.csdata,"",@progbits
; Kernel info:
; codeLenInByte = 71696
; TotalNumSgprs: 106
; NumVgprs: 256
; NumAgprs: 94
; TotalNumVgprs: 350
; ScratchSize: 32
; MemoryBound: 0
; FloatMode: 240
; IeeeMode: 1
; LDSByteSize: 0 bytes/workgroup (compile time only)
; SGPRBlocks: 13
; VGPRBlocks: 43
; NumSGPRsForWavesPerEU: 106
; NumVGPRsForWavesPerEU: 350
; AccumOffset: 256
; Occupancy: 1
; WaveLimiterHint : 1
; COMPUTE_PGM_RSRC2:SCRATCH_EN: 1
; COMPUTE_PGM_RSRC2:USER_SGPR: 2
; COMPUTE_PGM_RSRC2:TRAP_HANDLER: 0
; COMPUTE_PGM_RSRC2:TGID_X_EN: 1
; COMPUTE_PGM_RSRC2:TGID_Y_EN: 0
; COMPUTE_PGM_RSRC2:TGID_Z_EN: 0
; COMPUTE_PGM_RSRC2:TIDIG_COMP_CNT: 1
; COMPUTE_PGM_RSRC3_GFX90A:ACCUM_OFFSET: 63
; COMPUTE_PGM_RSRC3_GFX90A:TG_SPLIT: 0
	.section	.text._ZL18flash_attn_ext_f16ILi256ELi256ELi16ELi1ELb1ELb0EEvPKcS1_S1_S1_S1_PKiPfP15HIP_vector_typeIfLj2EEffffjfiS5_IjLj3EEiiiiiiiiiiiliiliiiiil,"axG",@progbits,_ZL18flash_attn_ext_f16ILi256ELi256ELi16ELi1ELb1ELb0EEvPKcS1_S1_S1_S1_PKiPfP15HIP_vector_typeIfLj2EEffffjfiS5_IjLj3EEiiiiiiiiiiiliiliiiiil,comdat
	.globl	_ZL18flash_attn_ext_f16ILi256ELi256ELi16ELi1ELb1ELb0EEvPKcS1_S1_S1_S1_PKiPfP15HIP_vector_typeIfLj2EEffffjfiS5_IjLj3EEiiiiiiiiiiiliiliiiiil ; -- Begin function _ZL18flash_attn_ext_f16ILi256ELi256ELi16ELi1ELb1ELb0EEvPKcS1_S1_S1_S1_PKiPfP15HIP_vector_typeIfLj2EEffffjfiS5_IjLj3EEiiiiiiiiiiiliiliiiiil
	.p2align	8
	.type	_ZL18flash_attn_ext_f16ILi256ELi256ELi16ELi1ELb1ELb0EEvPKcS1_S1_S1_S1_PKiPfP15HIP_vector_typeIfLj2EEffffjfiS5_IjLj3EEiiiiiiiiiiiliiliiiiil,@function
_ZL18flash_attn_ext_f16ILi256ELi256ELi16ELi1ELb1ELb0EEvPKcS1_S1_S1_S1_PKiPfP15HIP_vector_typeIfLj2EEffffjfiS5_IjLj3EEiiiiiiiiiiiliiliiiiil: ; @_ZL18flash_attn_ext_f16ILi256ELi256ELi16ELi1ELb1ELb0EEvPKcS1_S1_S1_S1_PKiPfP15HIP_vector_typeIfLj2EEffffjfiS5_IjLj3EEiiiiiiiiiiiliiliiiiil
; %bb.0:
	s_load_dwordx2 s[10:11], s[0:1], 0x80
	s_load_dwordx4 s[76:79], s[0:1], 0x64
	s_mov_b32 s49, s2
                                        ; implicit-def: $vgpr255 : SGPR spill to VGPR lane
	s_load_dword s54, s[0:1], 0xd0
	s_mov_b32 s4, 0
	s_waitcnt lgkmcnt(0)
	s_abs_i32 s2, s11
	v_cvt_f32_u32_e32 v1, s2
	s_sub_i32 s6, 0, s2
	s_abs_i32 s5, s77
	s_xor_b32 s3, s77, s11
	v_rcp_iflag_f32_e32 v1, v1
	s_ashr_i32 s3, s3, 31
	v_mov_b32_e32 v24, v0
	v_mul_f32_e32 v1, 0x4f7ffffe, v1
	v_cvt_u32_f32_e32 v1, v1
	s_nop 0
	v_readfirstlane_b32 s7, v1
	s_mul_i32 s6, s6, s7
	s_mul_hi_u32 s6, s7, s6
	s_add_i32 s7, s7, s6
	s_mul_hi_u32 s6, s5, s7
	s_mul_i32 s7, s6, s2
	s_sub_i32 s5, s5, s7
	s_add_i32 s8, s6, 1
	s_sub_i32 s7, s5, s2
	s_cmp_ge_u32 s5, s2
	s_cselect_b32 s6, s8, s6
	s_cselect_b32 s5, s7, s5
	s_add_i32 s7, s6, 1
	s_cmp_ge_u32 s5, s2
	s_cselect_b32 s2, s7, s6
	s_add_i32 s5, s10, 63
	s_xor_b32 s2, s2, s3
	s_ashr_i32 s6, s5, 31
	s_sub_i32 s3, s2, s3
	s_lshr_b32 s2, s6, 26
	s_add_i32 s5, s5, s2
	s_add_i32 s2, s76, 15
	s_lshr_b32 s2, s2, 4
	s_ashr_i32 s5, s5, 6
	v_writelane_b32 v255, s2, 0
	v_writelane_b32 v255, s5, 1
	s_mul_i32 s2, s2, s5
	v_writelane_b32 v255, s3, 2
	v_writelane_b32 v255, s2, 3
	s_mul_i32 s3, s2, s3
	s_mov_b32 s2, s10
	v_writelane_b32 v255, s2, 4
	s_nop 1
	v_writelane_b32 v255, s3, 5
	s_mul_i32 s2, s3, s11
	s_mul_i32 s10, s2, s78
	v_writelane_b32 v255, s3, 6
	s_ashr_i32 s8, s10, 31
	v_writelane_b32 v255, s2, 7
	s_mul_i32 s2, s8, s49
	s_mul_hi_u32 s3, s10, s49
	s_add_i32 s5, s3, s2
	s_cmp_lg_u64 s[4:5], 0
	s_mul_i32 s9, s10, s49
	s_cbranch_scc0 .LBB30_2
; %bb.1:
	s_add_u32 s2, s54, 0
	s_addc_u32 s3, 0, 0
	s_xor_b64 s[6:7], s[2:3], 0
	v_cvt_f32_u32_e32 v1, s6
	v_cvt_f32_u32_e32 v2, s7
	s_sub_u32 s4, 0, s6
	s_subb_u32 s11, 0, s7
	s_mov_b64 s[2:3], 0
	v_fmamk_f32 v1, v2, 0x4f800000, v1
	v_rcp_f32_e32 v1, v1
	s_nop 0
	v_mul_f32_e32 v1, 0x5f7ffffc, v1
	v_mul_f32_e32 v2, 0x2f800000, v1
	v_trunc_f32_e32 v2, v2
	v_fmamk_f32 v1, v2, 0xcf800000, v1
	v_cvt_u32_f32_e32 v2, v2
	v_cvt_u32_f32_e32 v1, v1
	v_readfirstlane_b32 s14, v2
	v_readfirstlane_b32 s12, v1
	s_mul_i32 s13, s4, s14
	s_mul_hi_u32 s16, s4, s12
	s_mul_i32 s15, s11, s12
	s_add_i32 s13, s16, s13
	s_add_i32 s13, s13, s15
	s_mul_i32 s17, s4, s12
	s_mul_i32 s16, s12, s13
	s_mul_hi_u32 s18, s12, s17
	s_mul_hi_u32 s15, s12, s13
	s_add_u32 s16, s18, s16
	s_addc_u32 s15, 0, s15
	s_mul_hi_u32 s19, s14, s17
	s_mul_i32 s17, s14, s17
	s_add_u32 s16, s16, s17
	s_mul_hi_u32 s18, s14, s13
	s_addc_u32 s15, s15, s19
	s_addc_u32 s16, s18, 0
	s_mul_i32 s13, s14, s13
	s_add_u32 s13, s15, s13
	s_addc_u32 s15, 0, s16
	s_add_u32 s16, s12, s13
	s_cselect_b64 s[12:13], -1, 0
	s_cmp_lg_u64 s[12:13], 0
	s_addc_u32 s14, s14, s15
	s_mul_i32 s12, s4, s14
	s_mul_hi_u32 s13, s4, s16
	s_add_i32 s12, s13, s12
	s_mul_i32 s11, s11, s16
	s_add_i32 s12, s12, s11
	s_mul_i32 s4, s4, s16
	s_mul_hi_u32 s13, s14, s4
	s_mul_i32 s15, s14, s4
	s_mul_i32 s18, s16, s12
	s_mul_hi_u32 s4, s16, s4
	s_mul_hi_u32 s17, s16, s12
	s_add_u32 s4, s4, s18
	s_addc_u32 s17, 0, s17
	s_add_u32 s4, s4, s15
	s_mul_hi_u32 s11, s14, s12
	s_addc_u32 s4, s17, s13
	s_addc_u32 s11, s11, 0
	s_mul_i32 s12, s14, s12
	s_add_u32 s4, s4, s12
	s_addc_u32 s11, 0, s11
	s_add_u32 s15, s16, s4
	s_cselect_b64 s[12:13], -1, 0
	s_cmp_lg_u64 s[12:13], 0
	s_addc_u32 s11, s14, s11
	s_ashr_i32 s12, s5, 31
	s_add_u32 s4, s9, s12
	s_mov_b32 s13, s12
	s_addc_u32 s5, s5, s12
	s_xor_b64 s[4:5], s[4:5], s[12:13]
	s_mul_i32 s16, s4, s11
	s_mul_hi_u32 s17, s4, s15
	s_mul_hi_u32 s14, s4, s11
	s_add_u32 s16, s17, s16
	s_addc_u32 s14, 0, s14
	s_mul_hi_u32 s18, s5, s15
	s_mul_i32 s15, s5, s15
	s_add_u32 s15, s16, s15
	s_mul_hi_u32 s17, s5, s11
	s_addc_u32 s14, s14, s18
	s_addc_u32 s15, s17, 0
	s_mul_i32 s11, s5, s11
	s_add_u32 s11, s14, s11
	s_addc_u32 s18, 0, s15
	s_mul_i32 s14, s6, s18
	s_mul_hi_u32 s15, s6, s11
	s_add_i32 s14, s15, s14
	s_mul_i32 s15, s7, s11
	s_add_i32 s19, s14, s15
	s_sub_i32 s16, s5, s19
	s_mul_i32 s14, s6, s11
	s_sub_u32 s4, s4, s14
	s_cselect_b64 s[14:15], -1, 0
	s_cmp_lg_u64 s[14:15], 0
	s_subb_u32 s20, s16, s7
	s_sub_u32 s21, s4, s6
	s_cselect_b64 s[16:17], -1, 0
	s_cmp_lg_u64 s[16:17], 0
	s_subb_u32 s16, s20, 0
	s_cmp_ge_u32 s16, s7
	s_cselect_b32 s17, -1, 0
	s_cmp_ge_u32 s21, s6
	s_cselect_b32 s20, -1, 0
	s_cmp_eq_u32 s16, s7
	s_cselect_b32 s16, s20, s17
	s_add_u32 s17, s11, 1
	s_addc_u32 s20, s18, 0
	s_add_u32 s21, s11, 2
	s_addc_u32 s22, s18, 0
	s_cmp_lg_u32 s16, 0
	s_cselect_b32 s16, s21, s17
	s_cselect_b32 s17, s22, s20
	s_cmp_lg_u64 s[14:15], 0
	s_subb_u32 s5, s5, s19
	s_cmp_ge_u32 s5, s7
	s_cselect_b32 s14, -1, 0
	s_cmp_ge_u32 s4, s6
	s_cselect_b32 s4, -1, 0
	s_cmp_eq_u32 s5, s7
	s_cselect_b32 s4, s4, s14
	s_cmp_lg_u32 s4, 0
	s_cselect_b32 s5, s17, s18
	s_cselect_b32 s4, s16, s11
	s_xor_b64 s[6:7], s[12:13], 0
	s_xor_b64 s[4:5], s[4:5], s[6:7]
	s_sub_u32 s4, s4, s6
	s_branch .LBB30_3
.LBB30_2:
	s_mov_b64 s[2:3], -1
                                        ; implicit-def: $sgpr4_sgpr5
.LBB30_3:
	s_load_dwordx2 s[6:7], s[0:1], 0x74
	v_cvt_f32_u32_e32 v1, s54
	s_andn2_b64 vcc, exec, s[2:3]
	s_waitcnt lgkmcnt(0)
	v_writelane_b32 v255, s6, 8
	s_nop 1
	v_writelane_b32 v255, s7, 9
	s_cbranch_vccnz .LBB30_5
; %bb.4:
	v_rcp_iflag_f32_e32 v2, v1
	s_sub_i32 s2, 0, s54
	v_mul_f32_e32 v2, 0x4f7ffffe, v2
	v_cvt_u32_f32_e32 v2, v2
	s_nop 0
	v_readfirstlane_b32 s3, v2
	s_mul_i32 s2, s2, s3
	s_mul_hi_u32 s2, s3, s2
	s_add_i32 s3, s3, s2
	s_mul_hi_u32 s2, s9, s3
	s_mul_i32 s4, s2, s54
	s_sub_i32 s4, s9, s4
	s_add_i32 s3, s2, 1
	s_sub_i32 s5, s4, s54
	s_cmp_ge_u32 s4, s54
	s_cselect_b32 s2, s3, s2
	s_cselect_b32 s4, s5, s4
	s_add_i32 s3, s2, 1
	s_cmp_ge_u32 s4, s54
	s_cselect_b32 s4, s3, s2
.LBB30_5:
	s_add_i32 s2, s49, 1
	s_mul_i32 s3, s8, s2
	s_mul_hi_u32 s5, s10, s2
	s_add_i32 s9, s5, s3
	s_mov_b32 s8, 0
	s_cmp_lg_u64 s[8:9], 0
	s_mul_i32 s5, s10, s2
	s_cbranch_scc0 .LBB30_389
; %bb.6:
	s_add_u32 s2, s54, 0
	s_addc_u32 s3, 0, 0
	s_xor_b64 s[6:7], s[2:3], 0
	v_cvt_f32_u32_e32 v2, s6
	v_cvt_f32_u32_e32 v3, s7
	s_sub_u32 s8, 0, s6
	s_subb_u32 s12, 0, s7
	v_fmamk_f32 v2, v3, 0x4f800000, v2
	v_rcp_f32_e32 v2, v2
	s_nop 0
	v_mul_f32_e32 v2, 0x5f7ffffc, v2
	v_mul_f32_e32 v3, 0x2f800000, v2
	v_trunc_f32_e32 v3, v3
	v_fmamk_f32 v2, v3, 0xcf800000, v2
	v_cvt_u32_f32_e32 v3, v3
	v_cvt_u32_f32_e32 v2, v2
	v_readfirstlane_b32 s13, v3
	v_readfirstlane_b32 s10, v2
	s_mul_i32 s11, s8, s13
	s_mul_hi_u32 s15, s8, s10
	s_mul_i32 s14, s12, s10
	s_add_i32 s11, s15, s11
	s_add_i32 s11, s11, s14
	s_mul_i32 s16, s8, s10
	s_mul_i32 s15, s10, s11
	s_mul_hi_u32 s17, s10, s16
	s_mul_hi_u32 s14, s10, s11
	s_add_u32 s15, s17, s15
	s_addc_u32 s14, 0, s14
	s_mul_hi_u32 s18, s13, s16
	s_mul_i32 s16, s13, s16
	s_add_u32 s15, s15, s16
	s_mul_hi_u32 s17, s13, s11
	s_addc_u32 s14, s14, s18
	s_addc_u32 s15, s17, 0
	s_mul_i32 s11, s13, s11
	s_add_u32 s11, s14, s11
	s_addc_u32 s14, 0, s15
	s_add_u32 s15, s10, s11
	s_cselect_b64 s[10:11], -1, 0
	s_cmp_lg_u64 s[10:11], 0
	s_addc_u32 s13, s13, s14
	s_mul_i32 s10, s8, s13
	s_mul_hi_u32 s11, s8, s15
	s_add_i32 s10, s11, s10
	s_mul_i32 s12, s12, s15
	s_add_i32 s10, s10, s12
	s_mul_i32 s8, s8, s15
	s_mul_hi_u32 s12, s13, s8
	s_mul_i32 s14, s13, s8
	s_mul_i32 s17, s15, s10
	s_mul_hi_u32 s8, s15, s8
	s_mul_hi_u32 s16, s15, s10
	s_add_u32 s8, s8, s17
	s_addc_u32 s16, 0, s16
	s_add_u32 s8, s8, s14
	s_mul_hi_u32 s11, s13, s10
	s_addc_u32 s8, s16, s12
	s_addc_u32 s11, s11, 0
	s_mul_i32 s10, s13, s10
	s_add_u32 s8, s8, s10
	s_addc_u32 s12, 0, s11
	s_add_u32 s14, s15, s8
	s_cselect_b64 s[10:11], -1, 0
	s_cmp_lg_u64 s[10:11], 0
	s_addc_u32 s12, s13, s12
	s_ashr_i32 s10, s9, 31
	s_add_u32 s8, s5, s10
	s_mov_b32 s11, s10
	s_addc_u32 s9, s9, s10
	s_xor_b64 s[8:9], s[8:9], s[10:11]
	s_mul_i32 s15, s8, s12
	s_mul_hi_u32 s16, s8, s14
	s_mul_hi_u32 s13, s8, s12
	s_add_u32 s15, s16, s15
	s_addc_u32 s13, 0, s13
	s_mul_hi_u32 s17, s9, s14
	s_mul_i32 s14, s9, s14
	s_add_u32 s14, s15, s14
	s_mul_hi_u32 s16, s9, s12
	s_addc_u32 s13, s13, s17
	s_addc_u32 s14, s16, 0
	s_mul_i32 s12, s9, s12
	s_add_u32 s16, s13, s12
	s_addc_u32 s17, 0, s14
	s_mul_i32 s12, s6, s17
	s_mul_hi_u32 s13, s6, s16
	s_add_i32 s12, s13, s12
	s_mul_i32 s13, s7, s16
	s_add_i32 s18, s12, s13
	s_sub_i32 s14, s9, s18
	s_mul_i32 s12, s6, s16
	s_sub_u32 s8, s8, s12
	s_cselect_b64 s[12:13], -1, 0
	s_cmp_lg_u64 s[12:13], 0
	s_subb_u32 s19, s14, s7
	s_sub_u32 s20, s8, s6
	s_cselect_b64 s[14:15], -1, 0
	s_cmp_lg_u64 s[14:15], 0
	s_subb_u32 s14, s19, 0
	s_cmp_ge_u32 s14, s7
	s_cselect_b32 s15, -1, 0
	s_cmp_ge_u32 s20, s6
	s_cselect_b32 s19, -1, 0
	s_cmp_eq_u32 s14, s7
	s_cselect_b32 s14, s19, s15
	s_add_u32 s15, s16, 1
	s_addc_u32 s19, s17, 0
	s_add_u32 s20, s16, 2
	s_addc_u32 s21, s17, 0
	s_cmp_lg_u32 s14, 0
	s_cselect_b32 s14, s20, s15
	s_cselect_b32 s15, s21, s19
	s_cmp_lg_u64 s[12:13], 0
	s_subb_u32 s9, s9, s18
	s_cmp_ge_u32 s9, s7
	s_cselect_b32 s12, -1, 0
	s_cmp_ge_u32 s8, s6
	s_cselect_b32 s6, -1, 0
	s_cmp_eq_u32 s9, s7
	s_cselect_b32 s6, s6, s12
	s_cmp_lg_u32 s6, 0
	s_cselect_b32 s7, s15, s17
	s_cselect_b32 s6, s14, s16
	s_xor_b64 s[8:9], s[10:11], 0
	s_xor_b64 s[6:7], s[6:7], s[8:9]
	s_sub_u32 s6, s6, s8
	s_subb_u32 s7, s7, s9
	s_load_dwordx2 s[94:95], s[0:1], 0x5c
	v_mov_b64_e32 v[42:43], s[6:7]
	s_cbranch_execnz .LBB30_8
.LBB30_7:
	v_rcp_iflag_f32_e32 v1, v1
	s_sub_i32 s2, 0, s54
	v_mul_f32_e32 v1, 0x4f7ffffe, v1
	v_cvt_u32_f32_e32 v1, v1
	v_mul_lo_u32 v2, s2, v1
	v_mul_hi_u32 v2, v1, v2
	v_add_u32_e32 v1, v1, v2
	v_mul_hi_u32 v1, s5, v1
	v_mul_lo_u32 v3, v1, s54
	v_sub_u32_e32 v3, s5, v3
	v_add_u32_e32 v2, 1, v1
	v_subrev_u32_e32 v4, s54, v3
	v_cmp_le_u32_e32 vcc, s54, v3
	s_nop 1
	v_cndmask_b32_e32 v3, v3, v4, vcc
	v_cndmask_b32_e32 v1, v1, v2, vcc
	v_add_u32_e32 v2, 1, v1
	v_cmp_le_u32_e32 vcc, s54, v3
	s_nop 1
	v_cndmask_b32_e32 v42, v1, v2, vcc
.LBB30_8:
	s_load_dwordx16 s[60:75], s[0:1], 0x0
	s_load_dwordx4 s[12:15], s[0:1], 0x40
	s_load_dwordx2 s[88:89], s[0:1], 0x50
	s_load_dwordx2 s[2:3], s[0:1], 0x8c
	s_load_dwordx4 s[80:83], s[0:1], 0x98
	s_load_dwordx2 s[6:7], s[0:1], 0xa8
	s_load_dwordx2 s[10:11], s[0:1], 0xb8
	s_nop 0
	s_load_dwordx2 s[0:1], s[0:1], 0xc8
	s_ashr_i32 s97, s79, 3
	s_waitcnt lgkmcnt(0)
	s_ashr_i32 s92, s2, 2
	s_ashr_i32 s78, s82, 2
	v_writelane_b32 v255, s6, 10
	s_ashr_i32 s56, s11, 1
	v_cvt_f16_f32_e32 v25, s12
	v_writelane_b32 v255, s7, 11
	v_writelane_b32 v255, s0, 12
	v_cmp_ge_i32_e32 vcc, s4, v42
	v_bfe_u32 v174, v24, 10, 10
	v_writelane_b32 v255, s1, 13
	s_mov_b32 s1, s3
	v_readlane_b32 s5, v255, 1
	s_abs_i32 s33, s5
	v_cvt_f32_u32_e32 v1, s33
	s_sub_i32 s2, 0, s33
	v_writelane_b32 v255, s0, 14
	s_mov_b32 s87, 0
	v_rcp_iflag_f32_e32 v1, v1
	v_writelane_b32 v255, s1, 15
	s_ashr_i32 s1, s5, 31
	v_writelane_b32 v255, s1, 16
	v_mul_f32_e32 v1, 0x4f7ffffe, v1
	v_cvt_u32_f32_e32 v1, v1
	s_abs_i32 s1, s4
	s_ashr_i32 s0, s4, 31
	v_cmp_lt_i32_e64 s[34:35], s4, v42
	v_readfirstlane_b32 s3, v1
	s_mul_i32 s2, s2, s3
	s_mul_hi_u32 s2, s3, s2
	s_add_i32 s85, s3, s2
	s_mul_hi_u32 s2, s1, s85
	s_mul_i32 s2, s2, s33
	s_sub_i32 s1, s1, s2
	s_sub_i32 s2, s1, s33
	s_cmp_ge_u32 s1, s33
	s_cselect_b32 s1, s2, s1
	s_sub_i32 s2, s1, s33
	s_cmp_ge_u32 s1, s33
	s_cselect_b32 s1, s2, s1
	s_xor_b32 s1, s1, s0
	s_sub_i32 s40, s1, s0
	v_subrev_u32_e32 v1, s4, v42
	v_add_u32_e32 v1, s40, v1
	v_cmp_gt_i32_e64 s[0:1], s5, v1
	s_or_b64 s[0:1], s[0:1], vcc
	v_min_i32_e32 v154, s5, v1
	s_and_b64 vcc, exec, s[0:1]
	v_lshlrev_b32_e32 v194, 2, v174
	v_add_u32_e32 v177, 4, v174
	v_add_u32_e32 v49, 8, v174
	;; [unrolled: 1-line block ×3, first 2 shown]
	v_lshlrev_b32_e32 v193, 4, v174
	s_cbranch_vccz .LBB30_11
; %bb.9:
	s_andn2_b64 vcc, exec, s[34:35]
	s_cbranch_vccz .LBB30_340
.LBB30_10:
	s_endpgm
.LBB30_11:
	s_cmp_lg_u64 s[66:67], 0
	v_writelane_b32 v255, s54, 17
	s_cselect_b64 s[0:1], -1, 0
	v_writelane_b32 v255, s0, 18
	s_cmp_eq_u64 s[68:69], 0
	v_and_b32_e32 v44, 0x3ff, v24
	v_writelane_b32 v255, s1, 19
	s_mul_i32 s0, s76, s77
	v_writelane_b32 v255, s0, 20
	s_cselect_b64 s[0:1], -1, 0
	v_lshlrev_b32_e32 v1, 2, v44
	v_bfe_u32 v8, v24, 5, 5
	v_writelane_b32 v255, s0, 21
	v_lshl_add_u32 v180, v174, 1, v8
	v_and_b32_e32 v48, 0x7c, v1
	v_writelane_b32 v255, s1, 22
	s_mov_b64 s[2:3], s[14:15]
	s_mov_b32 s1, s13
	v_and_b32_e32 v2, 0x3f0, v194
	s_movk_i32 s20, 0x210
	v_and_b32_e32 v4, 15, v24
	v_lshrrev_b32_e32 v6, 1, v24
	v_mul_u32_u24_e32 v8, 0x210, v180
	v_lshlrev_b32_e32 v9, 2, v48
	v_writelane_b32 v255, s0, 23
	v_mad_u32_u24 v3, v2, s20, 0
	v_mul_u32_u24_e32 v5, 0x210, v4
	v_and_b32_e32 v6, 0x78, v6
	v_add3_u32 v181, 0, v8, v9
	v_bfe_u32 v9, v24, 2, 8
	v_writelane_b32 v255, s1, 24
	v_add3_u32 v179, v3, v5, v6
	v_and_b32_e32 v5, 48, v193
	v_and_b32_e32 v10, 60, v9
	v_writelane_b32 v255, s2, 25
	v_mad_u32_u24 v7, v5, s20, 0
	v_add_u32_e32 v183, v10, v5
	v_add_u16_e32 v5, v10, v5
	v_writelane_b32 v255, s3, 26
	v_cmp_nle_f32_e64 s[0:1], s13, 0
	v_or_b32_e32 v2, v2, v4
	v_lshrrev_b16_e32 v5, 1, v5
	v_writelane_b32 v255, s0, 27
	s_cmp_lg_u64 s[70:71], 0
	v_mul_u32_u24_e32 v2, 0x90, v2
	v_lshlrev_b32_e32 v5, 2, v5
	v_writelane_b32 v255, s1, 28
	s_cselect_b64 s[0:1], -1, 0
	v_add3_u32 v184, 0, v2, v5
	v_mul_u32_u24_e32 v2, 0x210, v10
	v_lshlrev_b32_e32 v5, 1, v4
	v_writelane_b32 v255, s0, 29
	v_add3_u32 v186, v7, v2, v5
	v_bfe_u32 v2, v24, 10, 2
	v_writelane_b32 v255, s1, 30
	v_cmp_eq_u32_e64 s[6:7], 0, v2
	v_mad_u32_u24 v8, v4, s20, v7
	s_movk_i32 s5, 0xfdf2
	v_writelane_b32 v255, s6, 31
	v_mad_i32_i24 v185, v4, s5, v8
	s_movk_i32 s5, 0xc0
	v_writelane_b32 v255, s7, 32
	v_cmp_ne_u32_e64 s[6:7], 0, v2
	v_or_b32_e32 v2, v194, v44
	v_lshlrev_b32_e32 v46, 3, v2
	v_or_b32_e32 v2, v193, v4
	v_mul_u32_u24_e32 v2, 0x210, v2
	v_add3_u32 v187, 0, v2, v6
	v_lshrrev_b32_e32 v2, 10, v24
	v_bfe_u32 v188, v2, 2, 8
	v_bfe_u32 v4, v174, 2, 4
	v_add_u32_e32 v0, 1, v188
	v_and_or_b32 v2, v2, s5, v4
	v_lshlrev_b32_e32 v4, 2, v0
	v_accvgpr_write_b32 a12, v0
	v_and_b32_e32 v5, 15, v0
	s_movk_i32 s5, 0x1c0
	v_add_u32_e32 v0, 2, v188
	v_add_u32_e32 v182, v8, v6
	v_and_or_b32 v4, v4, s5, v5
	v_lshlrev_b32_e32 v5, 2, v0
	v_accvgpr_write_b32 a13, v0
	v_and_b32_e32 v6, 15, v0
	v_add_u32_e32 v0, 3, v188
	v_and_or_b32 v5, v5, s5, v6
	v_lshlrev_b32_e32 v6, 2, v0
	v_accvgpr_write_b32 a14, v0
	v_and_b32_e32 v7, 15, v0
	;; [unrolled: 5-line block ×12, first 2 shown]
	v_add_u32_e32 v0, 14, v188
	v_lshlrev_b32_e32 v19, 2, v0
	v_accvgpr_write_b32 a25, v0
	v_and_b32_e32 v20, 15, v0
	v_add_u32_e32 v0, 15, v188
	v_mul_u32_u24_e32 v3, 0x90, v174
	v_and_or_b32 v19, v19, s5, v20
	v_lshlrev_b32_e32 v20, 2, v0
	v_accvgpr_write_b32 a26, v0
	v_and_b32_e32 v21, 15, v0
	v_lshlrev_b32_e32 v0, 1, v44
	v_add3_u32 v207, 0, v3, v0
	v_or_b32_e32 v3, 3, v9
	v_mul_u32_u24_e32 v208, 0x210, v3
	v_add_u32_e32 v3, v193, v44
	v_mul_u32_u24_e32 v209, 0x210, v3
	v_mad_u32_u24 v210, v2, s20, 0
	v_mad_u32_u24 v2, v4, s20, 0
	;; [unrolled: 1-line block ×4, first 2 shown]
	v_accvgpr_write_b32 a27, v2
	v_add_u32_e32 v228, v2, v1
	v_add_u32_e32 v2, v3, v1
	v_mad_u32_u24 v5, v7, s20, 0
	v_accvgpr_write_b32 a44, v2
	v_add_u32_e32 v2, v4, v1
	v_mad_u32_u24 v6, v8, s20, 0
	v_accvgpr_write_b32 a45, v2
	;; [unrolled: 3-line block ×8, first 2 shown]
	v_add_u32_e32 v2, v11, v1
	v_and_or_b32 v17, v17, s5, v18
	v_mad_u32_u24 v13, v16, s20, 0
	v_accvgpr_write_b32 a52, v2
	v_add_u32_e32 v2, v12, v1
	v_writelane_b32 v255, s6, 33
	v_and_or_b32 v20, v20, s5, v21
	v_mad_u32_u24 v14, v17, s20, 0
	v_accvgpr_write_b32 a53, v2
	v_add_u32_e32 v2, v13, v1
	v_writelane_b32 v255, s7, 34
	s_lshl_b32 s86, s49, 4
	v_mad_u32_u24 v15, v19, s20, 0
	v_mad_u32_u24 v16, v20, s20, 0
	v_accvgpr_write_b32 a54, v2
	v_add_u32_e32 v2, v14, v1
	s_ashr_i32 s57, s56, 31
	v_mov_b32_e32 v47, 0
	s_ashr_i32 s93, s92, 31
	s_ashr_i32 s79, s78, 31
	s_lshl_b32 s2, s92, 3
	s_lshl_b32 s3, s78, 3
	v_writelane_b32 v255, s49, 35
	s_lshl_b64 s[6:7], s[86:87], 3
	v_add_u32_e32 v226, 0, v1
	v_add_u32_e32 v227, v210, v1
	v_accvgpr_write_b32 a55, v2
	v_add_u32_e32 v2, v15, v1
	v_add_u32_e32 v1, v16, v1
	s_add_u32 s18, s74, s6
	v_readlane_b32 s24, v255, 7
	v_accvgpr_write_b32 a57, v1
	v_mov_b32_e32 v1, v47
	s_addc_u32 s19, s75, s7
	s_abs_i32 s6, s24
	v_accvgpr_write_b32 a29, v1
	v_cvt_f32_u32_e32 v18, s6
	v_accvgpr_write_b32 a28, v0
	v_and_b32_e32 v1, 31, v24
	v_lshlrev_b32_e32 v84, 4, v1
                                        ; implicit-def: $vgpr1
	v_rcp_iflag_f32_e32 v18, v18
	v_lshl_add_u64 v[0:1], s[18:19], 0, v[46:47]
	v_accvgpr_write_b32 a59, v1
	v_accvgpr_write_b32 a58, v0
	v_add_u32_e32 v0, 8, v180
	v_readlane_b32 s23, v255, 6
	v_accvgpr_write_b32 a60, v0
	v_add_u32_e32 v0, 16, v180
	v_mad_u32_u24 v234, v174, s20, v226
	s_abs_i32 s7, s23
	v_accvgpr_write_b32 a61, v0
	v_add_u32_e32 v0, 0x840, v234
	v_cvt_f32_u32_e32 v22, s7
	v_mul_lo_u32 v68, s78, v180
                                        ; implicit-def: $vgpr1
                                        ; implicit-def: $vgpr1
	;; [unrolled: 1-line block ×3, first 2 shown]
	v_accvgpr_write_b32 a62, v0
	v_add_u32_e32 v0, 0x1080, v234
	v_mul_f32_e32 v18, 0x4f7ffffe, v18
	v_ashrrev_i32_e32 v69, 31, v68
	v_mbcnt_lo_u32_b32 v1, -1, 0
	v_accvgpr_write_b32 a63, v0
	v_add_u32_e32 v0, 0x18c0, v234
	v_cvt_u32_f32_e32 v18, v18
	v_add_u32_e32 v70, s3, v68
	v_mbcnt_hi_u32_b32 v243, -1, v1
	v_accvgpr_write_b32 a64, v0
	v_lshl_add_u64 v[0:1], v[68:69], 2, s[64:65]
	v_ashrrev_i32_e32 v71, 31, v70
	v_accvgpr_write_b32 a67, v1
	v_rcp_iflag_f32_e32 v21, v22
	v_add_u32_e32 v72, s3, v70
	v_accvgpr_write_b32 a66, v0
	v_lshl_add_u64 v[0:1], v[70:71], 2, s[64:65]
	s_sub_i32 s5, 0, s6
	v_ashrrev_i32_e32 v73, 31, v72
	v_accvgpr_write_b32 a69, v1
	v_mul_lo_u32 v22, s5, v18
	v_add_u32_e32 v74, s3, v72
	v_accvgpr_write_b32 a68, v0
	v_lshl_add_u64 v[0:1], v[72:73], 2, s[64:65]
	v_writelane_b32 v255, s6, 36
	v_mul_hi_u32 v22, v18, v22
	v_ashrrev_i32_e32 v75, 31, v74
	v_accvgpr_write_b32 a71, v1
	v_add_u32_e32 v204, v18, v22
	v_mul_f32_e32 v18, 0x4f7ffffe, v21
	v_writelane_b32 v255, s7, 37
	v_add_u32_e32 v76, s3, v74
	v_accvgpr_write_b32 a70, v0
	v_lshl_add_u64 v[0:1], v[74:75], 2, s[64:65]
	s_mov_b64 s[90:91], src_private_base
	v_cvt_u32_f32_e32 v18, v18
	v_readlane_b32 s22, v255, 3
	v_ashrrev_i32_e32 v77, 31, v76
	v_accvgpr_write_b32 a73, v1
	s_abs_i32 s90, s22
	s_abs_i32 s25, s10
	v_add_u32_e32 v78, s3, v76
	v_accvgpr_write_b32 a72, v0
	v_lshl_add_u64 v[0:1], v[76:77], 2, s[64:65]
	v_cvt_f32_u32_e32 v21, s90
	v_cvt_f32_u32_e32 v23, s25
	v_ashrrev_i32_e32 v79, 31, v78
	v_accvgpr_write_b32 a75, v1
	s_sub_i32 s5, 0, s7
	v_add_u32_e32 v80, s3, v78
	v_accvgpr_write_b32 a74, v0
	v_lshl_add_u64 v[0:1], v[78:79], 2, s[64:65]
	v_mul_lo_u32 v22, s5, v18
	v_mul_lo_u32 v52, s92, v180
	v_ashrrev_i32_e32 v81, 31, v80
	v_accvgpr_write_b32 a77, v1
	v_mul_hi_u32 v22, v18, v22
	v_add_u32_e32 v54, s2, v52
	v_add_u32_e32 v82, s3, v80
	v_accvgpr_write_b32 a76, v0
	v_lshl_add_u64 v[0:1], v[80:81], 2, s[64:65]
	v_rcp_iflag_f32_e32 v21, v21
	v_add_u32_e32 v205, v18, v22
	v_rcp_iflag_f32_e32 v18, v23
	v_add_u32_e32 v56, s2, v54
	v_ashrrev_i32_e32 v83, 31, v82
	v_accvgpr_write_b32 a79, v1
	v_add_u32_e32 v58, s2, v56
	v_accvgpr_write_b32 a78, v0
	v_lshl_add_u64 v[0:1], v[82:83], 2, s[64:65]
	v_ashrrev_i32_e32 v53, 31, v52
	v_add_u32_e32 v60, s2, v58
	v_accvgpr_write_b32 a81, v1
	s_mov_b32 s6, s10
	v_add_u32_e32 v62, s2, v60
	v_accvgpr_write_b32 a80, v0
	v_lshl_add_u64 v[0:1], v[52:53], 2, s[62:63]
	v_writelane_b32 v255, s6, 38
	v_mul_f32_e32 v21, 0x4f7ffffe, v21
	v_mul_f32_e32 v18, 0x4f7ffffe, v18
	v_ashrrev_i32_e32 v55, 31, v54
	v_add_u32_e32 v64, s2, v62
	v_accvgpr_write_b32 a83, v1
	v_writelane_b32 v255, s7, 39
	v_cvt_u32_f32_e32 v21, v21
	v_cvt_u32_f32_e32 v18, v18
	v_add_u32_e32 v66, s2, v64
	s_lshl_b32 s2, s77, 7
	v_accvgpr_write_b32 a82, v0
	v_lshl_add_u64 v[0:1], v[54:55], 2, s[62:63]
	v_ashrrev_i32_e32 v57, 31, v56
	v_writelane_b32 v255, s2, 40
	s_ashr_i32 s2, s24, 31
	v_accvgpr_write_b32 a85, v1
	v_writelane_b32 v255, s2, 41
	s_ashr_i32 s2, s23, 31
	v_accvgpr_write_b32 a84, v0
	v_lshl_add_u64 v[0:1], v[56:57], 2, s[62:63]
	s_sub_i32 s5, 0, s90
	v_ashrrev_i32_e32 v59, 31, v58
	v_writelane_b32 v255, s2, 42
	s_ashr_i32 s2, s22, 31
	v_accvgpr_write_b32 a87, v1
	v_mul_lo_u32 v22, s5, v21
	v_readfirstlane_b32 s5, v18
	v_writelane_b32 v255, s2, 43
	s_sub_i32 s2, 0, s25
	v_accvgpr_write_b32 a86, v0
	v_lshl_add_u64 v[0:1], v[58:59], 2, s[62:63]
	v_ashrrev_i32_e32 v61, 31, v60
	s_mul_i32 s2, s2, s5
	v_accvgpr_write_b32 a89, v1
	s_mul_hi_u32 s2, s5, s2
	v_accvgpr_write_b32 a88, v0
	v_lshl_add_u64 v[0:1], v[60:61], 2, s[62:63]
	v_ashrrev_i32_e32 v63, 31, v62
	v_writelane_b32 v255, s25, 44
	s_add_i32 s2, s5, s2
	v_accvgpr_write_b32 a91, v1
	v_writelane_b32 v255, s2, 45
	v_accvgpr_write_b32 a90, v0
	v_lshl_add_u64 v[0:1], v[62:63], 2, s[62:63]
	v_cmp_gt_u32_e64 s[30:31], 16, v44
	v_ashrrev_i32_e32 v65, 31, v64
	v_accvgpr_write_b32 a93, v1
	v_writelane_b32 v255, s30, 46
	v_accvgpr_write_b32 a92, v0
	v_lshl_add_u64 v[0:1], v[64:65], 2, s[62:63]
	v_writelane_b32 v255, s31, 47
	s_mov_b32 s30, s56
	v_ashrrev_i32_e32 v67, 31, v66
	v_accvgpr_write_b32 a95, v1
	v_writelane_b32 v255, s30, 48
	v_accvgpr_write_b32 a94, v0
	v_lshl_add_u64 v[0:1], v[66:67], 2, s[62:63]
	v_writelane_b32 v255, s31, 49
	s_lshl_b64 s[30:31], s[56:57], 1
	s_mov_b32 s21, 0x10001
	v_mul_hi_u32 v22, v21, v22
	v_accvgpr_write_b32 a97, v1
	v_writelane_b32 v255, s30, 50
	v_cmp_gt_u32_e64 s[0:1], 64, v44
	v_mov_b32_e32 v45, v47
	v_accvgpr_write_b32 a9, v194
	v_add_u32_e32 v206, v21, v22
	v_cmp_gt_u32_e64 s[6:7], 64, v180
	v_cmp_gt_u32_e64 s[8:9], 56, v180
	;; [unrolled: 1-line block ×6, first 2 shown]
	v_accvgpr_write_b32 a8, v193
	v_accvgpr_write_b32 a30, v3
	;; [unrolled: 1-line block ×17, first 2 shown]
	v_mov_b32_e32 v85, v47
	s_mov_b32 s77, 0x42b17218
	s_mov_b32 s5, 0x3fb8aa3b
	;; [unrolled: 1-line block ×3, first 2 shown]
	s_brev_b32 s96, -2
	s_mov_b32 s2, 0x3f200000
	v_accvgpr_write_b32 a4, v47
	v_accvgpr_write_b32 a5, v47
	;; [unrolled: 1-line block ×4, first 2 shown]
	s_mov_b32 s3, 0xc1a00000
	v_accvgpr_write_b32 a11, v25
	v_mul_lo_u32 v244, v25, s21
	v_add_u32_e32 v245, 0x240, v207
	v_add_u32_e32 v246, 0x480, v207
	;; [unrolled: 1-line block ×15, first 2 shown]
	v_mul_u32_u24_e32 v235, 0x210, v174
	s_mov_b32 s86, 0x5040100
	v_or_b32_e32 v200, 1, v183
	v_or_b32_e32 v199, 2, v183
	;; [unrolled: 1-line block ×3, first 2 shown]
	v_mov_b32_e32 v197, 0x3ca908c9
	v_mov_b32_e32 v196, 0x7f800000
	v_mov_b32_e32 v233, 0
	v_accvgpr_write_b32 a96, v0
	v_cmp_gt_u32_e64 s[18:19], 16, v180
	v_cmp_gt_u32_e64 s[20:21], 8, v180
	;; [unrolled: 1-line block ×6, first 2 shown]
	v_writelane_b32 v255, s31, 51
	s_lshl_b64 s[30:31], s[78:79], 8
	s_lshl_b64 s[98:99], s[92:93], 8
	s_mov_b64 s[52:53], 0x80
	s_branch .LBB30_14
.LBB30_12:                              ;   in Loop: Header=BB30_14 Depth=1
	s_or_b64 exec, exec, s[34:35]
	s_barrier
.LBB30_13:                              ;   in Loop: Header=BB30_14 Depth=1
	v_readlane_b32 s37, v255, 1
	s_add_i32 s4, s4, s37
	s_abs_i32 s35, s4
	s_mul_hi_u32 s36, s35, s85
	s_mul_i32 s36, s36, s33
	s_sub_i32 s35, s35, s36
	s_ashr_i32 s34, s4, 31
	s_sub_i32 s36, s35, s33
	s_cmp_ge_u32 s35, s33
	s_cselect_b32 s35, s36, s35
	s_sub_i32 s36, s35, s33
	s_cmp_ge_u32 s35, s33
	s_cselect_b32 s35, s36, s35
	s_xor_b32 s35, s35, s34
	s_sub_i32 s34, s34, s35
	s_add_i32 s4, s4, s34
	v_subrev_u32_e32 v0, s4, v42
	v_cmp_lt_i32_e64 s[34:35], s4, v42
	v_cmp_le_i32_e32 vcc, s37, v0
	v_min_i32_e32 v154, s37, v0
	s_and_b64 s[36:37], vcc, s[34:35]
	s_mov_b32 s40, 0
	s_and_b64 vcc, exec, s[36:37]
	s_cbranch_vccz .LBB30_339
.LBB30_14:                              ; =>This Loop Header: Depth=1
                                        ;     Child Loop BB30_202 Depth 2
                                        ;     Child Loop BB30_43 Depth 2
	s_ashr_i32 s34, s4, 31
	v_readlane_b32 s35, v255, 41
	s_xor_b32 s34, s34, s35
	s_abs_i32 s35, s4
	v_mul_hi_u32 v1, s35, v204
	v_readlane_b32 s36, v255, 36
	v_add_u32_e32 v3, 1, v1
	s_nop 0
	v_mul_lo_u32 v2, v1, s36
	v_sub_u32_e32 v2, s35, v2
	v_subrev_u32_e32 v4, s36, v2
	v_cmp_le_u32_e32 vcc, s36, v2
	s_nop 1
	v_cndmask_b32_e32 v1, v1, v3, vcc
	v_cndmask_b32_e32 v2, v2, v4, vcc
	v_add_u32_e32 v3, 1, v1
	v_cmp_le_u32_e32 vcc, s36, v2
	s_nop 1
	v_cndmask_b32_e32 v1, v1, v3, vcc
	v_xor_b32_e32 v1, s34, v1
	v_subrev_u32_e32 v1, s34, v1
	v_readlane_b32 s34, v255, 18
	v_readlane_b32 s35, v255, 19
	s_andn2_b64 vcc, exec, s[34:35]
	v_ashrrev_i32_e32 v4, 31, v1
	s_cbranch_vccnz .LBB30_16
; %bb.15:                               ;   in Loop: Header=BB30_14 Depth=1
	v_sub_u32_e32 v2, 0, v1
	v_max_i32_e32 v2, v1, v2
	v_readlane_b32 s34, v255, 45
	s_nop 1
	v_mul_hi_u32 v3, v2, s34
	v_readlane_b32 s34, v255, 44
	s_nop 1
	v_mul_lo_u32 v3, v3, s34
	v_sub_u32_e32 v2, v2, v3
	v_subrev_u32_e32 v3, s34, v2
	v_cmp_le_u32_e32 vcc, s34, v2
	s_nop 1
	v_cndmask_b32_e32 v2, v2, v3, vcc
	v_subrev_u32_e32 v3, s34, v2
	v_cmp_le_u32_e32 vcc, s34, v2
	v_readlane_b32 s34, v255, 12
	v_readlane_b32 s35, v255, 13
	v_cndmask_b32_e32 v2, v2, v3, vcc
	v_xor_b32_e32 v2, v2, v4
	v_sub_u32_e32 v2, v2, v4
	v_ashrrev_i32_e32 v3, 31, v2
	v_mul_lo_u32 v3, s34, v3
	v_mul_hi_u32 v5, s34, v2
	v_add_u32_e32 v3, v5, v3
	v_mul_lo_u32 v5, s35, v2
	v_add_u32_e32 v3, v3, v5
	v_mul_lo_u32 v2, s34, v2
	v_lshl_add_u64 v[128:129], s[66:67], 0, v[2:3]
	s_branch .LBB30_17
.LBB30_16:                              ;   in Loop: Header=BB30_14 Depth=1
	v_mov_b64_e32 v[128:129], 0
.LBB30_17:                              ;   in Loop: Header=BB30_14 Depth=1
	v_readlane_b32 s34, v255, 7
	v_mov_b32_e32 v126, 1.0
	s_nop 0
	v_mul_lo_u32 v2, v1, s34
	v_sub_u32_e32 v2, s4, v2
	v_sub_u32_e32 v5, 0, v2
	v_ashrrev_i32_e32 v3, 31, v2
	v_readlane_b32 s34, v255, 42
	v_max_i32_e32 v5, v2, v5
	v_mul_hi_u32 v6, v5, v205
	v_xor_b32_e32 v3, s34, v3
	v_readlane_b32 s34, v255, 37
	s_nop 1
	v_mul_lo_u32 v7, v6, s34
	v_sub_u32_e32 v5, v5, v7
	v_add_u32_e32 v7, 1, v6
	v_subrev_u32_e32 v8, s34, v5
	v_cmp_le_u32_e32 vcc, s34, v5
	s_nop 1
	v_cndmask_b32_e32 v6, v6, v7, vcc
	v_cndmask_b32_e32 v5, v5, v8, vcc
	v_add_u32_e32 v7, 1, v6
	v_cmp_le_u32_e32 vcc, s34, v5
	v_readlane_b32 s34, v255, 6
	s_nop 0
	v_cndmask_b32_e32 v5, v6, v7, vcc
	v_xor_b32_e32 v5, v5, v3
	v_sub_u32_e32 v5, v5, v3
	v_mul_lo_u32 v3, v5, s34
	v_sub_u32_e32 v3, v2, v3
	v_sub_u32_e32 v6, 0, v3
	v_max_i32_e32 v6, v3, v6
	v_mul_hi_u32 v7, v6, v206
	v_mul_lo_u32 v8, v7, s90
	v_sub_u32_e32 v6, v6, v8
	v_add_u32_e32 v8, 1, v7
	v_subrev_u32_e32 v9, s90, v6
	v_cmp_le_u32_e32 vcc, s90, v6
	v_ashrrev_i32_e32 v2, 31, v3
	v_readlane_b32 s34, v255, 43
	v_cndmask_b32_e32 v7, v7, v8, vcc
	v_cndmask_b32_e32 v6, v6, v9, vcc
	v_add_u32_e32 v8, 1, v7
	v_cmp_le_u32_e32 vcc, s90, v6
	v_xor_b32_e32 v2, s34, v2
	v_readlane_b32 s34, v255, 2
	v_cndmask_b32_e32 v6, v7, v8, vcc
	v_xor_b32_e32 v6, v6, v2
	v_sub_u32_e32 v6, v6, v2
	v_mul_lo_u32 v2, v5, s34
	v_readlane_b32 s34, v255, 27
	v_readlane_b32 s35, v255, 28
	v_add_u32_e32 v2, v2, v6
	s_andn2_b64 vcc, exec, s[34:35]
	s_cbranch_vccnz .LBB30_19
; %bb.18:                               ;   in Loop: Header=BB30_14 Depth=1
	v_subrev_co_u32_e32 v9, vcc, s88, v2
	v_lshlrev_b32_e32 v9, 1, v9
	v_add_u32_e32 v8, 1, v2
	v_or_b32_e32 v9, 1, v9
	v_readlane_b32 s36, v255, 23
	v_cndmask_b32_e32 v8, v9, v8, vcc
	v_readlane_b32 s38, v255, 25
	v_readlane_b32 s39, v255, 26
	v_cvt_f32_i32_e32 v8, v8
	v_mov_b32_e32 v9, s38
	v_mov_b32_e32 v7, s39
	v_cndmask_b32_e32 v7, v7, v9, vcc
	v_cmp_neq_f32_e32 vcc, 1.0, v7
	s_mov_b32 s34, 0x3f2aaaab
	s_movk_i32 s36, 0x204
	v_cndmask_b32_e32 v24, 1.0, v8, vcc
	v_cmp_neq_f32_e32 vcc, 0, v24
	v_mov_b32_e32 v0, 0x7fc00000
	v_readlane_b32 s37, v255, 24
	v_cndmask_b32_e32 v7, 1.0, v7, vcc
	v_frexp_mant_f32_e64 v8, |v7|
	v_cmp_gt_f32_e32 vcc, s34, v8
	s_mov_b32 s34, 0x3f317218
	v_cmp_class_f32_e64 s[38:39], v7, s36
	v_cndmask_b32_e64 v9, 1.0, 2.0, vcc
	v_mul_f32_e32 v8, v8, v9
	v_add_f32_e32 v11, 1.0, v8
	v_rcp_f32_e32 v16, v11
	v_add_f32_e32 v9, -1.0, v11
	v_sub_f32_e32 v13, v8, v9
	v_add_f32_e32 v9, -1.0, v8
	v_mul_f32_e32 v17, v9, v16
	v_mul_f32_e32 v10, v11, v17
	v_fma_f32 v12, v17, v11, -v10
	v_fmac_f32_e32 v12, v17, v13
	v_add_f32_e32 v8, v10, v12
	v_sub_f32_e32 v11, v9, v8
	v_pk_add_f32 v[14:15], v[8:9], v[10:11] neg_lo:[0,1] neg_hi:[0,1]
	v_mov_b32_e32 v13, v8
	v_pk_add_f32 v[8:9], v[14:15], v[12:13] neg_lo:[0,1] neg_hi:[0,1]
	v_mov_b32_e32 v12, 0x3e91f4c4
	v_add_f32_e32 v8, v8, v9
	v_add_f32_e32 v8, v11, v8
	v_mul_f32_e32 v9, v16, v8
	v_add_f32_e32 v8, v17, v9
	v_sub_f32_e32 v10, v8, v17
	v_sub_f32_e32 v18, v9, v10
	v_mul_f32_e32 v9, v8, v8
	v_fma_f32 v11, v8, v8, -v9
	v_add_f32_e32 v10, v18, v18
	v_fmac_f32_e32 v11, v8, v10
	v_add_f32_e32 v10, v9, v11
	v_fmamk_f32 v12, v10, 0x3e76c4e1, v12
	v_fmaak_f32 v12, v10, v12, 0x3ecccdef
	v_sub_f32_e32 v9, v10, v9
	v_sub_f32_e32 v19, v11, v9
	v_mul_f32_e32 v9, v10, v12
	v_fma_f32 v11, v10, v12, -v9
	v_fmac_f32_e32 v11, v19, v12
	v_add_f32_e32 v12, v9, v11
	v_add_f32_e32 v13, 0x3f2aaaaa, v12
	v_sub_f32_e32 v9, v12, v9
	v_sub_f32_e32 v9, v11, v9
	v_add_f32_e32 v11, 0xbf2aaaaa, v13
	v_add_f32_e32 v9, 0x31739010, v9
	v_sub_f32_e32 v11, v12, v11
	v_pk_mul_f32 v[14:15], v[8:9], v[10:11]
	v_pk_add_f32 v[16:17], v[8:9], v[10:11]
	v_fma_f32 v12, v10, v8, -v14
	v_fmac_f32_e32 v12, v10, v18
	v_mov_b32_e32 v15, v17
	v_fmac_f32_e32 v12, v19, v8
	v_pk_add_f32 v[10:11], v[14:15], v[12:13]
	v_ldexp_f32 v20, v18, 1
	v_sub_f32_e32 v9, v10, v14
	v_sub_f32_e32 v9, v12, v9
	;; [unrolled: 1-line block ×3, first 2 shown]
	v_add_f32_e32 v16, v17, v12
	v_pk_mul_f32 v[12:13], v[10:11], v[10:11] op_sel:[0,1] op_sel_hi:[1,0]
	v_cvt_f64_f32_e64 v[14:15], |v7|
	v_frexp_exp_i32_f64_e32 v13, v[14:15]
	v_subbrev_co_u32_e32 v13, vcc, 0, v13, vcc
	v_cvt_f32_i32_e32 v13, v13
	v_fma_f32 v14, v10, v11, -v12
	v_fmac_f32_e32 v14, v10, v16
	v_fmac_f32_e32 v14, v9, v11
	v_mul_f32_e32 v10, 0x3f317218, v13
	v_fma_f32 v16, v13, s34, -v10
	v_fmac_f32_e32 v16, 0xb102e308, v13
	v_ldexp_f32 v17, v8, 1
	v_add_f32_e32 v11, v12, v14
	v_pk_add_f32 v[8:9], v[10:11], v[16:17]
	v_mov_b32_e32 v18, v11
	v_mov_b32_e32 v19, v9
	;; [unrolled: 1-line block ×3, first 2 shown]
	v_pk_add_f32 v[12:13], v[18:19], v[12:13] neg_lo:[0,1] neg_hi:[0,1]
	v_mov_b32_e32 v15, v11
	v_pk_add_f32 v[12:13], v[14:15], v[12:13] neg_lo:[0,1] neg_hi:[0,1]
	v_mov_b32_e32 v17, v8
	v_add_f32_e32 v11, v20, v12
	v_add_f32_e32 v11, v11, v13
	v_pk_add_f32 v[12:13], v[8:9], v[10:11] neg_lo:[0,1] neg_hi:[0,1]
	v_pk_add_f32 v[14:15], v[8:9], v[10:11]
	v_mov_b32_e32 v22, v9
	v_mov_b32_e32 v13, v15
	v_pk_add_f32 v[18:19], v[16:17], v[12:13] neg_lo:[0,1] neg_hi:[0,1]
	v_pk_add_f32 v[12:13], v[16:17], v[12:13]
	v_mov_b32_e32 v10, v11
	v_pk_add_f32 v[16:17], v[12:13], v[8:9] op_sel:[1,0] op_sel_hi:[0,1] neg_lo:[0,1] neg_hi:[0,1]
	v_pk_add_f32 v[20:21], v[14:15], v[16:17] op_sel_hi:[1,0] neg_lo:[0,1] neg_hi:[0,1]
	v_mov_b32_e32 v14, v15
	v_mov_b32_e32 v15, v13
	v_mov_b32_e32 v23, v16
	v_pk_add_f32 v[14:15], v[14:15], v[22:23] neg_lo:[0,1] neg_hi:[0,1]
	v_mov_b32_e32 v11, v8
	v_pk_add_f32 v[8:9], v[10:11], v[14:15] neg_lo:[0,1] neg_hi:[0,1]
	v_mov_b32_e32 v20, v18
	v_pk_add_f32 v[10:11], v[20:21], v[8:9]
	v_mov_b32_e32 v19, v13
	v_pk_add_f32 v[14:15], v[10:11], v[10:11] op_sel:[0,1] op_sel_hi:[1,0]
	s_mov_b32 s34, 0x7f800000
	v_pk_add_f32 v[12:13], v[12:13], v[14:15] op_sel:[1,0] op_sel_hi:[0,1]
	v_mov_b32_e32 v11, v12
	v_pk_add_f32 v[16:17], v[10:11], v[18:19] neg_lo:[0,1] neg_hi:[0,1]
	v_mov_b32_e32 v9, v14
	v_sub_f32_e32 v10, v10, v16
	v_pk_add_f32 v[8:9], v[8:9], v[16:17] neg_lo:[0,1] neg_hi:[0,1]
	v_sub_f32_e32 v10, v18, v10
	v_add_f32_e32 v8, v8, v10
	v_add_f32_e32 v8, v8, v9
	v_add_f32_e32 v9, v12, v8
	v_sub_f32_e32 v10, v9, v12
	v_sub_f32_e32 v8, v8, v10
	v_mul_f32_e32 v10, v24, v9
	v_fma_f32 v9, v24, v9, -v10
	v_fmac_f32_e32 v9, v24, v8
	v_add_f32_e32 v8, v10, v9
	v_cmp_class_f32_e64 vcc, v10, s36
	v_sub_f32_e32 v11, v8, v10
	v_sub_f32_e32 v9, v9, v11
	v_cndmask_b32_e32 v8, v8, v10, vcc
	v_mov_b32_e32 v10, 0x37000000
	v_cmp_eq_f32_e32 vcc, s77, v8
	s_nop 1
	v_cndmask_b32_e32 v10, 0, v10, vcc
	v_sub_f32_e32 v11, v8, v10
	v_mul_f32_e32 v12, 0x3fb8aa3b, v11
	v_fma_f32 v13, v11, s5, -v12
	v_rndne_f32_e32 v14, v12
	v_fmac_f32_e32 v13, 0x32a5705f, v11
	v_sub_f32_e32 v12, v12, v14
	v_add_f32_e32 v12, v12, v13
	v_exp_f32_e32 v12, v12
	v_cvt_i32_f32_e32 v13, v14
	v_cmp_neq_f32_e64 vcc, |v8|, s34
	s_nop 1
	v_cndmask_b32_e32 v8, 0, v9, vcc
	v_ldexp_f32 v9, v12, v13
	v_cmp_ngt_f32_e32 vcc, s82, v11
	v_add_f32_e32 v8, v10, v8
	s_nop 0
	v_cndmask_b32_e32 v9, 0, v9, vcc
	v_cmp_nlt_f32_e32 vcc, s77, v11
	s_nop 1
	v_cndmask_b32_e32 v9, v196, v9, vcc
	v_fma_f32 v8, v9, v8, v9
	v_cmp_class_f32_e64 vcc, v9, s36
	v_cmp_gt_f32_e64 s[36:37], 0, v24
	s_nop 0
	v_cndmask_b32_e32 v8, v8, v9, vcc
	v_trunc_f32_e32 v9, v24
	v_cmp_eq_f32_e32 vcc, v9, v24
	v_mul_f32_e32 v9, 0.5, v24
	v_trunc_f32_e32 v10, v9
	v_cmp_neq_f32_e64 s[34:35], v10, v9
	s_and_b64 s[34:35], vcc, s[34:35]
	s_nop 0
	v_cndmask_b32_e64 v9, 1.0, v7, s[34:35]
	v_bfi_b32 v8, s96, v8, v9
	v_cndmask_b32_e32 v9, v0, v8, vcc
	v_cmp_gt_f32_e32 vcc, 0, v7
	v_cndmask_b32_e64 v10, 0, v7, s[34:35]
	s_nop 0
	v_cndmask_b32_e32 v8, v8, v9, vcc
	v_cmp_eq_f32_e32 vcc, 0, v7
	s_xor_b64 s[36:37], s[36:37], vcc
	v_cndmask_b32_e64 v9, v196, 0, s[36:37]
	v_bfi_b32 v9, s96, v9, v10
	s_or_b64 vcc, vcc, s[38:39]
	v_cndmask_b32_e32 v8, v8, v9, vcc
	v_cmp_o_f32_e32 vcc, v7, v7
	s_nop 1
	v_cndmask_b32_e32 v126, v0, v8, vcc
.LBB30_19:                              ;   in Loop: Header=BB30_14 Depth=1
	v_readlane_b32 s34, v255, 3
	s_nop 1
	v_mul_lo_u32 v6, v6, s34
	v_sub_u32_e32 v3, v3, v6
	v_sub_u32_e32 v7, 0, v3
	v_ashrrev_i32_e32 v6, 31, v3
	v_max_i32_e32 v3, v3, v7
	v_mul_hi_u32 v7, v3, s85
	v_mul_lo_u32 v8, v7, s33
	v_sub_u32_e32 v3, v3, v8
	v_add_u32_e32 v8, 1, v7
	v_subrev_u32_e32 v9, s33, v3
	v_cmp_le_u32_e32 vcc, s33, v3
	v_readlane_b32 s34, v255, 16
	s_nop 0
	v_cndmask_b32_e32 v7, v7, v8, vcc
	v_cndmask_b32_e32 v3, v3, v9, vcc
	v_add_u32_e32 v8, 1, v7
	v_cmp_le_u32_e32 vcc, s33, v3
	v_xor_b32_e32 v6, s34, v6
	v_readlane_b32 s34, v255, 29
	v_cndmask_b32_e32 v3, v7, v8, vcc
	v_xor_b32_e32 v3, v3, v6
	v_readlane_b32 s35, v255, 30
	s_andn2_b64 vcc, exec, s[34:35]
	v_sub_u32_e32 v6, v3, v6
	s_cbranch_vccnz .LBB30_21
; %bb.20:                               ;   in Loop: Header=BB30_14 Depth=1
	v_readlane_b32 s34, v255, 0
	s_nop 1
	v_mul_lo_u32 v3, v1, s34
	v_add_u32_e32 v8, v6, v3
	v_ashrrev_i32_e32 v9, 31, v8
	v_lshlrev_b64 v[8:9], 2, v[8:9]
	v_lshl_add_u64 v[8:9], s[70:71], 0, v[8:9]
	global_load_dword v3, v[8:9], off
	s_waitcnt vmcnt(0)
	v_ashrrev_i32_e32 v7, 31, v3
	v_lshrrev_b32_e32 v7, 26, v7
	v_add_u32_e32 v3, v3, v7
	v_ashrrev_i32_e32 v3, 6, v3
	v_min_i32_e32 v154, v154, v3
.LBB30_21:                              ;   in Loop: Header=BB30_14 Depth=1
	v_readlane_b32 s34, v255, 20
	v_mul_lo_u32 v134, v5, s83
	v_ashrrev_i32_e32 v135, 31, v134
	v_mul_lo_u32 v3, s34, v1
	v_add_u32_e32 v3, v2, v3
	v_readlane_b32 s34, v255, 10
	v_lshlrev_b32_e32 v46, 7, v3
	v_readlane_b32 s35, v255, 11
	v_mul_lo_u32 v3, s34, v4
	v_mul_hi_u32 v7, s34, v1
	v_add_u32_e32 v3, v7, v3
	v_mul_lo_u32 v7, s35, v1
	v_lshlrev_b64 v[8:9], 3, v[46:47]
	v_add_u32_e32 v133, v3, v7
	v_mul_lo_u32 v132, s34, v1
	v_lshl_add_u64 v[120:121], s[72:73], 0, v[8:9]
	v_lshl_add_u64 v[8:9], s[64:65], 0, v[132:133]
	v_ashrrev_i32_e32 v3, 31, v2
	v_lshl_add_u64 v[124:125], v[8:9], 0, v[134:135]
	v_lshlrev_b64 v[8:9], 2, v[2:3]
	v_readlane_b32 s34, v255, 21
	v_lshl_add_u64 v[8:9], s[68:69], 0, v[8:9]
	v_readlane_b32 s35, v255, 22
	v_mul_lo_u32 v136, s80, v1
	v_lshlrev_b32_e32 v194, 4, v6
	v_cndmask_b32_e64 v123, v9, 0, s[34:35]
	v_cndmask_b32_e64 v122, v8, 0, s[34:35]
	v_readlane_b32 s34, v255, 8
	v_readlane_b32 s35, v255, 9
	s_cmp_lg_u32 s40, 0
	v_mul_lo_u32 v2, v2, s34
	v_mul_lo_u32 v8, v1, s35
	v_ashrrev_i32_e32 v9, 31, v8
	v_lshl_add_u64 v[8:9], s[60:61], 0, v[8:9]
	v_ashrrev_i32_e32 v3, 31, v2
	v_lshl_add_u64 v[140:141], v[8:9], 0, v[2:3]
	v_mul_lo_u32 v2, s80, v4
	v_mul_hi_u32 v3, s80, v1
	v_readlane_b32 s34, v255, 14
	v_add_u32_e32 v2, v3, v2
	v_mul_lo_u32 v3, s81, v1
	v_readlane_b32 s35, v255, 15
	v_add_u32_e32 v137, v2, v3
	v_lshl_add_u64 v[2:3], s[62:63], 0, v[136:137]
	v_mul_lo_u32 v138, v5, s35
	v_ashrrev_i32_e32 v139, 31, v138
	v_lshl_add_u64 v[130:131], v[2:3], 0, v[138:139]
	v_add_u32_e32 v193, v174, v194
	s_cbranch_scc0 .LBB30_65
; %bb.22:                               ;   in Loop: Header=BB30_14 Depth=1
	v_cmp_le_i32_e32 vcc, s76, v193
	s_and_saveexec_b64 s[34:35], vcc
	s_xor_b64 s[34:35], exec, s[34:35]
; %bb.23:                               ;   in Loop: Header=BB30_14 Depth=1
	v_add_u32_e32 v0, v226, v235
	ds_write2st64_b32 v0, v47, v47 offset1:1
; %bb.24:                               ;   in Loop: Header=BB30_14 Depth=1
	s_andn2_saveexec_b64 s[34:35], s[34:35]
	s_cbranch_execz .LBB30_26
; %bb.25:                               ;   in Loop: Header=BB30_14 Depth=1
	v_mad_u64_u32 v[2:3], s[36:37], v193, s97, v[44:45]
	v_ashrrev_i32_e32 v3, 31, v2
	v_lshl_add_u64 v[2:3], v[2:3], 3, v[140:141]
	global_load_dwordx2 v[4:5], v[2:3], off
	s_waitcnt vmcnt(0)
	v_cvt_pk_f16_f32 v0, v4, v5
	global_load_dwordx2 v[2:3], v[2:3], off offset:512
	v_pk_mul_f16 v0, v0, v244
	s_waitcnt vmcnt(0)
	v_cvt_pk_f16_f32 v1, v2, v3
	v_pk_mul_f16 v1, v1, v244
	ds_write2st64_b32 v234, v0, v1 offset1:1
.LBB30_26:                              ;   in Loop: Header=BB30_14 Depth=1
	s_or_b64 exec, exec, s[34:35]
	v_add_u32_e32 v155, v177, v194
	v_cmp_le_i32_e32 vcc, s76, v155
	s_and_saveexec_b64 s[34:35], vcc
	s_xor_b64 s[34:35], exec, s[34:35]
; %bb.27:                               ;   in Loop: Header=BB30_14 Depth=1
	v_add_u32_e32 v0, v226, v235
	v_add_u32_e32 v0, 64, v0
	ds_write2st64_b32 v0, v47, v47 offset0:8 offset1:9
; %bb.28:                               ;   in Loop: Header=BB30_14 Depth=1
	s_andn2_saveexec_b64 s[34:35], s[34:35]
	s_cbranch_execz .LBB30_30
; %bb.29:                               ;   in Loop: Header=BB30_14 Depth=1
	v_mad_u64_u32 v[2:3], s[36:37], v155, s97, v[44:45]
	v_ashrrev_i32_e32 v3, 31, v2
	v_lshl_add_u64 v[2:3], v[2:3], 3, v[140:141]
	global_load_dwordx2 v[4:5], v[2:3], off
	s_waitcnt vmcnt(0)
	v_cvt_pk_f16_f32 v0, v4, v5
	global_load_dwordx2 v[2:3], v[2:3], off offset:512
	v_pk_mul_f16 v0, v0, v244
	s_waitcnt vmcnt(0)
	v_cvt_pk_f16_f32 v1, v2, v3
	v_pk_mul_f16 v1, v1, v244
	v_accvgpr_read_b32 v2, a62
	ds_write2st64_b32 v2, v0, v1 offset1:1
.LBB30_30:                              ;   in Loop: Header=BB30_14 Depth=1
	s_or_b64 exec, exec, s[34:35]
	v_add_u32_e32 v156, v49, v194
	v_cmp_le_i32_e32 vcc, s76, v156
	s_and_saveexec_b64 s[34:35], vcc
	s_xor_b64 s[34:35], exec, s[34:35]
; %bb.31:                               ;   in Loop: Header=BB30_14 Depth=1
	v_add_u32_e32 v0, v226, v235
	v_add_u32_e32 v0, 0x80, v0
	ds_write2st64_b32 v0, v47, v47 offset0:16 offset1:17
; %bb.32:                               ;   in Loop: Header=BB30_14 Depth=1
	s_andn2_saveexec_b64 s[34:35], s[34:35]
	s_cbranch_execz .LBB30_34
; %bb.33:                               ;   in Loop: Header=BB30_14 Depth=1
	v_mad_u64_u32 v[2:3], s[36:37], v156, s97, v[44:45]
	v_ashrrev_i32_e32 v3, 31, v2
	v_lshl_add_u64 v[2:3], v[2:3], 3, v[140:141]
	global_load_dwordx2 v[4:5], v[2:3], off
	s_waitcnt vmcnt(0)
	v_cvt_pk_f16_f32 v0, v4, v5
	global_load_dwordx2 v[2:3], v[2:3], off offset:512
	v_pk_mul_f16 v0, v0, v244
	s_waitcnt vmcnt(0)
	v_cvt_pk_f16_f32 v1, v2, v3
	v_pk_mul_f16 v1, v1, v244
	v_accvgpr_read_b32 v2, a63
	ds_write2st64_b32 v2, v0, v1 offset1:1
.LBB30_34:                              ;   in Loop: Header=BB30_14 Depth=1
	;; [unrolled: 27-line block ×3, first 2 shown]
	s_or_b64 exec, exec, s[34:35]
	s_waitcnt lgkmcnt(0)
	s_barrier
	ds_read2_b64 v[30:33], v179 offset1:4
	ds_read2_b64 v[26:29], v179 offset0:8 offset1:12
	ds_read2_b64 v[22:25], v179 offset0:16 offset1:20
	;; [unrolled: 1-line block ×7, first 2 shown]
	v_add_u32_e32 v158, -1, v154
	v_cmp_ge_i32_e32 vcc, s40, v158
	s_waitcnt lgkmcnt(0)
	s_barrier
	s_cbranch_vccnz .LBB30_66
; %bb.39:                               ;   in Loop: Header=BB30_14 Depth=1
	v_mul_hi_u32 v0, s94, v193
	v_add_u32_e32 v0, v193, v0
	v_lshrrev_b32_e32 v0, s95, v0
	v_mul_lo_u32 v0, v0, s76
	v_readlane_b32 s36, v255, 48
	v_sub_u32_e32 v0, v193, v0
	v_readlane_b32 s37, v255, 49
	s_mov_b32 s38, s36
	v_mad_i64_i32 v[144:145], s[36:37], v0, s38, 0
	v_mul_hi_u32 v0, s94, v155
	v_add_u32_e32 v0, v155, v0
	v_lshrrev_b32_e32 v0, s95, v0
	v_mul_lo_u32 v0, v0, s76
	v_sub_u32_e32 v0, v155, v0
	v_mad_i64_i32 v[146:147], s[36:37], v0, s38, 0
	v_mul_hi_u32 v0, s94, v156
	v_add_u32_e32 v0, v156, v0
	v_lshrrev_b32_e32 v0, s95, v0
	v_mul_lo_u32 v0, v0, s76
	v_sub_u32_e32 v0, v156, v0
	;; [unrolled: 6-line block ×3, first 2 shown]
	v_mad_i64_i32 v[150:151], s[36:37], v0, s38, 0
	v_and_b32_e32 v0, 64, v243
	v_add_u32_e32 v0, 64, v0
	v_xor_b32_e32 v1, 32, v243
	v_cmp_lt_i32_e32 vcc, v1, v0
	v_lshlrev_b32_e32 v46, 1, v44
	v_cmp_ne_u64_e64 s[34:35], 0, v[128:129]
	v_cndmask_b32_e32 v1, v243, v1, vcc
	v_lshlrev_b32_e32 v159, 2, v1
	v_xor_b32_e32 v1, 16, v243
	v_cmp_lt_i32_e32 vcc, v1, v0
	v_lshl_add_u64 v[142:143], v[128:129], 0, v[46:47]
	v_mov_b32_e32 v152, v126
	v_cndmask_b32_e32 v0, v243, v1, vcc
	v_lshlrev_b32_e32 v160, 2, v0
	v_mov_b32_e32 v153, v126
	s_lshl_b32 s36, s40, 6
	v_mov_b32_e32 v86, 0
	v_mov_b32_e32 v101, 0xfeffffff
	;; [unrolled: 1-line block ×34, first 2 shown]
	s_andn2_b64 vcc, exec, s[34:35]
	s_ashr_i32 s37, s36, 31
	s_cbranch_vccnz .LBB30_43
.LBB30_40:                              ;   in Loop: Header=BB30_14 Depth=1
	v_mov_b32_e32 v1, 0
	v_mov_b32_e32 v34, 0
	;; [unrolled: 1-line block ×4, first 2 shown]
	s_and_saveexec_b64 s[38:39], s[0:1]
	s_cbranch_execz .LBB30_42
; %bb.41:                               ;   in Loop: Header=BB30_14 Depth=1
	v_lshl_add_u64 v[36:37], s[36:37], 1, v[142:143]
	v_lshl_add_u64 v[34:35], v[144:145], 1, v[36:37]
	global_load_ushort v1, v[34:35], off
	v_lshl_add_u64 v[34:35], v[146:147], 1, v[36:37]
	v_lshl_add_u64 v[38:39], v[148:149], 1, v[36:37]
	;; [unrolled: 1-line block ×3, first 2 shown]
	global_load_ushort v34, v[34:35], off
	s_nop 0
	global_load_ushort v36, v[36:37], off
	s_nop 0
	global_load_ushort v35, v[38:39], off
.LBB30_42:                              ;   in Loop: Header=BB30_14 Depth=1
	s_or_b64 exec, exec, s[38:39]
	s_waitcnt vmcnt(3)
	ds_write_b16 v207, v1 offset:33792
	s_waitcnt vmcnt(2)
	ds_write_b16 v245, v34 offset:33792
	;; [unrolled: 2-line block ×3, first 2 shown]
	ds_write_b16 v247, v36 offset:33792
.LBB30_43:                              ;   Parent Loop BB30_14 Depth=1
                                        ; =>  This Inner Loop Header: Depth=2
	s_mul_hi_i32 s39, s36, s92
	s_mul_i32 s38, s36, s92
	s_lshl_b64 s[38:39], s[38:39], 2
	v_lshl_add_u64 v[38:39], v[130:131], 0, s[38:39]
	v_lshl_add_u64 v[34:35], v[52:53], 2, v[38:39]
	v_lshlrev_b32_e32 v46, 2, v48
	v_lshl_add_u64 v[34:35], v[34:35], 0, v[46:47]
	v_mov_b32_e32 v0, s91
	v_cndmask_b32_e64 v35, v0, v35, s[6:7]
	v_cndmask_b32_e64 v34, v233, v34, s[6:7]
	scratch_store_dwordx4 off, a[4:7], off
	flat_load_dwordx4 v[34:37], v[34:35]
	v_lshl_add_u64 v[40:41], v[54:55], 2, v[38:39]
	v_lshl_add_u64 v[40:41], v[40:41], 0, v[46:47]
	v_cndmask_b32_e64 v41, v0, v41, s[8:9]
	v_cndmask_b32_e64 v40, v233, v40, s[8:9]
	s_waitcnt vmcnt(0) lgkmcnt(0)
	ds_write_b128 v181, v[34:37]
	flat_load_dwordx4 v[34:37], v[40:41]
	v_lshl_add_u64 v[40:41], v[56:57], 2, v[38:39]
	v_lshl_add_u64 v[40:41], v[40:41], 0, v[46:47]
	v_cndmask_b32_e64 v41, v0, v41, s[10:11]
	v_cndmask_b32_e64 v40, v233, v40, s[10:11]
	s_waitcnt vmcnt(0) lgkmcnt(0)
	ds_write_b128 v249, v[34:37]
	flat_load_dwordx4 v[34:37], v[40:41]
	v_lshl_add_u64 v[40:41], v[58:59], 2, v[38:39]
	v_lshl_add_u64 v[40:41], v[40:41], 0, v[46:47]
	v_cndmask_b32_e64 v41, v0, v41, s[12:13]
	v_cndmask_b32_e64 v40, v233, v40, s[12:13]
	s_waitcnt vmcnt(0) lgkmcnt(0)
	ds_write_b128 v251, v[34:37]
	flat_load_dwordx4 v[34:37], v[40:41]
	v_lshl_add_u64 v[40:41], v[60:61], 2, v[38:39]
	v_lshl_add_u64 v[40:41], v[40:41], 0, v[46:47]
	v_cndmask_b32_e64 v41, v0, v41, s[14:15]
	v_cndmask_b32_e64 v40, v233, v40, s[14:15]
	s_waitcnt vmcnt(0) lgkmcnt(0)
	ds_write_b128 v253, v[34:37]
	flat_load_dwordx4 v[34:37], v[40:41]
	v_lshl_add_u64 v[40:41], v[62:63], 2, v[38:39]
	v_lshl_add_u64 v[40:41], v[40:41], 0, v[46:47]
	v_cndmask_b32_e64 v41, v0, v41, s[16:17]
	v_cndmask_b32_e64 v40, v233, v40, s[16:17]
	s_waitcnt vmcnt(0) lgkmcnt(0)
	ds_write_b128 v242, v[34:37]
	flat_load_dwordx4 v[34:37], v[40:41]
	v_lshl_add_u64 v[40:41], v[64:65], 2, v[38:39]
	v_lshl_add_u64 v[40:41], v[40:41], 0, v[46:47]
	v_cndmask_b32_e64 v41, v0, v41, s[18:19]
	v_cndmask_b32_e64 v40, v233, v40, s[18:19]
	v_lshl_add_u64 v[38:39], v[66:67], 2, v[38:39]
	v_lshl_add_u64 v[38:39], v[38:39], 0, v[46:47]
	v_cndmask_b32_e64 v39, v0, v39, s[20:21]
	v_cndmask_b32_e64 v38, v233, v38, s[20:21]
	s_waitcnt vmcnt(0) lgkmcnt(0)
	ds_write_b128 v240, v[34:37]
	flat_load_dwordx4 v[34:37], v[40:41]
	s_waitcnt vmcnt(0) lgkmcnt(0)
	ds_write_b128 v238, v[34:37]
	flat_load_dwordx4 v[34:37], v[38:39]
                                        ; implicit-def: $vgpr38
	s_waitcnt vmcnt(0) lgkmcnt(0)
	ds_write_b128 v236, v[34:37]
	s_waitcnt lgkmcnt(0)
	s_barrier
	ds_read2_b64 v[34:37], v182 offset1:4
	s_waitcnt lgkmcnt(0)
	v_mfma_f32_16x16x16_f16 a[0:3], v[34:35], v[30:31], 0
	v_mfma_f32_16x16x16_f16 a[0:3], v[36:37], v[32:33], a[0:3]
	ds_read2_b64 v[34:37], v182 offset0:8 offset1:12
	s_waitcnt lgkmcnt(0)
	v_mfma_f32_16x16x16_f16 a[0:3], v[34:35], v[26:27], a[0:3]
	v_mfma_f32_16x16x16_f16 a[0:3], v[36:37], v[28:29], a[0:3]
	ds_read2_b64 v[34:37], v182 offset0:16 offset1:20
	;; [unrolled: 4-line block ×7, first 2 shown]
	s_waitcnt lgkmcnt(0)
	s_barrier
	v_mfma_f32_16x16x16_f16 a[0:3], v[34:35], v[2:3], a[0:3]
	v_mfma_f32_16x16x16_f16 a[0:3], v[36:37], v[4:5], a[0:3]
	s_nop 7
	v_accvgpr_read_b32 v1, a0
	v_cmp_nlt_f32_e64 s[38:39], |v1|, s2
	s_and_saveexec_b64 s[42:43], s[38:39]
	s_xor_b64 s[38:39], exec, s[42:43]
	s_cbranch_execz .LBB30_45
; %bb.44:                               ;   in Loop: Header=BB30_43 Depth=2
	v_add_f32_e64 v0, |v1|, |v1|
	v_mul_f32_e32 v34, 0x3fb8aa3b, v0
	v_rndne_f32_e32 v35, v34
	v_sub_f32_e32 v36, v34, v35
	v_fma_f32 v34, v0, s5, -v34
	v_fmac_f32_e32 v34, 0x32a5705f, v0
	v_add_f32_e32 v34, v36, v34
	v_cvt_i32_f32_e32 v35, v35
	v_exp_f32_e32 v34, v34
	v_cmp_ngt_f32_e32 vcc, s82, v0
	v_ldexp_f32 v34, v34, v35
	s_nop 0
	v_cndmask_b32_e32 v34, 0, v34, vcc
	v_cmp_nlt_f32_e32 vcc, s77, v0
	s_nop 1
	v_cndmask_b32_e32 v0, v196, v34, vcc
	v_add_f32_e32 v0, 1.0, v0
	v_rcp_f32_e32 v0, v0
	s_nop 0
	v_fma_f32 v38, v0, -2.0, 1.0
.LBB30_45:                              ;   in Loop: Header=BB30_43 Depth=2
	s_andn2_saveexec_b64 s[38:39], s[38:39]
; %bb.46:                               ;   in Loop: Header=BB30_43 Depth=2
	v_mul_f32_e32 v0, v1, v1
	v_fmamk_f32 v34, v0, 0xbbbac73d, v197
	v_fmaak_f32 v34, v0, v34, 0xbd5c1c4e
	v_fmaak_f32 v34, v0, v34, 0x3e088382
	;; [unrolled: 1-line block ×3, first 2 shown]
	v_mul_f32_e64 v34, |v1|, v34
	v_fma_f32 v38, v0, v34, |v1|
; %bb.47:                               ;   in Loop: Header=BB30_43 Depth=2
	s_or_b64 exec, exec, s[38:39]
	v_accvgpr_read_b32 v37, a3
	v_accvgpr_read_b32 v35, a1
	;; [unrolled: 1-line block ×4, first 2 shown]
	v_cmp_nlt_f32_e64 s[38:39], |v35|, s2
                                        ; implicit-def: $vgpr34
	s_and_saveexec_b64 s[42:43], s[38:39]
	s_xor_b64 s[38:39], exec, s[42:43]
	s_cbranch_execz .LBB30_49
; %bb.48:                               ;   in Loop: Header=BB30_43 Depth=2
	v_add_f32_e64 v0, |v35|, |v35|
	v_mul_f32_e32 v34, 0x3fb8aa3b, v0
	v_rndne_f32_e32 v39, v34
	v_sub_f32_e32 v40, v34, v39
	v_fma_f32 v34, v0, s5, -v34
	v_fmac_f32_e32 v34, 0x32a5705f, v0
	v_add_f32_e32 v34, v40, v34
	v_cvt_i32_f32_e32 v39, v39
	v_exp_f32_e32 v34, v34
	v_cmp_ngt_f32_e32 vcc, s82, v0
	v_ldexp_f32 v34, v34, v39
	s_nop 0
	v_cndmask_b32_e32 v34, 0, v34, vcc
	v_cmp_nlt_f32_e32 vcc, s77, v0
	s_nop 1
	v_cndmask_b32_e32 v0, v196, v34, vcc
	v_add_f32_e32 v0, 1.0, v0
	v_rcp_f32_e32 v0, v0
	s_nop 0
	v_fma_f32 v34, v0, -2.0, 1.0
.LBB30_49:                              ;   in Loop: Header=BB30_43 Depth=2
	s_andn2_saveexec_b64 s[38:39], s[38:39]
; %bb.50:                               ;   in Loop: Header=BB30_43 Depth=2
	v_mul_f32_e32 v0, v35, v35
	v_fmamk_f32 v34, v0, 0xbbbac73d, v197
	v_fmaak_f32 v34, v0, v34, 0xbd5c1c4e
	v_fmaak_f32 v34, v0, v34, 0x3e088382
	;; [unrolled: 1-line block ×3, first 2 shown]
	v_mul_f32_e64 v34, |v35|, v34
	v_fma_f32 v34, v0, v34, |v35|
; %bb.51:                               ;   in Loop: Header=BB30_43 Depth=2
	s_or_b64 exec, exec, s[38:39]
	v_cmp_nlt_f32_e64 s[38:39], |v36|, s2
                                        ; implicit-def: $vgpr40
	s_and_saveexec_b64 s[42:43], s[38:39]
	s_xor_b64 s[38:39], exec, s[42:43]
	s_cbranch_execz .LBB30_53
; %bb.52:                               ;   in Loop: Header=BB30_43 Depth=2
	v_add_f32_e64 v0, |v36|, |v36|
	v_mul_f32_e32 v39, 0x3fb8aa3b, v0
	v_rndne_f32_e32 v40, v39
	v_sub_f32_e32 v41, v39, v40
	v_fma_f32 v39, v0, s5, -v39
	v_fmac_f32_e32 v39, 0x32a5705f, v0
	v_add_f32_e32 v39, v41, v39
	v_cvt_i32_f32_e32 v40, v40
	v_exp_f32_e32 v39, v39
	v_cmp_ngt_f32_e32 vcc, s82, v0
	v_ldexp_f32 v39, v39, v40
	s_nop 0
	v_cndmask_b32_e32 v39, 0, v39, vcc
	v_cmp_nlt_f32_e32 vcc, s77, v0
	s_nop 1
	v_cndmask_b32_e32 v0, v196, v39, vcc
	v_add_f32_e32 v0, 1.0, v0
	v_rcp_f32_e32 v0, v0
	s_nop 0
	v_fma_f32 v40, v0, -2.0, 1.0
.LBB30_53:                              ;   in Loop: Header=BB30_43 Depth=2
	s_andn2_saveexec_b64 s[38:39], s[38:39]
; %bb.54:                               ;   in Loop: Header=BB30_43 Depth=2
	v_mul_f32_e32 v0, v36, v36
	v_fmamk_f32 v39, v0, 0xbbbac73d, v197
	v_fmaak_f32 v39, v0, v39, 0xbd5c1c4e
	v_fmaak_f32 v39, v0, v39, 0x3e088382
	;; [unrolled: 1-line block ×3, first 2 shown]
	v_mul_f32_e64 v39, |v36|, v39
	v_fma_f32 v40, v0, v39, |v36|
; %bb.55:                               ;   in Loop: Header=BB30_43 Depth=2
	s_or_b64 exec, exec, s[38:39]
	v_cmp_nlt_f32_e64 s[38:39], |v37|, s2
                                        ; implicit-def: $vgpr41
	s_and_saveexec_b64 s[42:43], s[38:39]
	s_xor_b64 s[38:39], exec, s[42:43]
	s_cbranch_execz .LBB30_57
; %bb.56:                               ;   in Loop: Header=BB30_43 Depth=2
	v_add_f32_e64 v0, |v37|, |v37|
	v_mul_f32_e32 v39, 0x3fb8aa3b, v0
	v_rndne_f32_e32 v41, v39
	v_sub_f32_e32 v50, v39, v41
	v_fma_f32 v39, v0, s5, -v39
	v_fmac_f32_e32 v39, 0x32a5705f, v0
	v_add_f32_e32 v39, v50, v39
	v_cvt_i32_f32_e32 v41, v41
	v_exp_f32_e32 v39, v39
	v_cmp_ngt_f32_e32 vcc, s82, v0
	v_ldexp_f32 v39, v39, v41
	s_nop 0
	v_cndmask_b32_e32 v39, 0, v39, vcc
	v_cmp_nlt_f32_e32 vcc, s77, v0
	s_nop 1
	v_cndmask_b32_e32 v0, v196, v39, vcc
	v_add_f32_e32 v0, 1.0, v0
	v_rcp_f32_e32 v0, v0
	s_nop 0
	v_fma_f32 v41, v0, -2.0, 1.0
.LBB30_57:                              ;   in Loop: Header=BB30_43 Depth=2
	s_andn2_saveexec_b64 s[38:39], s[38:39]
; %bb.58:                               ;   in Loop: Header=BB30_43 Depth=2
	v_mul_f32_e32 v0, v37, v37
	v_fmamk_f32 v39, v0, 0xbbbac73d, v197
	v_fmaak_f32 v39, v0, v39, 0xbd5c1c4e
	v_fmaak_f32 v39, v0, v39, 0x3e088382
	;; [unrolled: 1-line block ×3, first 2 shown]
	v_mul_f32_e64 v39, |v37|, v39
	v_fma_f32 v41, v0, v39, |v37|
; %bb.59:                               ;   in Loop: Header=BB30_43 Depth=2
	s_or_b64 exec, exec, s[38:39]
	v_bfi_b32 v0, s96, v38, v1
	v_mul_f32_e32 v38, s89, v0
	v_bfi_b32 v0, s96, v34, v35
	v_mul_f32_e32 v39, s89, v0
	;; [unrolled: 2-line block ×4, first 2 shown]
	s_and_b64 vcc, exec, s[34:35]
	s_cbranch_vccz .LBB30_64
; %bb.60:                               ;   in Loop: Header=BB30_43 Depth=2
	v_add_u32_e32 v0, 0x8400, v184
	ds_read2_b32 v[34:35], v0 offset1:1
	v_mov_b32_e32 v127, v126
	s_waitcnt lgkmcnt(0)
	v_cvt_f32_f16_e32 v102, v34
	v_cvt_f32_f16_e32 v36, v35
	v_cvt_f32_f16_sdwa v37, v35 dst_sel:DWORD dst_unused:UNUSED_PAD src0_sel:WORD_1
	v_cvt_f32_f16_sdwa v103, v34 dst_sel:DWORD dst_unused:UNUSED_PAD src0_sel:WORD_1
	v_pk_fma_f32 v[36:37], v[126:127], v[36:37], v[40:41]
	v_pk_fma_f32 v[34:35], v[152:153], v[102:103], v[38:39]
	s_cbranch_execnz .LBB30_62
.LBB30_61:                              ;   in Loop: Header=BB30_43 Depth=2
	v_mov_b64_e32 v[34:35], v[38:39]
	v_mov_b64_e32 v[36:37], v[40:41]
.LBB30_62:                              ;   in Loop: Header=BB30_43 Depth=2
	v_add_f32_e32 v0, 0x40051340, v34
	v_max_f32_e32 v1, v101, v101
	v_max_f32_e32 v0, v1, v0
	v_cndmask_b32_e64 v0, v101, v0, s[22:23]
	v_add_f32_e32 v1, 0x40051340, v35
	v_max_f32_e32 v38, v0, v0
	v_max_f32_e32 v1, v38, v1
	v_cndmask_b32_e64 v0, v0, v1, s[24:25]
	;; [unrolled: 4-line block ×4, first 2 shown]
	ds_bpermute_b32 v1, v159, v0
	v_max_f32_e32 v0, v0, v0
	s_mul_hi_i32 s39, s36, s78
	s_mul_i32 s38, s36, s78
	s_lshl_b64 s[38:39], s[38:39], 2
	s_waitcnt lgkmcnt(0)
	v_max_f32_e32 v1, v1, v1
	v_max_f32_e32 v0, v0, v1
	ds_bpermute_b32 v1, v160, v0
	v_lshl_add_u64 v[106:107], v[124:125], 0, s[38:39]
	v_lshl_add_u64 v[108:109], v[68:69], 2, v[106:107]
	;; [unrolled: 1-line block ×4, first 2 shown]
	s_waitcnt lgkmcnt(0)
	v_max_f32_e32 v1, v1, v1
	v_max_f32_e32 v38, v0, v1
	v_sub_f32_e32 v0, v34, v38
	v_mul_f32_e32 v1, 0x3fb8aa3b, v0
	v_fma_f32 v34, v0, s5, -v1
	v_rndne_f32_e32 v39, v1
	v_fmac_f32_e32 v34, 0x32a5705f, v0
	v_sub_f32_e32 v1, v1, v39
	v_add_f32_e32 v1, v1, v34
	v_exp_f32_e32 v1, v1
	v_cvt_i32_f32_e32 v34, v39
	v_cmp_ngt_f32_e32 vcc, s82, v0
	v_lshl_add_u64 v[112:113], v[72:73], 2, v[106:107]
	v_lshl_add_u64 v[114:115], v[74:75], 2, v[106:107]
	v_ldexp_f32 v1, v1, v34
	v_cndmask_b32_e32 v1, 0, v1, vcc
	v_cmp_nlt_f32_e32 vcc, s77, v0
	v_lshl_add_u64 v[116:117], v[76:77], 2, v[106:107]
	v_lshl_add_u64 v[118:119], v[78:79], 2, v[106:107]
	v_cndmask_b32_e32 v0, v196, v1, vcc
	v_cndmask_b32_e64 v34, 0, v0, s[22:23]
	v_sub_f32_e32 v0, v35, v38
	v_mul_f32_e32 v1, 0x3fb8aa3b, v0
	v_fma_f32 v35, v0, s5, -v1
	v_rndne_f32_e32 v39, v1
	v_fmac_f32_e32 v35, 0x32a5705f, v0
	v_sub_f32_e32 v1, v1, v39
	v_add_f32_e32 v1, v1, v35
	v_exp_f32_e32 v1, v1
	v_cvt_i32_f32_e32 v35, v39
	v_cmp_ngt_f32_e32 vcc, s82, v0
	v_cndmask_b32_e64 v108, v233, v108, s[6:7]
	scratch_store_dwordx4 off, a[4:7], off
	v_ldexp_f32 v1, v1, v35
	v_cndmask_b32_e32 v1, 0, v1, vcc
	v_cmp_nlt_f32_e32 vcc, s77, v0
	v_lshl_add_u64 v[110:111], v[110:111], 0, v[46:47]
	v_cndmask_b32_e64 v110, v233, v110, s[8:9]
	v_cndmask_b32_e32 v0, v196, v1, vcc
	v_add_f32_e32 v35, v0, v34
	v_mov_b32_e32 v1, s87
	v_cndmask_b32_e64 v1, v1, v0, s[24:25]
	v_cndmask_b32_e64 v0, v34, v35, s[24:25]
	v_sub_f32_e32 v35, v36, v38
	v_mul_f32_e32 v36, 0x3fb8aa3b, v35
	v_fma_f32 v39, v35, s5, -v36
	v_rndne_f32_e32 v40, v36
	v_fmac_f32_e32 v39, 0x32a5705f, v35
	v_sub_f32_e32 v36, v36, v40
	v_add_f32_e32 v36, v36, v39
	v_exp_f32_e32 v36, v36
	v_cvt_i32_f32_e32 v39, v40
	v_cmp_ngt_f32_e32 vcc, s82, v35
	v_lshl_add_u64 v[112:113], v[112:113], 0, v[46:47]
	v_cndmask_b32_e64 v112, v233, v112, s[10:11]
	v_ldexp_f32 v36, v36, v39
	v_cndmask_b32_e32 v36, 0, v36, vcc
	v_cmp_nlt_f32_e32 vcc, s77, v35
	v_lshl_add_u64 v[114:115], v[114:115], 0, v[46:47]
	v_cndmask_b32_e64 v114, v233, v114, s[12:13]
	v_cndmask_b32_e32 v35, v196, v36, vcc
	v_mov_b32_e32 v36, s87
	v_add_f32_e32 v39, v0, v35
	v_cndmask_b32_e64 v36, v36, v35, s[26:27]
	v_sub_f32_e32 v35, v37, v38
	v_mul_f32_e32 v37, 0x3fb8aa3b, v35
	v_cndmask_b32_e64 v0, v0, v39, s[26:27]
	v_fma_f32 v39, v35, s5, -v37
	v_rndne_f32_e32 v40, v37
	v_fmac_f32_e32 v39, 0x32a5705f, v35
	v_sub_f32_e32 v37, v37, v40
	v_add_f32_e32 v37, v37, v39
	v_exp_f32_e32 v37, v37
	v_cvt_i32_f32_e32 v39, v40
	v_cmp_ngt_f32_e32 vcc, s82, v35
	v_lshl_add_u64 v[116:117], v[116:117], 0, v[46:47]
	v_cndmask_b32_e64 v116, v233, v116, s[14:15]
	v_ldexp_f32 v37, v37, v39
	v_cndmask_b32_e32 v37, 0, v37, vcc
	v_cmp_nlt_f32_e32 vcc, s77, v35
	v_mov_b32_e32 v35, s87
	v_lshl_add_u64 v[118:119], v[118:119], 0, v[46:47]
	v_cndmask_b32_e32 v37, v196, v37, vcc
	v_add_f32_e32 v39, v0, v37
	v_cndmask_b32_e64 v35, v35, v37, s[28:29]
	v_cndmask_b32_e64 v37, v0, v39, s[28:29]
	v_sub_f32_e32 v0, v101, v38
	v_mul_f32_e32 v39, 0x3fb8aa3b, v0
	v_fma_f32 v40, v0, s5, -v39
	v_rndne_f32_e32 v41, v39
	v_fmac_f32_e32 v40, 0x32a5705f, v0
	v_sub_f32_e32 v39, v39, v41
	v_add_f32_e32 v39, v39, v40
	v_exp_f32_e32 v39, v39
	v_cvt_i32_f32_e32 v40, v41
	v_cmp_ngt_f32_e32 vcc, s82, v0
	v_cndmask_b32_e64 v118, v233, v118, s[16:17]
	v_cvt_pk_f16_f32 v35, v36, v35
	v_ldexp_f32 v39, v39, v40
	v_cndmask_b32_e32 v39, 0, v39, vcc
	v_cmp_nlt_f32_e32 vcc, s77, v0
	v_cvt_pk_f16_f32 v34, v34, v1
	v_add_u32_e32 v50, v185, v208
	v_cndmask_b32_e32 v39, v196, v39, vcc
	v_cmp_le_f32_e32 vcc, s3, v0
	s_add_i32 s40, s40, 1
	s_add_i32 s36, s36, 64
	v_cndmask_b32_e32 v0, 0, v39, vcc
	v_fmac_f32_e32 v37, v100, v0
	v_cvt_f16_f32_e32 v0, v0
	v_cmp_lt_i32_e32 vcc, s40, v158
	s_and_b64 vcc, exec, vcc
	v_mul_u32_u24_e32 v0, 0x10001, v0
	v_pk_mul_f16 v40, v190, v0
	v_pk_mul_f16 v39, v189, v0
	;; [unrolled: 1-line block ×32, first 2 shown]
	v_mov_b32_e32 v0, s91
	v_lshl_add_u64 v[162:163], v[80:81], 2, v[106:107]
	v_lshl_add_u64 v[106:107], v[82:83], 2, v[106:107]
	v_cndmask_b32_e64 v109, v0, v109, s[6:7]
	v_lshl_add_u64 v[106:107], v[106:107], 0, v[46:47]
	v_cndmask_b32_e64 v165, v0, v107, s[20:21]
	v_cndmask_b32_e64 v164, v233, v106, s[20:21]
	flat_load_dwordx4 v[106:109], v[108:109]
	v_cndmask_b32_e64 v111, v0, v111, s[8:9]
	v_cndmask_b32_e64 v113, v0, v113, s[10:11]
	;; [unrolled: 1-line block ×5, first 2 shown]
	v_lshl_add_u64 v[162:163], v[162:163], 0, v[46:47]
	v_cndmask_b32_e64 v163, v0, v163, s[18:19]
	v_cndmask_b32_e64 v162, v233, v162, s[18:19]
	s_waitcnt vmcnt(0) lgkmcnt(0)
	ds_write_b128 v181, v[106:109]
	flat_load_dwordx4 v[106:109], v[110:111]
	s_waitcnt vmcnt(0) lgkmcnt(0)
	ds_write_b128 v249, v[106:109]
	flat_load_dwordx4 v[106:109], v[112:113]
	;; [unrolled: 3-line block ×7, first 2 shown]
	s_waitcnt vmcnt(0) lgkmcnt(0)
	ds_write_b128 v236, v[106:109]
	s_waitcnt lgkmcnt(0)
	s_barrier
	ds_read_u16 v0, v186 offset:528
	ds_read_u16 v1, v186 offset:1056
	ds_read_u16 v36, v186
	ds_read_u16 v46, v186 offset:32
	v_cvt_f32_f16_sdwa v108, v173 dst_sel:DWORD dst_unused:UNUSED_PAD src0_sel:WORD_1
	s_waitcnt lgkmcnt(1)
	v_perm_b32 v106, v0, v36, s86
	ds_read_u16 v0, v50
	ds_read_u16 v51, v50 offset:32
	v_cvt_f32_f16_e32 v36, v39
	v_cvt_f32_f16_sdwa v39, v39 dst_sel:DWORD dst_unused:UNUSED_PAD src0_sel:WORD_1
	s_waitcnt lgkmcnt(1)
	v_perm_b32 v107, v0, v1, s86
	v_cvt_f32_f16_e32 v0, v40
	v_cvt_f32_f16_sdwa v1, v40 dst_sel:DWORD dst_unused:UNUSED_PAD src0_sel:WORD_1
	v_accvgpr_write_b32 a2, v36
	v_accvgpr_write_b32 a3, v39
	;; [unrolled: 1-line block ×3, first 2 shown]
	ds_read_u16 v0, v186 offset:560
	ds_read_u16 v87, v186 offset:1088
	v_accvgpr_write_b32 a1, v1
	s_nop 1
	v_mfma_f32_16x16x16_f16 a[0:3], v[106:107], v[34:35], a[0:3]
	s_waitcnt lgkmcnt(1)
	v_perm_b32 v106, v0, v46, s86
	s_waitcnt lgkmcnt(0)
	v_perm_b32 v107, v51, v87, s86
	v_cvt_f32_f16_e32 v0, v127
	v_cvt_f32_f16_sdwa v46, v127 dst_sel:DWORD dst_unused:UNUSED_PAD src0_sel:WORD_1
	v_cvt_f32_f16_e32 v51, v41
	v_cvt_f32_f16_sdwa v41, v41 dst_sel:DWORD dst_unused:UNUSED_PAD src0_sel:WORD_1
	v_accvgpr_read_b32 v1, a0
	v_accvgpr_read_b32 v36, a1
	;; [unrolled: 1-line block ×4, first 2 shown]
	v_accvgpr_write_b32 a0, v0
	v_accvgpr_write_b32 a1, v46
	;; [unrolled: 1-line block ×4, first 2 shown]
	s_nop 1
	v_mfma_f32_16x16x16_f16 a[0:3], v[106:107], v[34:35], a[0:3]
	ds_read_u16 v0, v186 offset:64
	ds_read_u16 v51, v186 offset:592
	;; [unrolled: 1-line block ×4, first 2 shown]
	s_waitcnt lgkmcnt(2)
	v_perm_b32 v106, v51, v0, s86
	v_cvt_f32_f16_e32 v0, v175
	s_waitcnt lgkmcnt(0)
	v_perm_b32 v107, v107, v87, s86
	v_cvt_f32_f16_sdwa v51, v175 dst_sel:DWORD dst_unused:UNUSED_PAD src0_sel:WORD_1
	v_cvt_f32_f16_e32 v87, v173
	v_accvgpr_read_b32 v41, a0
	v_accvgpr_read_b32 v46, a1
	;; [unrolled: 1-line block ×4, first 2 shown]
	v_accvgpr_write_b32 a0, v0
	v_accvgpr_write_b32 a1, v51
	;; [unrolled: 1-line block ×4, first 2 shown]
	v_cvt_f32_f16_sdwa v108, v171 dst_sel:DWORD dst_unused:UNUSED_PAD src0_sel:WORD_1
	v_cvt_pk_f16_f32 v176, v127, v176
	v_mfma_f32_16x16x16_f16 a[0:3], v[106:107], v[34:35], a[0:3]
	ds_read_u16 v0, v186 offset:96
	ds_read_u16 v51, v186 offset:624
	;; [unrolled: 1-line block ×4, first 2 shown]
	s_waitcnt lgkmcnt(2)
	v_perm_b32 v106, v51, v0, s86
	v_cvt_f32_f16_e32 v0, v172
	s_waitcnt lgkmcnt(0)
	v_perm_b32 v107, v107, v87, s86
	v_cvt_f32_f16_sdwa v51, v172 dst_sel:DWORD dst_unused:UNUSED_PAD src0_sel:WORD_1
	v_cvt_f32_f16_e32 v87, v171
	v_accvgpr_read_b32 v173, a0
	v_accvgpr_read_b32 v175, a1
	;; [unrolled: 1-line block ×4, first 2 shown]
	v_accvgpr_write_b32 a0, v0
	v_accvgpr_write_b32 a1, v51
	;; [unrolled: 1-line block ×4, first 2 shown]
	v_cvt_f32_f16_sdwa v108, v169 dst_sel:DWORD dst_unused:UNUSED_PAD src0_sel:WORD_1
	v_cvt_pk_f16_f32 v175, v173, v175
	v_mfma_f32_16x16x16_f16 a[0:3], v[106:107], v[34:35], a[0:3]
	ds_read_u16 v0, v186 offset:128
	ds_read_u16 v51, v186 offset:656
	;; [unrolled: 1-line block ×4, first 2 shown]
	v_cvt_pk_f16_f32 v173, v178, v189
	v_cvt_pk_f16_f32 v178, v41, v46
	s_waitcnt lgkmcnt(2)
	v_perm_b32 v106, v51, v0, s86
	v_cvt_f32_f16_e32 v0, v170
	s_waitcnt lgkmcnt(0)
	v_perm_b32 v107, v107, v87, s86
	v_cvt_f32_f16_sdwa v51, v170 dst_sel:DWORD dst_unused:UNUSED_PAD src0_sel:WORD_1
	v_cvt_f32_f16_e32 v87, v169
	v_accvgpr_read_b32 v171, a0
	v_accvgpr_read_b32 v172, a1
	;; [unrolled: 1-line block ×4, first 2 shown]
	v_accvgpr_write_b32 a0, v0
	v_accvgpr_write_b32 a1, v51
	;; [unrolled: 1-line block ×4, first 2 shown]
	v_cvt_f32_f16_sdwa v108, v167 dst_sel:DWORD dst_unused:UNUSED_PAD src0_sel:WORD_1
	v_cvt_pk_f16_f32 v172, v171, v172
	v_mfma_f32_16x16x16_f16 a[0:3], v[106:107], v[34:35], a[0:3]
	ds_read_u16 v0, v186 offset:160
	ds_read_u16 v51, v186 offset:688
	;; [unrolled: 1-line block ×4, first 2 shown]
	v_cvt_pk_f16_f32 v171, v190, v191
	v_cvt_pk_f16_f32 v190, v1, v36
	s_waitcnt lgkmcnt(2)
	v_perm_b32 v106, v51, v0, s86
	v_cvt_f32_f16_e32 v0, v168
	s_waitcnt lgkmcnt(0)
	v_perm_b32 v107, v107, v87, s86
	v_cvt_f32_f16_sdwa v51, v168 dst_sel:DWORD dst_unused:UNUSED_PAD src0_sel:WORD_1
	v_cvt_f32_f16_e32 v87, v167
	v_accvgpr_read_b32 v169, a0
	v_accvgpr_read_b32 v170, a1
	;; [unrolled: 1-line block ×4, first 2 shown]
	v_accvgpr_write_b32 a0, v0
	v_accvgpr_write_b32 a1, v51
	;; [unrolled: 1-line block ×4, first 2 shown]
	v_cvt_pk_f16_f32 v170, v169, v170
	v_cvt_pk_f16_f32 v169, v192, v212
	v_mfma_f32_16x16x16_f16 a[0:3], v[106:107], v[34:35], a[0:3]
	ds_read_u16 v0, v186 offset:192
	ds_read_u16 v51, v186 offset:720
	;; [unrolled: 1-line block ×4, first 2 shown]
	v_cvt_pk_f16_f32 v189, v39, v40
	s_waitcnt lgkmcnt(2)
	v_perm_b32 v106, v51, v0, s86
	v_cvt_f32_f16_e32 v0, v166
	s_waitcnt lgkmcnt(0)
	v_perm_b32 v107, v107, v87, s86
	v_cvt_f32_f16_sdwa v51, v166 dst_sel:DWORD dst_unused:UNUSED_PAD src0_sel:WORD_1
	v_cvt_f32_f16_e32 v87, v105
	v_cvt_f32_f16_sdwa v105, v105 dst_sel:DWORD dst_unused:UNUSED_PAD src0_sel:WORD_1
	v_accvgpr_read_b32 v167, a0
	v_accvgpr_read_b32 v168, a1
	;; [unrolled: 1-line block ×4, first 2 shown]
	v_accvgpr_write_b32 a0, v0
	v_accvgpr_write_b32 a1, v51
	;; [unrolled: 1-line block ×4, first 2 shown]
	ds_read_u16 v0, v186 offset:224
	ds_read_u16 v51, v186 offset:752
	;; [unrolled: 1-line block ×4, first 2 shown]
	v_mfma_f32_16x16x16_f16 a[0:3], v[106:107], v[34:35], a[0:3]
	v_cvt_pk_f16_f32 v168, v167, v168
	s_waitcnt lgkmcnt(2)
	v_perm_b32 v106, v51, v0, s86
	v_cvt_f32_f16_e32 v0, v103
	s_waitcnt lgkmcnt(0)
	v_perm_b32 v107, v105, v87, s86
	v_cvt_f32_f16_sdwa v51, v103 dst_sel:DWORD dst_unused:UNUSED_PAD src0_sel:WORD_1
	v_cvt_f32_f16_e32 v87, v102
	v_cvt_f32_f16_sdwa v102, v102 dst_sel:DWORD dst_unused:UNUSED_PAD src0_sel:WORD_1
	v_cvt_pk_f16_f32 v167, v213, v214
	v_accvgpr_read_b32 v165, a0
	v_accvgpr_read_b32 v166, a1
	;; [unrolled: 1-line block ×3, first 2 shown]
	v_accvgpr_write_b32 a0, v0
	v_accvgpr_write_b32 a1, v51
	;; [unrolled: 1-line block ×3, first 2 shown]
	ds_read_u16 v0, v186 offset:256
	ds_read_u16 v51, v186 offset:784
	;; [unrolled: 1-line block ×4, first 2 shown]
	v_accvgpr_read_b32 v216, a3
	v_accvgpr_write_b32 a3, v102
	s_waitcnt lgkmcnt(2)
	v_perm_b32 v102, v51, v0, s86
	v_cvt_f32_f16_e32 v0, v101
	v_mfma_f32_16x16x16_f16 a[0:3], v[106:107], v[34:35], a[0:3]
	s_waitcnt lgkmcnt(0)
	v_perm_b32 v103, v103, v87, s86
	v_cvt_f32_f16_sdwa v51, v101 dst_sel:DWORD dst_unused:UNUSED_PAD src0_sel:WORD_1
	v_cvt_f32_f16_e32 v87, v100
	v_cvt_f32_f16_sdwa v100, v100 dst_sel:DWORD dst_unused:UNUSED_PAD src0_sel:WORD_1
	v_cvt_pk_f16_f32 v166, v165, v166
	v_cvt_pk_f16_f32 v165, v215, v216
	s_nop 0
	v_accvgpr_read_b32 v163, a0
	v_accvgpr_read_b32 v164, a1
	;; [unrolled: 1-line block ×3, first 2 shown]
	v_accvgpr_write_b32 a0, v0
	v_accvgpr_write_b32 a1, v51
	;; [unrolled: 1-line block ×3, first 2 shown]
	ds_read_u16 v0, v186 offset:288
	ds_read_u16 v51, v186 offset:816
	;; [unrolled: 1-line block ×4, first 2 shown]
	v_accvgpr_read_b32 v218, a3
	v_accvgpr_write_b32 a3, v100
	s_waitcnt lgkmcnt(2)
	v_perm_b32 v100, v51, v0, s86
	v_cvt_f32_f16_e32 v0, v99
	v_mfma_f32_16x16x16_f16 a[0:3], v[102:103], v[34:35], a[0:3]
	s_waitcnt lgkmcnt(0)
	v_perm_b32 v101, v101, v87, s86
	v_cvt_f32_f16_sdwa v51, v99 dst_sel:DWORD dst_unused:UNUSED_PAD src0_sel:WORD_1
	v_cvt_f32_f16_e32 v87, v98
	v_cvt_f32_f16_sdwa v98, v98 dst_sel:DWORD dst_unused:UNUSED_PAD src0_sel:WORD_1
	v_cvt_pk_f16_f32 v164, v163, v164
	v_cvt_pk_f16_f32 v163, v217, v218
	s_nop 0
	v_accvgpr_read_b32 v161, a0
	v_accvgpr_read_b32 v162, a1
	v_accvgpr_read_b32 v219, a2
	v_accvgpr_read_b32 v220, a3
	v_accvgpr_write_b32 a0, v0
	v_accvgpr_write_b32 a1, v51
	v_accvgpr_write_b32 a2, v87
	v_accvgpr_write_b32 a3, v98
	v_cvt_pk_f16_f32 v162, v161, v162
	v_cvt_pk_f16_f32 v161, v219, v220
	v_mfma_f32_16x16x16_f16 a[0:3], v[100:101], v[34:35], a[0:3]
	ds_read_u16 v0, v186 offset:320
	ds_read_u16 v51, v186 offset:848
	ds_read_u16 v87, v186 offset:1376
	ds_read_u16 v101, v50 offset:320
	s_waitcnt lgkmcnt(2)
	v_perm_b32 v100, v51, v0, s86
	v_cvt_f32_f16_e32 v0, v97
	s_waitcnt lgkmcnt(0)
	v_perm_b32 v101, v101, v87, s86
	v_cvt_f32_f16_sdwa v51, v97 dst_sel:DWORD dst_unused:UNUSED_PAD src0_sel:WORD_1
	v_cvt_f32_f16_e32 v87, v96
	v_cvt_f32_f16_sdwa v96, v96 dst_sel:DWORD dst_unused:UNUSED_PAD src0_sel:WORD_1
	v_accvgpr_read_b32 v98, a0
	v_accvgpr_read_b32 v99, a1
	v_accvgpr_read_b32 v221, a2
	v_accvgpr_read_b32 v222, a3
	v_accvgpr_write_b32 a0, v0
	v_accvgpr_write_b32 a1, v51
	v_accvgpr_write_b32 a2, v87
	v_accvgpr_write_b32 a3, v96
	v_cvt_pk_f16_f32 v99, v98, v99
	v_cvt_pk_f16_f32 v98, v221, v222
	v_mfma_f32_16x16x16_f16 a[0:3], v[100:101], v[34:35], a[0:3]
	ds_read_u16 v0, v186 offset:352
	ds_read_u16 v51, v186 offset:880
	ds_read_u16 v87, v186 offset:1408
	ds_read_u16 v101, v50 offset:352
	s_waitcnt lgkmcnt(2)
	v_perm_b32 v100, v51, v0, s86
	v_cvt_f32_f16_e32 v0, v95
	s_waitcnt lgkmcnt(0)
	v_perm_b32 v101, v101, v87, s86
	v_cvt_f32_f16_sdwa v51, v95 dst_sel:DWORD dst_unused:UNUSED_PAD src0_sel:WORD_1
	v_cvt_f32_f16_e32 v87, v94
	v_cvt_f32_f16_sdwa v94, v94 dst_sel:DWORD dst_unused:UNUSED_PAD src0_sel:WORD_1
	;; [unrolled: 23-line block ×3, first 2 shown]
	v_accvgpr_read_b32 v94, a0
	v_accvgpr_read_b32 v95, a1
	;; [unrolled: 1-line block ×4, first 2 shown]
	v_accvgpr_write_b32 a0, v0
	v_accvgpr_write_b32 a1, v51
	;; [unrolled: 1-line block ×4, first 2 shown]
	v_cvt_pk_f16_f32 v95, v94, v95
	v_cvt_pk_f16_f32 v94, v225, v230
	v_mfma_f32_16x16x16_f16 a[0:3], v[100:101], v[34:35], a[0:3]
	ds_read_u16 v0, v186 offset:416
	ds_read_u16 v51, v186 offset:944
	;; [unrolled: 1-line block ×4, first 2 shown]
	s_waitcnt lgkmcnt(2)
	v_perm_b32 v100, v51, v0, s86
	v_cvt_f32_f16_e32 v0, v91
	s_waitcnt lgkmcnt(0)
	v_perm_b32 v101, v101, v87, s86
	v_cvt_f32_f16_sdwa v51, v91 dst_sel:DWORD dst_unused:UNUSED_PAD src0_sel:WORD_1
	v_cvt_f32_f16_e32 v87, v90
	v_accvgpr_read_b32 v92, a0
	v_accvgpr_read_b32 v93, a1
	;; [unrolled: 1-line block ×3, first 2 shown]
	v_cvt_f32_f16_sdwa v90, v90 dst_sel:DWORD dst_unused:UNUSED_PAD src0_sel:WORD_1
	v_accvgpr_write_b32 a0, v0
	v_accvgpr_write_b32 a1, v51
	;; [unrolled: 1-line block ×3, first 2 shown]
	ds_read_u16 v0, v186 offset:448
	ds_read_u16 v51, v186 offset:976
	;; [unrolled: 1-line block ×4, first 2 shown]
	v_accvgpr_read_b32 v232, a3
	v_accvgpr_write_b32 a3, v90
	s_waitcnt lgkmcnt(2)
	v_perm_b32 v102, v51, v0, s86
	v_cvt_f32_f16_e32 v0, v89
	v_mfma_f32_16x16x16_f16 a[0:3], v[100:101], v[34:35], a[0:3]
	s_waitcnt lgkmcnt(0)
	v_perm_b32 v103, v103, v87, s86
	v_cvt_f32_f16_sdwa v51, v89 dst_sel:DWORD dst_unused:UNUSED_PAD src0_sel:WORD_1
	v_cvt_f32_f16_e32 v87, v88
	v_cvt_f32_f16_sdwa v88, v88 dst_sel:DWORD dst_unused:UNUSED_PAD src0_sel:WORD_1
	v_cvt_pk_f16_f32 v93, v92, v93
	v_cvt_pk_f16_f32 v92, v231, v232
	s_nop 0
	v_accvgpr_read_b32 v90, a0
	v_accvgpr_read_b32 v91, a1
	;; [unrolled: 1-line block ×3, first 2 shown]
	v_accvgpr_write_b32 a0, v0
	v_accvgpr_write_b32 a1, v51
	;; [unrolled: 1-line block ×3, first 2 shown]
	ds_read_u16 v0, v186 offset:480
	ds_read_u16 v51, v186 offset:1008
	;; [unrolled: 1-line block ×4, first 2 shown]
	v_accvgpr_read_b32 v101, a3
	v_accvgpr_write_b32 a3, v88
	s_waitcnt lgkmcnt(2)
	v_perm_b32 v106, v51, v0, s86
	v_cvt_f32_f16_e32 v0, v104
	v_mfma_f32_16x16x16_f16 a[0:3], v[102:103], v[34:35], a[0:3]
	s_waitcnt lgkmcnt(0)
	v_perm_b32 v107, v50, v87, s86
	v_cvt_f32_f16_sdwa v50, v104 dst_sel:DWORD dst_unused:UNUSED_PAD src0_sel:WORD_1
	v_cvt_f32_f16_e32 v51, v86
	v_cvt_f32_f16_sdwa v86, v86 dst_sel:DWORD dst_unused:UNUSED_PAD src0_sel:WORD_1
	v_cvt_pk_f16_f32 v91, v90, v91
	v_cvt_pk_f16_f32 v90, v100, v101
	s_barrier
	v_accvgpr_read_b32 v88, a0
	v_accvgpr_read_b32 v89, a1
	;; [unrolled: 1-line block ×4, first 2 shown]
	v_accvgpr_write_b32 a0, v0
	v_accvgpr_write_b32 a1, v50
	;; [unrolled: 1-line block ×4, first 2 shown]
	v_cvt_pk_f16_f32 v89, v88, v89
	v_cvt_pk_f16_f32 v88, v102, v103
	v_mfma_f32_16x16x16_f16 a[0:3], v[106:107], v[34:35], a[0:3]
	s_nop 7
	v_accvgpr_read_b32 v34, a0
	v_accvgpr_read_b32 v35, a1
	v_accvgpr_read_b32 v87, a2
	v_accvgpr_read_b32 v104, a3
	v_cvt_pk_f16_f32 v86, v34, v35
	v_cvt_pk_f16_f32 v87, v87, v104
	s_cbranch_vccz .LBB30_67
; %bb.63:                               ;   in Loop: Header=BB30_43 Depth=2
	v_mov_b32_e32 v100, v37
	v_mov_b32_e32 v101, v38
	s_andn2_b64 vcc, exec, s[34:35]
	s_ashr_i32 s37, s36, 31
	s_cbranch_vccz .LBB30_40
	s_branch .LBB30_43
.LBB30_64:                              ;   in Loop: Header=BB30_43 Depth=2
                                        ; implicit-def: $vgpr34_vgpr35_vgpr36_vgpr37
	s_branch .LBB30_61
.LBB30_65:                              ;   in Loop: Header=BB30_14 Depth=1
	s_cbranch_execz .LBB30_13
	s_branch .LBB30_181
.LBB30_66:                              ;   in Loop: Header=BB30_14 Depth=1
	v_mov_b32_e32 v38, 0xfeffffff
	v_mov_b32_e32 v37, 0
	;; [unrolled: 1-line block ×34, first 2 shown]
.LBB30_67:                              ;   in Loop: Header=BB30_14 Depth=1
	s_lshl_b32 s84, s40, 6
	v_readlane_b32 s34, v255, 4
	v_cmp_eq_u64_e32 vcc, 0, v[128:129]
	s_mov_b32 s57, s85
	s_sub_i32 s56, s34, s84
	s_ashr_i32 s85, s84, 31
	v_readlane_b32 s35, v255, 5
	s_cbranch_vccnz .LBB30_73
; %bb.68:                               ;   in Loop: Header=BB30_14 Depth=1
	v_cmp_le_i32_e32 vcc, s56, v44
	s_and_saveexec_b64 s[34:35], vcc
	s_xor_b64 s[34:35], exec, s[34:35]
	s_cbranch_execz .LBB30_70
; %bb.69:                               ;   in Loop: Header=BB30_14 Depth=1
	ds_write_b16 v207, v47 offset:33792
	ds_write_b16 v245, v47 offset:33792
                                        ; implicit-def: $vgpr155
                                        ; implicit-def: $vgpr156
                                        ; implicit-def: $vgpr157
.LBB30_70:                              ;   in Loop: Header=BB30_14 Depth=1
	s_or_saveexec_b64 s[34:35], s[34:35]
	v_mov_b32_e32 v1, 0
	v_mov_b32_e32 v34, 0
	s_xor_b64 exec, exec, s[34:35]
	s_cbranch_execz .LBB30_72
; %bb.71:                               ;   in Loop: Header=BB30_14 Depth=1
	v_mul_hi_u32 v0, s94, v193
	v_add_u32_e32 v0, v193, v0
	s_lshl_b64 s[36:37], s[84:85], 1
	v_lshrrev_b32_e32 v0, s95, v0
	v_mul_hi_u32 v1, s94, v155
	v_lshl_add_u64 v[34:35], v[128:129], 0, s[36:37]
	v_mul_lo_u32 v0, v0, s76
	v_readlane_b32 s36, v255, 48
	v_add_u32_e32 v1, v155, v1
	v_lshlrev_b32_e32 v46, 1, v44
	v_sub_u32_e32 v0, v193, v0
	v_readlane_b32 s37, v255, 49
	s_mov_b32 s38, s36
	v_lshrrev_b32_e32 v1, s95, v1
	v_lshl_add_u64 v[34:35], v[34:35], 0, v[46:47]
	v_mad_i64_i32 v[40:41], s[36:37], v0, s38, 0
	v_mul_lo_u32 v1, v1, s76
	v_lshl_add_u64 v[40:41], v[40:41], 1, v[34:35]
	v_sub_u32_e32 v1, v155, v1
	global_load_ushort v0, v[40:41], off
	v_mad_i64_i32 v[40:41], s[36:37], v1, s38, 0
	v_lshl_add_u64 v[40:41], v[40:41], 1, v[34:35]
	global_load_ushort v1, v[40:41], off
	s_waitcnt vmcnt(1)
	ds_write_b16 v207, v0 offset:33792
	s_waitcnt vmcnt(0)
	ds_write_b16 v245, v1 offset:33792
	v_mul_hi_u32 v0, s94, v156
	v_add_u32_e32 v0, v156, v0
	v_lshrrev_b32_e32 v0, s95, v0
	v_mul_lo_u32 v0, v0, s76
	v_sub_u32_e32 v0, v156, v0
	v_mad_i64_i32 v[40:41], s[36:37], v0, s38, 0
	v_mul_hi_u32 v0, s94, v157
	v_add_u32_e32 v0, v157, v0
	v_lshrrev_b32_e32 v0, s95, v0
	v_mul_lo_u32 v0, v0, s76
	v_lshl_add_u64 v[40:41], v[40:41], 1, v[34:35]
	v_sub_u32_e32 v0, v157, v0
	global_load_ushort v1, v[40:41], off
	v_mad_i64_i32 v[40:41], s[36:37], v0, s38, 0
	v_lshl_add_u64 v[34:35], v[40:41], 1, v[34:35]
	global_load_ushort v34, v[34:35], off
.LBB30_72:                              ;   in Loop: Header=BB30_14 Depth=1
	s_or_b64 exec, exec, s[34:35]
	s_waitcnt vmcnt(1)
	ds_write_b16 v246, v1 offset:33792
	s_waitcnt vmcnt(0)
	ds_write_b16 v247, v34 offset:33792
.LBB30_73:                              ;   in Loop: Header=BB30_14 Depth=1
	s_mul_hi_i32 s35, s84, s92
	s_mul_i32 s34, s84, s92
	s_lshl_b64 s[34:35], s[34:35], 2
	v_lshl_add_u64 v[34:35], v[130:131], 0, s[34:35]
	v_lshl_add_u64 v[40:41], v[52:53], 2, v[34:35]
	v_lshlrev_b32_e32 v46, 2, v48
	v_lshl_add_u64 v[40:41], v[40:41], 0, v[46:47]
	v_mov_b32_e32 v0, s91
	v_cmp_gt_i32_e64 s[34:35], s56, v180
	scratch_store_dwordx4 off, a[4:7], off
	v_accvgpr_read_b32 v1, a60
	v_cndmask_b32_e64 v41, v0, v41, s[34:35]
	v_cndmask_b32_e64 v40, v233, v40, s[34:35]
	flat_load_dwordx4 v[100:103], v[40:41]
	v_lshl_add_u64 v[40:41], v[54:55], 2, v[34:35]
	v_lshl_add_u64 v[40:41], v[40:41], 0, v[46:47]
	v_cmp_gt_i32_e64 s[36:37], s56, v1
	v_accvgpr_read_b32 v1, a61
	v_cmp_gt_i32_e64 s[38:39], s56, v1
	v_cndmask_b32_e64 v41, v0, v41, s[36:37]
	v_cndmask_b32_e64 v40, v233, v40, s[36:37]
	v_cmp_gt_i32_e64 s[40:41], s56, v252
	v_cmp_gt_i32_e64 s[42:43], s56, v254
	;; [unrolled: 1-line block ×5, first 2 shown]
	s_waitcnt vmcnt(0) lgkmcnt(0)
	ds_write_b128 v181, v[100:103]
	flat_load_dwordx4 v[100:103], v[40:41]
	v_lshl_add_u64 v[40:41], v[56:57], 2, v[34:35]
	v_lshl_add_u64 v[40:41], v[40:41], 0, v[46:47]
	v_cndmask_b32_e64 v41, v0, v41, s[38:39]
	v_cndmask_b32_e64 v40, v233, v40, s[38:39]
	s_waitcnt vmcnt(0) lgkmcnt(0)
	ds_write_b128 v249, v[100:103]
	flat_load_dwordx4 v[100:103], v[40:41]
	v_lshl_add_u64 v[40:41], v[58:59], 2, v[34:35]
	v_lshl_add_u64 v[40:41], v[40:41], 0, v[46:47]
	v_cndmask_b32_e64 v41, v0, v41, s[40:41]
	v_cndmask_b32_e64 v40, v233, v40, s[40:41]
	;; [unrolled: 7-line block ×5, first 2 shown]
	v_lshl_add_u64 v[34:35], v[66:67], 2, v[34:35]
	v_lshl_add_u64 v[34:35], v[34:35], 0, v[46:47]
	v_cndmask_b32_e64 v35, v0, v35, s[48:49]
	v_cndmask_b32_e64 v34, v233, v34, s[48:49]
	s_waitcnt vmcnt(0) lgkmcnt(0)
	ds_write_b128 v240, v[100:103]
	flat_load_dwordx4 v[100:103], v[40:41]
	s_waitcnt vmcnt(0) lgkmcnt(0)
	ds_write_b128 v238, v[100:103]
	flat_load_dwordx4 v[100:103], v[34:35]
	s_waitcnt vmcnt(0) lgkmcnt(0)
	ds_write_b128 v236, v[100:103]
	s_waitcnt lgkmcnt(0)
	s_barrier
	ds_read2_b64 v[100:103], v182 offset1:4
	s_waitcnt lgkmcnt(0)
	v_mfma_f32_16x16x16_f16 a[0:3], v[100:101], v[30:31], 0
	v_mfma_f32_16x16x16_f16 a[0:3], v[102:103], v[32:33], a[0:3]
	ds_read2_b64 v[30:33], v182 offset0:8 offset1:12
	s_waitcnt lgkmcnt(0)
	v_mfma_f32_16x16x16_f16 a[0:3], v[30:31], v[26:27], a[0:3]
	v_mfma_f32_16x16x16_f16 a[0:3], v[32:33], v[28:29], a[0:3]
	ds_read2_b64 v[26:29], v182 offset0:16 offset1:20
	;; [unrolled: 4-line block ×7, first 2 shown]
	s_waitcnt lgkmcnt(0)
	s_barrier
	v_mfma_f32_16x16x16_f16 a[0:3], v[6:7], v[2:3], a[0:3]
                                        ; implicit-def: $vgpr6
	v_mfma_f32_16x16x16_f16 a[0:3], v[8:9], v[4:5], a[0:3]
	s_nop 7
	v_accvgpr_read_b32 v1, a0
	v_cmp_nlt_f32_e64 s[50:51], |v1|, s2
	s_and_saveexec_b64 s[54:55], s[50:51]
	s_xor_b64 s[50:51], exec, s[54:55]
	s_cbranch_execz .LBB30_75
; %bb.74:                               ;   in Loop: Header=BB30_14 Depth=1
	v_add_f32_e64 v0, |v1|, |v1|
	v_mul_f32_e32 v2, 0x3fb8aa3b, v0
	v_rndne_f32_e32 v3, v2
	v_sub_f32_e32 v4, v2, v3
	v_fma_f32 v2, v0, s5, -v2
	v_fmac_f32_e32 v2, 0x32a5705f, v0
	v_add_f32_e32 v2, v4, v2
	v_cvt_i32_f32_e32 v3, v3
	v_exp_f32_e32 v2, v2
	v_cmp_ngt_f32_e32 vcc, s82, v0
	v_ldexp_f32 v2, v2, v3
	s_nop 0
	v_cndmask_b32_e32 v2, 0, v2, vcc
	v_cmp_nlt_f32_e32 vcc, s77, v0
	s_nop 1
	v_cndmask_b32_e32 v0, v196, v2, vcc
	v_add_f32_e32 v0, 1.0, v0
	v_rcp_f32_e32 v0, v0
	s_nop 0
	v_fma_f32 v6, v0, -2.0, 1.0
.LBB30_75:                              ;   in Loop: Header=BB30_14 Depth=1
	s_or_saveexec_b64 s[50:51], s[50:51]
	s_mov_b32 s85, s57
	s_xor_b64 exec, exec, s[50:51]
; %bb.76:                               ;   in Loop: Header=BB30_14 Depth=1
	v_mul_f32_e32 v0, v1, v1
	v_fmamk_f32 v2, v0, 0xbbbac73d, v197
	v_fmaak_f32 v2, v0, v2, 0xbd5c1c4e
	v_fmaak_f32 v2, v0, v2, 0x3e088382
	;; [unrolled: 1-line block ×3, first 2 shown]
	v_mul_f32_e64 v2, |v1|, v2
	v_fma_f32 v6, v0, v2, |v1|
; %bb.77:                               ;   in Loop: Header=BB30_14 Depth=1
	s_or_b64 exec, exec, s[50:51]
	v_accvgpr_read_b32 v5, a3
	v_accvgpr_read_b32 v3, a1
	;; [unrolled: 1-line block ×4, first 2 shown]
	v_cmp_nlt_f32_e64 s[50:51], |v3|, s2
                                        ; implicit-def: $vgpr2
	s_and_saveexec_b64 s[54:55], s[50:51]
	s_xor_b64 s[50:51], exec, s[54:55]
	s_cbranch_execz .LBB30_79
; %bb.78:                               ;   in Loop: Header=BB30_14 Depth=1
	v_add_f32_e64 v0, |v3|, |v3|
	v_mul_f32_e32 v2, 0x3fb8aa3b, v0
	v_rndne_f32_e32 v7, v2
	v_sub_f32_e32 v8, v2, v7
	v_fma_f32 v2, v0, s5, -v2
	v_fmac_f32_e32 v2, 0x32a5705f, v0
	v_add_f32_e32 v2, v8, v2
	v_cvt_i32_f32_e32 v7, v7
	v_exp_f32_e32 v2, v2
	v_cmp_ngt_f32_e32 vcc, s82, v0
	v_ldexp_f32 v2, v2, v7
	s_nop 0
	v_cndmask_b32_e32 v2, 0, v2, vcc
	v_cmp_nlt_f32_e32 vcc, s77, v0
	s_nop 1
	v_cndmask_b32_e32 v0, v196, v2, vcc
	v_add_f32_e32 v0, 1.0, v0
	v_rcp_f32_e32 v0, v0
	s_nop 0
	v_fma_f32 v2, v0, -2.0, 1.0
.LBB30_79:                              ;   in Loop: Header=BB30_14 Depth=1
	s_andn2_saveexec_b64 s[50:51], s[50:51]
; %bb.80:                               ;   in Loop: Header=BB30_14 Depth=1
	v_mul_f32_e32 v0, v3, v3
	v_fmamk_f32 v2, v0, 0xbbbac73d, v197
	v_fmaak_f32 v2, v0, v2, 0xbd5c1c4e
	v_fmaak_f32 v2, v0, v2, 0x3e088382
	;; [unrolled: 1-line block ×3, first 2 shown]
	v_mul_f32_e64 v2, |v3|, v2
	v_fma_f32 v2, v0, v2, |v3|
; %bb.81:                               ;   in Loop: Header=BB30_14 Depth=1
	s_or_b64 exec, exec, s[50:51]
	v_cmp_nlt_f32_e64 s[50:51], |v4|, s2
                                        ; implicit-def: $vgpr8
	s_and_saveexec_b64 s[54:55], s[50:51]
	s_xor_b64 s[50:51], exec, s[54:55]
	s_cbranch_execz .LBB30_83
; %bb.82:                               ;   in Loop: Header=BB30_14 Depth=1
	v_add_f32_e64 v0, |v4|, |v4|
	v_mul_f32_e32 v7, 0x3fb8aa3b, v0
	v_rndne_f32_e32 v8, v7
	v_sub_f32_e32 v9, v7, v8
	v_fma_f32 v7, v0, s5, -v7
	v_fmac_f32_e32 v7, 0x32a5705f, v0
	v_add_f32_e32 v7, v9, v7
	v_cvt_i32_f32_e32 v8, v8
	v_exp_f32_e32 v7, v7
	v_cmp_ngt_f32_e32 vcc, s82, v0
	v_ldexp_f32 v7, v7, v8
	s_nop 0
	v_cndmask_b32_e32 v7, 0, v7, vcc
	v_cmp_nlt_f32_e32 vcc, s77, v0
	s_nop 1
	v_cndmask_b32_e32 v0, v196, v7, vcc
	v_add_f32_e32 v0, 1.0, v0
	v_rcp_f32_e32 v0, v0
	s_nop 0
	v_fma_f32 v8, v0, -2.0, 1.0
.LBB30_83:                              ;   in Loop: Header=BB30_14 Depth=1
	s_andn2_saveexec_b64 s[50:51], s[50:51]
; %bb.84:                               ;   in Loop: Header=BB30_14 Depth=1
	v_mul_f32_e32 v0, v4, v4
	v_fmamk_f32 v7, v0, 0xbbbac73d, v197
	v_fmaak_f32 v7, v0, v7, 0xbd5c1c4e
	v_fmaak_f32 v7, v0, v7, 0x3e088382
	;; [unrolled: 1-line block ×3, first 2 shown]
	v_mul_f32_e64 v7, |v4|, v7
	v_fma_f32 v8, v0, v7, |v4|
; %bb.85:                               ;   in Loop: Header=BB30_14 Depth=1
	s_or_b64 exec, exec, s[50:51]
	v_cmp_nlt_f32_e64 s[50:51], |v5|, s2
                                        ; implicit-def: $vgpr9
	s_and_saveexec_b64 s[54:55], s[50:51]
	s_xor_b64 s[50:51], exec, s[54:55]
	s_cbranch_execz .LBB30_87
; %bb.86:                               ;   in Loop: Header=BB30_14 Depth=1
	v_add_f32_e64 v0, |v5|, |v5|
	v_mul_f32_e32 v7, 0x3fb8aa3b, v0
	v_rndne_f32_e32 v9, v7
	v_sub_f32_e32 v10, v7, v9
	v_fma_f32 v7, v0, s5, -v7
	v_fmac_f32_e32 v7, 0x32a5705f, v0
	v_add_f32_e32 v7, v10, v7
	v_cvt_i32_f32_e32 v9, v9
	v_exp_f32_e32 v7, v7
	v_cmp_ngt_f32_e32 vcc, s82, v0
	v_ldexp_f32 v7, v7, v9
	s_nop 0
	v_cndmask_b32_e32 v7, 0, v7, vcc
	v_cmp_nlt_f32_e32 vcc, s77, v0
	s_nop 1
	v_cndmask_b32_e32 v0, v196, v7, vcc
	v_add_f32_e32 v0, 1.0, v0
	v_rcp_f32_e32 v0, v0
	s_nop 0
	v_fma_f32 v9, v0, -2.0, 1.0
.LBB30_87:                              ;   in Loop: Header=BB30_14 Depth=1
	s_andn2_saveexec_b64 s[50:51], s[50:51]
; %bb.88:                               ;   in Loop: Header=BB30_14 Depth=1
	v_mul_f32_e32 v0, v5, v5
	v_fmamk_f32 v7, v0, 0xbbbac73d, v197
	v_fmaak_f32 v7, v0, v7, 0xbd5c1c4e
	v_fmaak_f32 v7, v0, v7, 0x3e088382
	;; [unrolled: 1-line block ×3, first 2 shown]
	v_mul_f32_e64 v7, |v5|, v7
	v_fma_f32 v9, v0, v7, |v5|
; %bb.89:                               ;   in Loop: Header=BB30_14 Depth=1
	s_or_b64 exec, exec, s[50:51]
	v_bfi_b32 v0, s96, v6, v1
	v_mul_f32_e32 v6, s89, v0
	v_bfi_b32 v0, s96, v2, v3
	v_mul_f32_e32 v7, s89, v0
	v_bfi_b32 v0, s96, v8, v4
	v_cmp_ne_u64_e32 vcc, 0, v[128:129]
	v_mul_f32_e32 v8, s89, v0
	v_bfi_b32 v0, s96, v9, v5
	v_mul_f32_e32 v9, s89, v0
	s_cbranch_vccz .LBB30_337
; %bb.90:                               ;   in Loop: Header=BB30_14 Depth=1
	v_add_u32_e32 v0, 0x8400, v184
	ds_read2_b32 v[2:3], v0 offset1:1
	s_waitcnt lgkmcnt(0)
	v_cvt_f32_f16_e32 v10, v2
	v_cvt_f32_f16_e32 v4, v3
	v_cvt_f32_f16_sdwa v5, v3 dst_sel:DWORD dst_unused:UNUSED_PAD src0_sel:WORD_1
	v_cvt_f32_f16_sdwa v11, v2 dst_sel:DWORD dst_unused:UNUSED_PAD src0_sel:WORD_1
	v_pk_fma_f32 v[4:5], v[126:127], v[4:5], v[8:9] op_sel_hi:[0,1,1]
	v_pk_fma_f32 v[2:3], v[126:127], v[10:11], v[6:7] op_sel_hi:[0,1,1]
	s_cbranch_execnz .LBB30_92
.LBB30_91:                              ;   in Loop: Header=BB30_14 Depth=1
	v_mov_b64_e32 v[2:3], v[6:7]
	v_mov_b64_e32 v[4:5], v[8:9]
.LBB30_92:                              ;   in Loop: Header=BB30_14 Depth=1
	v_add_f32_e32 v0, 0x40051340, v2
	v_max_f32_e32 v1, v38, v38
	v_cmp_gt_u32_e32 vcc, s56, v183
	v_max_f32_e32 v0, v1, v0
	v_add_f32_e32 v1, 0x40051340, v3
	v_cndmask_b32_e32 v0, v38, v0, vcc
	v_max_f32_e32 v6, v0, v0
	v_cmp_gt_u32_e64 s[50:51], s56, v200
	v_max_f32_e32 v1, v6, v1
	v_cmp_gt_u32_e64 s[54:55], s56, v199
	v_cndmask_b32_e64 v0, v0, v1, s[50:51]
	v_add_f32_e32 v1, 0x40051340, v4
	v_max_f32_e32 v6, v0, v0
	v_max_f32_e32 v1, v6, v1
	v_cndmask_b32_e64 v0, v0, v1, s[54:55]
	v_add_f32_e32 v1, 0x40051340, v5
	v_max_f32_e32 v6, v0, v0
	v_cmp_gt_u32_e64 s[56:57], s56, v198
	v_max_f32_e32 v1, v6, v1
	v_xor_b32_e32 v6, 32, v243
	v_cndmask_b32_e64 v0, v0, v1, s[56:57]
	v_and_b32_e32 v1, 64, v243
	v_add_u32_e32 v1, 64, v1
	v_cmp_lt_i32_e64 s[58:59], v6, v1
	scratch_store_dwordx4 off, a[4:7], off
	v_add_u32_e32 v50, v185, v208
	v_cndmask_b32_e64 v6, v243, v6, s[58:59]
	v_lshlrev_b32_e32 v8, 2, v6
	ds_bpermute_b32 v6, v8, v0
	v_max_f32_e32 v0, v0, v0
	s_waitcnt lgkmcnt(0)
	v_max_f32_e32 v6, v6, v6
	v_max_f32_e32 v0, v0, v6
	v_xor_b32_e32 v6, 16, v243
	v_cmp_lt_i32_e64 s[58:59], v6, v1
	s_nop 1
	v_cndmask_b32_e64 v1, v243, v6, s[58:59]
	v_lshlrev_b32_e32 v9, 2, v1
	ds_bpermute_b32 v1, v9, v0
	s_waitcnt lgkmcnt(0)
	v_max_f32_e32 v1, v1, v1
	v_max_f32_e32 v6, v0, v1
	v_sub_f32_e32 v0, v2, v6
	v_mul_f32_e32 v1, 0x3fb8aa3b, v0
	v_fma_f32 v2, v0, s5, -v1
	v_rndne_f32_e32 v7, v1
	v_fmac_f32_e32 v2, 0x32a5705f, v0
	v_sub_f32_e32 v1, v1, v7
	v_add_f32_e32 v1, v1, v2
	v_exp_f32_e32 v1, v1
	v_cvt_i32_f32_e32 v2, v7
	v_cmp_ngt_f32_e64 s[58:59], s82, v0
	v_ldexp_f32 v1, v1, v2
	s_nop 0
	v_cndmask_b32_e64 v1, 0, v1, s[58:59]
	v_cmp_nlt_f32_e64 s[58:59], s77, v0
	s_nop 1
	v_cndmask_b32_e64 v0, v196, v1, s[58:59]
	v_cndmask_b32_e32 v2, 0, v0, vcc
	v_sub_f32_e32 v0, v3, v6
	v_mul_f32_e32 v1, 0x3fb8aa3b, v0
	v_fma_f32 v3, v0, s5, -v1
	v_rndne_f32_e32 v7, v1
	v_fmac_f32_e32 v3, 0x32a5705f, v0
	v_sub_f32_e32 v1, v1, v7
	v_add_f32_e32 v1, v1, v3
	v_exp_f32_e32 v1, v1
	v_cvt_i32_f32_e32 v3, v7
	v_cmp_ngt_f32_e32 vcc, s82, v0
	v_ldexp_f32 v1, v1, v3
	s_nop 0
	v_cndmask_b32_e32 v1, 0, v1, vcc
	v_cmp_nlt_f32_e32 vcc, s77, v0
	s_nop 1
	v_cndmask_b32_e32 v0, v196, v1, vcc
	v_add_f32_e32 v3, v0, v2
	v_mov_b32_e32 v1, s87
	v_cndmask_b32_e64 v1, v1, v0, s[50:51]
	v_cndmask_b32_e64 v0, v2, v3, s[50:51]
	v_sub_f32_e32 v3, v4, v6
	v_mul_f32_e32 v4, 0x3fb8aa3b, v3
	v_fma_f32 v7, v3, s5, -v4
	v_rndne_f32_e32 v10, v4
	v_fmac_f32_e32 v7, 0x32a5705f, v3
	v_sub_f32_e32 v4, v4, v10
	v_add_f32_e32 v4, v4, v7
	v_exp_f32_e32 v4, v4
	v_cvt_i32_f32_e32 v7, v10
	v_cmp_ngt_f32_e32 vcc, s82, v3
	s_mul_hi_i32 s51, s84, s78
	s_mul_i32 s50, s84, s78
	v_ldexp_f32 v4, v4, v7
	v_cndmask_b32_e32 v4, 0, v4, vcc
	v_cmp_nlt_f32_e32 vcc, s77, v3
	s_lshl_b64 s[50:51], s[50:51], 2
	v_lshl_add_u64 v[30:31], v[124:125], 0, s[50:51]
	v_cndmask_b32_e32 v3, v196, v4, vcc
	v_mov_b32_e32 v4, s87
	v_add_f32_e32 v7, v0, v3
	v_cndmask_b32_e64 v4, v4, v3, s[54:55]
	v_sub_f32_e32 v3, v5, v6
	v_mul_f32_e32 v5, 0x3fb8aa3b, v3
	v_cndmask_b32_e64 v0, v0, v7, s[54:55]
	v_fma_f32 v7, v3, s5, -v5
	v_rndne_f32_e32 v10, v5
	v_fmac_f32_e32 v7, 0x32a5705f, v3
	v_sub_f32_e32 v5, v5, v10
	v_add_f32_e32 v5, v5, v7
	v_exp_f32_e32 v5, v5
	v_cvt_i32_f32_e32 v7, v10
	v_cmp_ngt_f32_e32 vcc, s82, v3
	v_lshl_add_u64 v[34:35], v[68:69], 2, v[30:31]
	v_lshl_add_u64 v[34:35], v[34:35], 0, v[46:47]
	v_ldexp_f32 v5, v5, v7
	v_cndmask_b32_e32 v5, 0, v5, vcc
	v_cmp_nlt_f32_e32 vcc, s77, v3
	v_mov_b32_e32 v3, s87
	v_cndmask_b32_e64 v34, v233, v34, s[34:35]
	v_cndmask_b32_e32 v5, v196, v5, vcc
	v_add_f32_e32 v7, v0, v5
	v_cndmask_b32_e64 v7, v0, v7, s[56:57]
	v_sub_f32_e32 v0, v38, v6
	v_cndmask_b32_e64 v3, v3, v5, s[56:57]
	v_mul_f32_e32 v5, 0x3fb8aa3b, v0
	v_fma_f32 v10, v0, s5, -v5
	v_rndne_f32_e32 v11, v5
	v_fmac_f32_e32 v10, 0x32a5705f, v0
	v_sub_f32_e32 v5, v5, v11
	v_add_f32_e32 v5, v5, v10
	v_exp_f32_e32 v5, v5
	v_cvt_i32_f32_e32 v10, v11
	v_cmp_ngt_f32_e32 vcc, s82, v0
	v_lshl_add_u64 v[40:41], v[70:71], 2, v[30:31]
	v_lshl_add_u64 v[40:41], v[40:41], 0, v[46:47]
	v_ldexp_f32 v5, v5, v10
	v_cndmask_b32_e32 v5, 0, v5, vcc
	v_cmp_nlt_f32_e32 vcc, s77, v0
	v_cndmask_b32_e64 v40, v233, v40, s[36:37]
	v_cvt_pk_f16_f32 v3, v4, v3
	v_cndmask_b32_e32 v5, v196, v5, vcc
	v_cmp_le_f32_e32 vcc, s3, v0
	v_cvt_pk_f16_f32 v2, v2, v1
	s_nop 0
	v_cndmask_b32_e32 v0, 0, v5, vcc
	v_fmac_f32_e32 v7, v37, v0
	v_cvt_f16_f32_e32 v0, v0
	v_cmp_ne_u64_e32 vcc, 0, v[122:123]
	v_mul_u32_u24_e32 v0, 0x10001, v0
	v_pk_mul_f16 v39, v168, v0
	v_pk_mul_f16 v168, v86, v0
	;; [unrolled: 1-line block ×3, first 2 shown]
	v_lshl_add_u64 v[86:87], v[72:73], 2, v[30:31]
	v_pk_mul_f16 v26, v190, v0
	v_pk_mul_f16 v5, v189, v0
	;; [unrolled: 1-line block ×29, first 2 shown]
	v_mov_b32_e32 v0, s91
	v_lshl_add_u64 v[86:87], v[86:87], 0, v[46:47]
	v_cndmask_b32_e64 v91, v0, v87, s[38:39]
	v_cndmask_b32_e64 v90, v233, v86, s[38:39]
	v_lshl_add_u64 v[86:87], v[74:75], 2, v[30:31]
	v_lshl_add_u64 v[86:87], v[86:87], 0, v[46:47]
	v_cndmask_b32_e64 v93, v0, v87, s[40:41]
	v_cndmask_b32_e64 v92, v233, v86, s[40:41]
	v_lshl_add_u64 v[86:87], v[76:77], 2, v[30:31]
	;; [unrolled: 4-line block ×4, first 2 shown]
	v_cndmask_b32_e64 v35, v0, v35, s[34:35]
	v_lshl_add_u64 v[86:87], v[86:87], 0, v[46:47]
	v_cndmask_b32_e64 v107, v0, v87, s[46:47]
	v_cndmask_b32_e64 v106, v233, v86, s[46:47]
	flat_load_dwordx4 v[86:89], v[34:35]
	v_cndmask_b32_e64 v41, v0, v41, s[36:37]
	v_lshl_add_u64 v[30:31], v[82:83], 2, v[30:31]
	v_lshl_add_u64 v[30:31], v[30:31], 0, v[46:47]
	v_cndmask_b32_e64 v31, v0, v31, s[48:49]
	v_cndmask_b32_e64 v30, v233, v30, s[48:49]
	v_readlane_b32 s40, v255, 31
	v_readlane_b32 s41, v255, 32
	s_and_b64 s[34:35], s[40:41], vcc
	s_waitcnt vmcnt(0) lgkmcnt(0)
	ds_write_b128 v181, v[86:89]
	flat_load_dwordx4 v[86:89], v[40:41]
	s_waitcnt vmcnt(0) lgkmcnt(0)
	ds_write_b128 v249, v[86:89]
	flat_load_dwordx4 v[86:89], v[90:91]
	;; [unrolled: 3-line block ×7, first 2 shown]
	s_waitcnt vmcnt(0) lgkmcnt(0)
	ds_write_b128 v236, v[86:89]
	s_waitcnt lgkmcnt(0)
	s_barrier
	ds_read_u16 v0, v186 offset:528
	ds_read_u16 v1, v186 offset:1056
	ds_read_u16 v4, v186
	ds_read_u16 v32, v186 offset:32
	s_waitcnt lgkmcnt(1)
	v_perm_b32 v30, v0, v4, s86
	ds_read_u16 v0, v50
	ds_read_u16 v34, v50 offset:32
	v_cvt_f32_f16_e32 v4, v5
	v_cvt_f32_f16_sdwa v5, v5 dst_sel:DWORD dst_unused:UNUSED_PAD src0_sel:WORD_1
	s_waitcnt lgkmcnt(1)
	v_perm_b32 v31, v0, v1, s86
	v_cvt_f32_f16_e32 v0, v26
	v_cvt_f32_f16_sdwa v1, v26 dst_sel:DWORD dst_unused:UNUSED_PAD src0_sel:WORD_1
	v_accvgpr_write_b32 a2, v4
	v_accvgpr_write_b32 a3, v5
	;; [unrolled: 1-line block ×4, first 2 shown]
	s_nop 1
	v_mfma_f32_16x16x16_f16 a[0:3], v[30:31], v[2:3], a[0:3]
	s_nop 7
	v_accvgpr_read_b32 v0, a2
	v_accvgpr_read_b32 v1, a3
	v_cvt_f16_f32_e32 v0, v0
	v_cvt_f16_f32_e32 v1, v1
	v_accvgpr_read_b32 v4, a0
	v_accvgpr_read_b32 v5, a1
	v_cvt_f16_f32_e32 v27, v4
	v_perm_b32 v1, v1, v0, s86
	ds_read_u16 v0, v186 offset:560
	ds_read_u16 v26, v186 offset:1088
	v_cvt_f16_f32_e32 v28, v5
	s_waitcnt lgkmcnt(1)
	v_perm_b32 v30, v0, v32, s86
	s_waitcnt lgkmcnt(0)
	v_perm_b32 v31, v34, v26, s86
	v_cvt_f32_f16_e32 v0, v25
	v_cvt_f32_f16_sdwa v25, v25 dst_sel:DWORD dst_unused:UNUSED_PAD src0_sel:WORD_1
	v_cvt_f32_f16_e32 v26, v10
	v_cvt_f32_f16_sdwa v10, v10 dst_sel:DWORD dst_unused:UNUSED_PAD src0_sel:WORD_1
	v_accvgpr_write_b32 a0, v0
	v_accvgpr_write_b32 a1, v25
	v_accvgpr_write_b32 a2, v26
	v_accvgpr_write_b32 a3, v10
	v_perm_b32 v27, v28, v27, s86
	s_nop 0
	v_mfma_f32_16x16x16_f16 a[0:3], v[30:31], v[2:3], a[0:3]
	s_nop 7
	v_accvgpr_read_b32 v0, a2
	v_accvgpr_read_b32 v10, a3
	v_cvt_f16_f32_e32 v0, v0
	v_cvt_f16_f32_e32 v10, v10
	v_accvgpr_read_b32 v25, a0
	v_accvgpr_read_b32 v26, a1
	v_cvt_f16_f32_e32 v31, v25
	v_perm_b32 v10, v10, v0, s86
	ds_read_u16 v0, v186 offset:64
	ds_read_u16 v30, v186 offset:592
	ds_read_u16 v35, v186 offset:1120
	ds_read_u16 v37, v50 offset:64
	v_cvt_f16_f32_e32 v32, v26
	s_waitcnt lgkmcnt(2)
	v_perm_b32 v34, v30, v0, s86
	v_cvt_f32_f16_e32 v0, v29
	s_waitcnt lgkmcnt(0)
	v_perm_b32 v35, v37, v35, s86
	v_cvt_f32_f16_sdwa v29, v29 dst_sel:DWORD dst_unused:UNUSED_PAD src0_sel:WORD_1
	v_cvt_f32_f16_e32 v30, v11
	v_cvt_f32_f16_sdwa v11, v11 dst_sel:DWORD dst_unused:UNUSED_PAD src0_sel:WORD_1
	v_accvgpr_write_b32 a0, v0
	v_accvgpr_write_b32 a1, v29
	v_accvgpr_write_b32 a2, v30
	v_accvgpr_write_b32 a3, v11
	v_perm_b32 v31, v32, v31, s86
	s_nop 0
	v_mfma_f32_16x16x16_f16 a[0:3], v[34:35], v[2:3], a[0:3]
	s_nop 7
	v_accvgpr_read_b32 v0, a2
	v_accvgpr_read_b32 v11, a3
	v_cvt_f16_f32_e32 v0, v0
	v_cvt_f16_f32_e32 v11, v11
	v_accvgpr_read_b32 v29, a0
	v_accvgpr_read_b32 v30, a1
	v_cvt_f16_f32_e32 v35, v29
	v_perm_b32 v11, v11, v0, s86
	ds_read_u16 v0, v186 offset:96
	ds_read_u16 v34, v186 offset:624
	ds_read_u16 v38, v186 offset:1152
	ds_read_u16 v41, v50 offset:96
	v_cvt_f16_f32_e32 v37, v30
	s_waitcnt lgkmcnt(2)
	v_perm_b32 v40, v34, v0, s86
	v_cvt_f32_f16_e32 v0, v33
	s_waitcnt lgkmcnt(0)
	v_perm_b32 v41, v41, v38, s86
	;; [unrolled: 29-line block ×13, first 2 shown]
	v_cvt_f32_f16_sdwa v51, v160 dst_sel:DWORD dst_unused:UNUSED_PAD src0_sel:WORD_1
	v_cvt_f32_f16_e32 v102, v23
	v_cvt_f32_f16_sdwa v23, v23 dst_sel:DWORD dst_unused:UNUSED_PAD src0_sel:WORD_1
	v_accvgpr_write_b32 a0, v0
	v_accvgpr_write_b32 a1, v51
	;; [unrolled: 1-line block ×4, first 2 shown]
	v_perm_b32 v102, v165, v164, s86
	s_nop 0
	v_mfma_f32_16x16x16_f16 a[0:3], v[100:101], v[2:3], a[0:3]
	s_nop 7
	v_accvgpr_read_b32 v0, a2
	v_accvgpr_read_b32 v23, a3
	v_cvt_f16_f32_e32 v0, v0
	v_cvt_f16_f32_e32 v23, v23
	v_accvgpr_read_b32 v160, a0
	v_accvgpr_read_b32 v161, a1
	v_cvt_f16_f32_e32 v166, v160
	v_perm_b32 v23, v23, v0, s86
	ds_read_u16 v0, v186 offset:480
	ds_read_u16 v51, v186 offset:1008
	;; [unrolled: 1-line block ×4, first 2 shown]
	v_cvt_f16_f32_e32 v167, v161
	s_waitcnt lgkmcnt(0)
	v_perm_b32 v100, v51, v0, s86
	v_cvt_f32_f16_e32 v0, v168
	v_perm_b32 v101, v50, v101, s86
	v_cvt_f32_f16_sdwa v50, v168 dst_sel:DWORD dst_unused:UNUSED_PAD src0_sel:WORD_1
	v_cvt_f32_f16_e32 v51, v24
	v_cvt_f32_f16_sdwa v24, v24 dst_sel:DWORD dst_unused:UNUSED_PAD src0_sel:WORD_1
	v_accvgpr_write_b32 a0, v0
	v_accvgpr_write_b32 a1, v50
	;; [unrolled: 1-line block ×4, first 2 shown]
	s_barrier
	s_nop 0
	v_mfma_f32_16x16x16_f16 a[0:3], v[100:101], v[2:3], a[0:3]
	v_perm_b32 v101, v167, v166, s86
	s_nop 6
	v_accvgpr_read_b32 v0, a2
	v_accvgpr_read_b32 v24, a3
	v_cvt_f16_f32_e32 v0, v0
	v_cvt_f16_f32_e32 v24, v24
	v_accvgpr_read_b32 v2, a0
	v_accvgpr_read_b32 v3, a1
	v_cvt_f16_f32_e32 v168, v2
	v_perm_b32 v24, v24, v0, s86
	ds_bpermute_b32 v0, v8, v7
	v_cvt_f16_f32_e32 v169, v3
	s_waitcnt lgkmcnt(0)
	v_add_f32_e32 v0, v7, v0
	ds_bpermute_b32 v7, v9, v0
	v_perm_b32 v100, v169, v168, s86
	s_waitcnt lgkmcnt(0)
	v_add_f32_e32 v7, v0, v7
	s_and_saveexec_b64 s[36:37], s[34:35]
	s_cbranch_execz .LBB30_94
; %bb.93:                               ;   in Loop: Header=BB30_14 Depth=1
	global_load_dword v27, v[122:123], off
	v_cvt_pk_f16_f32 v3, v2, v3
	v_max_f32_e32 v31, v6, v6
	v_cvt_pk_f16_f32 v28, v39, v41
	v_cvt_pk_f16_f32 v0, v4, v5
	;; [unrolled: 1-line block ×15, first 2 shown]
	s_waitcnt vmcnt(0)
	v_max_f32_e32 v2, v27, v27
	v_max_f32_e32 v2, v31, v2
	v_sub_f32_e32 v6, v6, v2
	v_mul_f32_e32 v31, 0x3fb8aa3b, v6
	v_fma_f32 v35, v6, s5, -v31
	v_rndne_f32_e32 v40, v31
	v_fmac_f32_e32 v35, 0x32a5705f, v6
	v_sub_f32_e32 v31, v31, v40
	v_add_f32_e32 v31, v31, v35
	v_exp_f32_e32 v31, v31
	v_cvt_i32_f32_e32 v35, v40
	v_cmp_ngt_f32_e32 vcc, s82, v6
	v_sub_f32_e32 v41, v27, v2
	v_ldexp_f32 v31, v31, v35
	v_cndmask_b32_e32 v31, 0, v31, vcc
	v_cmp_nlt_f32_e32 vcc, s77, v6
	s_nop 1
	v_cndmask_b32_e32 v31, v196, v31, vcc
	v_cmp_le_f32_e32 vcc, s3, v6
	s_nop 1
	v_cndmask_b32_e32 v6, 0, v31, vcc
	v_cvt_f16_f32_e32 v27, v6
	v_cmp_ngt_f32_e32 vcc, s82, v41
	v_mul_u32_u24_e32 v46, 0x10001, v27
	v_pk_mul_f16 v27, v0, v46
	v_mul_f32_e32 v0, 0x3fb8aa3b, v41
	v_pk_mul_f16 v31, v4, v46
	v_pk_mul_f16 v100, v3, v46
	v_fma_f32 v3, v41, s5, -v0
	v_rndne_f32_e32 v4, v0
	v_fmac_f32_e32 v3, 0x32a5705f, v41
	v_sub_f32_e32 v0, v0, v4
	v_add_f32_e32 v0, v0, v3
	v_exp_f32_e32 v0, v0
	v_cvt_i32_f32_e32 v3, v4
	v_pk_mul_f16 v1, v1, v46
	v_pk_mul_f16 v10, v10, v46
	;; [unrolled: 1-line block ×3, first 2 shown]
	v_ldexp_f32 v0, v0, v3
	v_cndmask_b32_e32 v0, 0, v0, vcc
	v_cmp_nlt_f32_e32 vcc, s77, v41
	v_pk_mul_f16 v11, v11, v46
	v_pk_mul_f16 v40, v25, v46
	v_cndmask_b32_e32 v3, v196, v0, vcc
	v_fmac_f32_e32 v3, v7, v6
	v_pk_mul_f16 v12, v12, v46
	v_pk_mul_f16 v88, v26, v46
	;; [unrolled: 1-line block ×24, first 2 shown]
	v_mov_b64_e32 v[6:7], v[2:3]
.LBB30_94:                              ;   in Loop: Header=BB30_14 Depth=1
	s_or_b64 exec, exec, s[36:37]
	s_mov_b64 s[34:35], exec
	v_readlane_b32 s36, v255, 46
	v_readlane_b32 s37, v255, 47
	s_and_b64 s[36:37], s[34:35], s[36:37]
	s_mov_b64 exec, s[36:37]
; %bb.95:                               ;   in Loop: Header=BB30_14 Depth=1
	v_add_u32_e32 v0, 0, v209
	ds_write2_b32 v0, v6, v7 offset0:128 offset1:129
; %bb.96:                               ;   in Loop: Header=BB30_14 Depth=1
	s_or_b64 exec, exec, s[34:35]
	s_waitcnt lgkmcnt(0)
	s_barrier
	s_mov_b64 s[34:35], exec
	v_readlane_b32 s36, v255, 33
	v_readlane_b32 s37, v255, 34
	s_and_b64 s[36:37], s[34:35], s[36:37]
	s_xor_b64 s[34:35], s[36:37], s[34:35]
	s_mov_b64 exec, s[36:37]
	s_cbranch_execz .LBB30_98
; %bb.97:                               ;   in Loop: Header=BB30_14 Depth=1
	s_barrier
                                        ; implicit-def: $vgpr8
                                        ; implicit-def: $vgpr9
.LBB30_98:                              ;   in Loop: Header=BB30_14 Depth=1
	s_andn2_saveexec_b64 s[34:35], s[34:35]
	s_cbranch_execz .LBB30_102
; %bb.99:                               ;   in Loop: Header=BB30_14 Depth=1
	v_add_u32_e32 v0, 0, v209
	ds_read_b64 v[4:5], v0 offset:512
	s_waitcnt lgkmcnt(0)
	s_barrier
	ds_bpermute_b32 v2, v8, v4
	v_max_f32_e32 v3, v4, v4
	s_waitcnt lgkmcnt(0)
	v_max_f32_e32 v2, v2, v2
	v_max_f32_e32 v2, v3, v2
	ds_bpermute_b32 v3, v9, v2
	s_waitcnt lgkmcnt(0)
	v_max_f32_e32 v3, v3, v3
	v_max_f32_e32 v2, v2, v3
	v_sub_f32_e32 v3, v4, v2
	v_mul_f32_e32 v4, 0x3fb8aa3b, v3
	v_fma_f32 v6, v3, s5, -v4
	v_rndne_f32_e32 v7, v4
	v_fmac_f32_e32 v6, 0x32a5705f, v3
	v_sub_f32_e32 v4, v4, v7
	v_add_f32_e32 v4, v4, v6
	v_cvt_i32_f32_e32 v7, v7
	v_exp_f32_e32 v4, v4
	v_cmp_ngt_f32_e32 vcc, s82, v3
	v_ldexp_f32 v4, v4, v7
	s_nop 0
	v_cndmask_b32_e32 v4, 0, v4, vcc
	v_cmp_nlt_f32_e32 vcc, s77, v3
	s_nop 1
	v_cndmask_b32_e32 v4, v196, v4, vcc
	v_mul_f32_e32 v3, v5, v4
	ds_bpermute_b32 v3, v8, v3
	s_waitcnt lgkmcnt(0)
	v_fmac_f32_e32 v3, v5, v4
	ds_bpermute_b32 v5, v9, v3
	s_waitcnt lgkmcnt(0)
	v_add_f32_e32 v5, v3, v5
	ds_write_b64 v0, v[4:5] offset:512
	s_mov_b64 s[36:37], exec
	v_readlane_b32 s38, v255, 46
	v_readlane_b32 s39, v255, 47
	s_and_b64 s[38:39], s[36:37], s[38:39]
	s_mov_b64 exec, s[38:39]
	s_cbranch_execz .LBB30_101
; %bb.100:                              ;   in Loop: Header=BB30_14 Depth=1
	v_mov_b32_e32 v3, v5
	v_accvgpr_read_b32 v4, a58
	v_accvgpr_read_b32 v5, a59
	global_store_dwordx2 v[4:5], v[2:3], off
.LBB30_101:                             ;   in Loop: Header=BB30_14 Depth=1
	s_or_b64 exec, exec, s[36:37]
.LBB30_102:                             ;   in Loop: Header=BB30_14 Depth=1
	s_or_b64 exec, exec, s[34:35]
	ds_write2_b32 v187, v27, v1 offset1:1
	ds_write2_b32 v187, v31, v10 offset0:8 offset1:9
	ds_write2_b32 v187, v35, v11 offset0:16 offset1:17
	;; [unrolled: 1-line block ×15, first 2 shown]
	s_waitcnt lgkmcnt(0)
	s_barrier
	s_and_saveexec_b64 s[34:35], s[40:41]
	s_cbranch_execz .LBB30_180
; %bb.103:                              ;   in Loop: Header=BB30_14 Depth=1
	v_add_u32_e32 v2, v188, v194
	v_cmp_gt_i32_e32 vcc, s76, v2
	v_mov_b32_e32 v1, 0x47
	s_and_saveexec_b64 s[36:37], vcc
	s_cbranch_execz .LBB30_105
; %bb.104:                              ;   in Loop: Header=BB30_14 Depth=1
	ds_read2st64_b32 v[4:5], v210 offset0:2 offset1:35
	ds_read2st64_b32 v[6:7], v210 offset0:68 offset1:101
	ds_read2st64_b32 v[8:9], v227 offset1:1
	ds_read2st64_b32 v[10:11], v227 offset0:33 offset1:34
	ds_read2st64_b32 v[12:13], v227 offset0:66 offset1:67
	;; [unrolled: 1-line block ×3, first 2 shown]
	v_readlane_b32 s38, v255, 40
	s_waitcnt lgkmcnt(3)
	v_cvt_f32_f16_sdwa v19, v8 dst_sel:DWORD dst_unused:UNUSED_PAD src0_sel:WORD_1
	v_cvt_f32_f16_e32 v18, v8
	s_waitcnt lgkmcnt(2)
	v_cvt_f32_f16_sdwa v21, v10 dst_sel:DWORD dst_unused:UNUSED_PAD src0_sel:WORD_1
	v_cvt_f32_f16_e32 v20, v10
	v_mov_b32_e32 v8, v5
	v_pk_fma_f32 v[18:19], v[4:5], v[18:19], 0 op_sel_hi:[0,1,0]
	v_mul_lo_u32 v2, s38, v2
	v_pk_fma_f32 v[18:19], v[8:9], v[20:21], v[18:19] op_sel_hi:[0,1,1]
	s_waitcnt lgkmcnt(1)
	v_cvt_f32_f16_sdwa v21, v12 dst_sel:DWORD dst_unused:UNUSED_PAD src0_sel:WORD_1
	v_cvt_f32_f16_e32 v20, v12
	v_add_u32_e32 v16, v44, v2
	v_ashrrev_i32_e32 v17, 31, v16
	v_mov_b32_e32 v10, v7
	v_pk_fma_f32 v[18:19], v[6:7], v[20:21], v[18:19] op_sel_hi:[0,1,1]
	s_waitcnt lgkmcnt(0)
	v_cvt_f32_f16_sdwa v21, v14 dst_sel:DWORD dst_unused:UNUSED_PAD src0_sel:WORD_1
	v_cvt_f32_f16_e32 v20, v14
	v_lshl_add_u64 v[16:17], v[16:17], 3, v[120:121]
	v_ashrrev_i32_e32 v3, 31, v2
	v_lshl_add_u64 v[2:3], v[44:45], 0, v[2:3]
	v_pk_fma_f32 v[18:19], v[10:11], v[20:21], v[18:19] op_sel_hi:[0,1,1]
	global_store_dwordx2 v[16:17], v[18:19], off
	v_cvt_f32_f16_sdwa v17, v9 dst_sel:DWORD dst_unused:UNUSED_PAD src0_sel:WORD_1
	v_cvt_f32_f16_e32 v16, v9
	v_lshl_add_u64 v[2:3], v[2:3], 3, v[120:121]
	v_mov_b32_e32 v1, 0
	v_pk_fma_f32 v[4:5], v[4:5], v[16:17], 0 op_sel_hi:[0,1,0]
	v_cvt_f32_f16_sdwa v17, v11 dst_sel:DWORD dst_unused:UNUSED_PAD src0_sel:WORD_1
	v_cvt_f32_f16_e32 v16, v11
	v_pk_fma_f32 v[4:5], v[8:9], v[16:17], v[4:5] op_sel_hi:[0,1,1]
	v_cvt_f32_f16_sdwa v9, v13 dst_sel:DWORD dst_unused:UNUSED_PAD src0_sel:WORD_1
	v_cvt_f32_f16_e32 v8, v13
	;; [unrolled: 3-line block ×3, first 2 shown]
	v_pk_fma_f32 v[4:5], v[10:11], v[6:7], v[4:5] op_sel_hi:[0,1,1]
	global_store_dwordx2 v[2:3], v[4:5], off offset:512
.LBB30_105:                             ;   in Loop: Header=BB30_14 Depth=1
	s_or_b64 exec, exec, s[36:37]
	s_movk_i32 s36, 0x47
	v_cmp_gt_i32_e32 vcc, s36, v1
	s_mov_b64 s[36:37], -1
	s_and_saveexec_b64 s[38:39], vcc
; %bb.106:                              ;   in Loop: Header=BB30_14 Depth=1
	v_cmp_eq_u32_e32 vcc, 0, v1
	s_orn2_b64 s[36:37], vcc, exec
; %bb.107:                              ;   in Loop: Header=BB30_14 Depth=1
	s_or_b64 exec, exec, s[38:39]
	s_and_b64 exec, exec, s[36:37]
	s_cbranch_execz .LBB30_180
; %bb.108:                              ;   in Loop: Header=BB30_14 Depth=1
	v_accvgpr_read_b32 v0, a12
	v_add_u32_e32 v2, v0, v194
	v_cmp_gt_i32_e32 vcc, s76, v2
	v_mov_b32_e32 v1, 0x47
	s_and_saveexec_b64 s[36:37], vcc
	s_cbranch_execz .LBB30_110
; %bb.109:                              ;   in Loop: Header=BB30_14 Depth=1
	v_accvgpr_read_b32 v0, a27
	ds_read2st64_b32 v[4:5], v0 offset0:2 offset1:35
	ds_read2st64_b32 v[6:7], v0 offset0:68 offset1:101
	ds_read2st64_b32 v[8:9], v228 offset1:1
	ds_read2st64_b32 v[10:11], v228 offset0:33 offset1:34
	ds_read2st64_b32 v[12:13], v228 offset0:66 offset1:67
	;; [unrolled: 1-line block ×3, first 2 shown]
	v_readlane_b32 s38, v255, 40
	s_waitcnt lgkmcnt(3)
	v_cvt_f32_f16_sdwa v19, v8 dst_sel:DWORD dst_unused:UNUSED_PAD src0_sel:WORD_1
	v_cvt_f32_f16_e32 v18, v8
	s_waitcnt lgkmcnt(2)
	v_cvt_f32_f16_sdwa v21, v10 dst_sel:DWORD dst_unused:UNUSED_PAD src0_sel:WORD_1
	v_cvt_f32_f16_e32 v20, v10
	v_mov_b32_e32 v8, v5
	v_pk_fma_f32 v[18:19], v[4:5], v[18:19], 0 op_sel_hi:[0,1,0]
	v_mul_lo_u32 v2, s38, v2
	v_pk_fma_f32 v[18:19], v[8:9], v[20:21], v[18:19] op_sel_hi:[0,1,1]
	s_waitcnt lgkmcnt(1)
	v_cvt_f32_f16_sdwa v21, v12 dst_sel:DWORD dst_unused:UNUSED_PAD src0_sel:WORD_1
	v_cvt_f32_f16_e32 v20, v12
	v_add_u32_e32 v16, v44, v2
	v_ashrrev_i32_e32 v17, 31, v16
	v_mov_b32_e32 v10, v7
	v_pk_fma_f32 v[18:19], v[6:7], v[20:21], v[18:19] op_sel_hi:[0,1,1]
	s_waitcnt lgkmcnt(0)
	v_cvt_f32_f16_sdwa v21, v14 dst_sel:DWORD dst_unused:UNUSED_PAD src0_sel:WORD_1
	v_cvt_f32_f16_e32 v20, v14
	v_lshl_add_u64 v[16:17], v[16:17], 3, v[120:121]
	v_ashrrev_i32_e32 v3, 31, v2
	v_lshl_add_u64 v[2:3], v[44:45], 0, v[2:3]
	v_pk_fma_f32 v[18:19], v[10:11], v[20:21], v[18:19] op_sel_hi:[0,1,1]
	global_store_dwordx2 v[16:17], v[18:19], off
	v_cvt_f32_f16_sdwa v17, v9 dst_sel:DWORD dst_unused:UNUSED_PAD src0_sel:WORD_1
	v_cvt_f32_f16_e32 v16, v9
	v_lshl_add_u64 v[2:3], v[2:3], 3, v[120:121]
	v_mov_b32_e32 v1, 0
	v_pk_fma_f32 v[4:5], v[4:5], v[16:17], 0 op_sel_hi:[0,1,0]
	v_cvt_f32_f16_sdwa v17, v11 dst_sel:DWORD dst_unused:UNUSED_PAD src0_sel:WORD_1
	v_cvt_f32_f16_e32 v16, v11
	v_pk_fma_f32 v[4:5], v[8:9], v[16:17], v[4:5] op_sel_hi:[0,1,1]
	v_cvt_f32_f16_sdwa v9, v13 dst_sel:DWORD dst_unused:UNUSED_PAD src0_sel:WORD_1
	v_cvt_f32_f16_e32 v8, v13
	;; [unrolled: 3-line block ×3, first 2 shown]
	v_pk_fma_f32 v[4:5], v[10:11], v[6:7], v[4:5] op_sel_hi:[0,1,1]
	global_store_dwordx2 v[2:3], v[4:5], off offset:512
.LBB30_110:                             ;   in Loop: Header=BB30_14 Depth=1
	s_or_b64 exec, exec, s[36:37]
	s_movk_i32 s36, 0x47
	v_cmp_gt_i32_e32 vcc, s36, v1
	s_mov_b64 s[36:37], -1
	s_and_saveexec_b64 s[38:39], vcc
; %bb.111:                              ;   in Loop: Header=BB30_14 Depth=1
	v_cmp_eq_u32_e32 vcc, 0, v1
	s_orn2_b64 s[36:37], vcc, exec
; %bb.112:                              ;   in Loop: Header=BB30_14 Depth=1
	s_or_b64 exec, exec, s[38:39]
	s_and_b64 exec, exec, s[36:37]
	s_cbranch_execz .LBB30_180
; %bb.113:                              ;   in Loop: Header=BB30_14 Depth=1
	v_accvgpr_read_b32 v0, a13
	v_add_u32_e32 v2, v0, v194
	v_cmp_gt_i32_e32 vcc, s76, v2
	v_mov_b32_e32 v1, 0x47
	s_and_saveexec_b64 s[36:37], vcc
	s_cbranch_execz .LBB30_115
; %bb.114:                              ;   in Loop: Header=BB30_14 Depth=1
	v_accvgpr_read_b32 v0, a30
	ds_read2st64_b32 v[4:5], v0 offset0:2 offset1:35
	ds_read2st64_b32 v[6:7], v0 offset0:68 offset1:101
	v_accvgpr_read_b32 v0, a44
	ds_read2st64_b32 v[8:9], v0 offset1:1
	ds_read2st64_b32 v[10:11], v0 offset0:33 offset1:34
	ds_read2st64_b32 v[12:13], v0 offset0:66 offset1:67
	;; [unrolled: 1-line block ×3, first 2 shown]
	v_readlane_b32 s38, v255, 40
	s_waitcnt lgkmcnt(3)
	v_cvt_f32_f16_sdwa v19, v8 dst_sel:DWORD dst_unused:UNUSED_PAD src0_sel:WORD_1
	v_cvt_f32_f16_e32 v18, v8
	s_waitcnt lgkmcnt(2)
	v_cvt_f32_f16_sdwa v21, v10 dst_sel:DWORD dst_unused:UNUSED_PAD src0_sel:WORD_1
	v_cvt_f32_f16_e32 v20, v10
	v_mov_b32_e32 v8, v5
	v_pk_fma_f32 v[18:19], v[4:5], v[18:19], 0 op_sel_hi:[0,1,0]
	v_mul_lo_u32 v2, s38, v2
	v_pk_fma_f32 v[18:19], v[8:9], v[20:21], v[18:19] op_sel_hi:[0,1,1]
	s_waitcnt lgkmcnt(1)
	v_cvt_f32_f16_sdwa v21, v12 dst_sel:DWORD dst_unused:UNUSED_PAD src0_sel:WORD_1
	v_cvt_f32_f16_e32 v20, v12
	v_add_u32_e32 v16, v44, v2
	v_ashrrev_i32_e32 v17, 31, v16
	v_mov_b32_e32 v10, v7
	v_pk_fma_f32 v[18:19], v[6:7], v[20:21], v[18:19] op_sel_hi:[0,1,1]
	s_waitcnt lgkmcnt(0)
	v_cvt_f32_f16_sdwa v21, v14 dst_sel:DWORD dst_unused:UNUSED_PAD src0_sel:WORD_1
	v_cvt_f32_f16_e32 v20, v14
	v_lshl_add_u64 v[16:17], v[16:17], 3, v[120:121]
	v_ashrrev_i32_e32 v3, 31, v2
	v_lshl_add_u64 v[2:3], v[44:45], 0, v[2:3]
	v_pk_fma_f32 v[18:19], v[10:11], v[20:21], v[18:19] op_sel_hi:[0,1,1]
	global_store_dwordx2 v[16:17], v[18:19], off
	v_cvt_f32_f16_sdwa v17, v9 dst_sel:DWORD dst_unused:UNUSED_PAD src0_sel:WORD_1
	v_cvt_f32_f16_e32 v16, v9
	v_lshl_add_u64 v[2:3], v[2:3], 3, v[120:121]
	v_mov_b32_e32 v1, 0
	v_pk_fma_f32 v[4:5], v[4:5], v[16:17], 0 op_sel_hi:[0,1,0]
	v_cvt_f32_f16_sdwa v17, v11 dst_sel:DWORD dst_unused:UNUSED_PAD src0_sel:WORD_1
	v_cvt_f32_f16_e32 v16, v11
	v_pk_fma_f32 v[4:5], v[8:9], v[16:17], v[4:5] op_sel_hi:[0,1,1]
	v_cvt_f32_f16_sdwa v9, v13 dst_sel:DWORD dst_unused:UNUSED_PAD src0_sel:WORD_1
	v_cvt_f32_f16_e32 v8, v13
	;; [unrolled: 3-line block ×3, first 2 shown]
	v_pk_fma_f32 v[4:5], v[10:11], v[6:7], v[4:5] op_sel_hi:[0,1,1]
	global_store_dwordx2 v[2:3], v[4:5], off offset:512
.LBB30_115:                             ;   in Loop: Header=BB30_14 Depth=1
	s_or_b64 exec, exec, s[36:37]
	s_movk_i32 s36, 0x47
	v_cmp_gt_i32_e32 vcc, s36, v1
	s_mov_b64 s[36:37], -1
	s_and_saveexec_b64 s[38:39], vcc
; %bb.116:                              ;   in Loop: Header=BB30_14 Depth=1
	v_cmp_eq_u32_e32 vcc, 0, v1
	s_orn2_b64 s[36:37], vcc, exec
; %bb.117:                              ;   in Loop: Header=BB30_14 Depth=1
	s_or_b64 exec, exec, s[38:39]
	s_and_b64 exec, exec, s[36:37]
	s_cbranch_execz .LBB30_180
; %bb.118:                              ;   in Loop: Header=BB30_14 Depth=1
	v_accvgpr_read_b32 v0, a14
	v_add_u32_e32 v2, v0, v194
	v_cmp_gt_i32_e32 vcc, s76, v2
	v_mov_b32_e32 v1, 0x47
	s_and_saveexec_b64 s[36:37], vcc
	s_cbranch_execz .LBB30_120
; %bb.119:                              ;   in Loop: Header=BB30_14 Depth=1
	v_accvgpr_read_b32 v0, a31
	ds_read2st64_b32 v[4:5], v0 offset0:2 offset1:35
	ds_read2st64_b32 v[6:7], v0 offset0:68 offset1:101
	v_accvgpr_read_b32 v0, a45
	ds_read2st64_b32 v[8:9], v0 offset1:1
	ds_read2st64_b32 v[10:11], v0 offset0:33 offset1:34
	ds_read2st64_b32 v[12:13], v0 offset0:66 offset1:67
	;; [unrolled: 1-line block ×3, first 2 shown]
	v_readlane_b32 s38, v255, 40
	s_waitcnt lgkmcnt(3)
	v_cvt_f32_f16_sdwa v19, v8 dst_sel:DWORD dst_unused:UNUSED_PAD src0_sel:WORD_1
	v_cvt_f32_f16_e32 v18, v8
	s_waitcnt lgkmcnt(2)
	v_cvt_f32_f16_sdwa v21, v10 dst_sel:DWORD dst_unused:UNUSED_PAD src0_sel:WORD_1
	v_cvt_f32_f16_e32 v20, v10
	v_mov_b32_e32 v8, v5
	v_pk_fma_f32 v[18:19], v[4:5], v[18:19], 0 op_sel_hi:[0,1,0]
	v_mul_lo_u32 v2, s38, v2
	v_pk_fma_f32 v[18:19], v[8:9], v[20:21], v[18:19] op_sel_hi:[0,1,1]
	s_waitcnt lgkmcnt(1)
	v_cvt_f32_f16_sdwa v21, v12 dst_sel:DWORD dst_unused:UNUSED_PAD src0_sel:WORD_1
	v_cvt_f32_f16_e32 v20, v12
	v_add_u32_e32 v16, v44, v2
	v_ashrrev_i32_e32 v17, 31, v16
	v_mov_b32_e32 v10, v7
	v_pk_fma_f32 v[18:19], v[6:7], v[20:21], v[18:19] op_sel_hi:[0,1,1]
	s_waitcnt lgkmcnt(0)
	v_cvt_f32_f16_sdwa v21, v14 dst_sel:DWORD dst_unused:UNUSED_PAD src0_sel:WORD_1
	v_cvt_f32_f16_e32 v20, v14
	v_lshl_add_u64 v[16:17], v[16:17], 3, v[120:121]
	v_ashrrev_i32_e32 v3, 31, v2
	v_lshl_add_u64 v[2:3], v[44:45], 0, v[2:3]
	v_pk_fma_f32 v[18:19], v[10:11], v[20:21], v[18:19] op_sel_hi:[0,1,1]
	global_store_dwordx2 v[16:17], v[18:19], off
	v_cvt_f32_f16_sdwa v17, v9 dst_sel:DWORD dst_unused:UNUSED_PAD src0_sel:WORD_1
	v_cvt_f32_f16_e32 v16, v9
	v_lshl_add_u64 v[2:3], v[2:3], 3, v[120:121]
	v_mov_b32_e32 v1, 0
	v_pk_fma_f32 v[4:5], v[4:5], v[16:17], 0 op_sel_hi:[0,1,0]
	v_cvt_f32_f16_sdwa v17, v11 dst_sel:DWORD dst_unused:UNUSED_PAD src0_sel:WORD_1
	v_cvt_f32_f16_e32 v16, v11
	v_pk_fma_f32 v[4:5], v[8:9], v[16:17], v[4:5] op_sel_hi:[0,1,1]
	v_cvt_f32_f16_sdwa v9, v13 dst_sel:DWORD dst_unused:UNUSED_PAD src0_sel:WORD_1
	v_cvt_f32_f16_e32 v8, v13
	;; [unrolled: 3-line block ×3, first 2 shown]
	v_pk_fma_f32 v[4:5], v[10:11], v[6:7], v[4:5] op_sel_hi:[0,1,1]
	global_store_dwordx2 v[2:3], v[4:5], off offset:512
.LBB30_120:                             ;   in Loop: Header=BB30_14 Depth=1
	s_or_b64 exec, exec, s[36:37]
	s_movk_i32 s36, 0x47
	v_cmp_gt_i32_e32 vcc, s36, v1
	s_mov_b64 s[36:37], -1
	s_and_saveexec_b64 s[38:39], vcc
; %bb.121:                              ;   in Loop: Header=BB30_14 Depth=1
	v_cmp_eq_u32_e32 vcc, 0, v1
	s_orn2_b64 s[36:37], vcc, exec
; %bb.122:                              ;   in Loop: Header=BB30_14 Depth=1
	s_or_b64 exec, exec, s[38:39]
	s_and_b64 exec, exec, s[36:37]
	s_cbranch_execz .LBB30_180
; %bb.123:                              ;   in Loop: Header=BB30_14 Depth=1
	v_accvgpr_read_b32 v0, a15
	v_add_u32_e32 v2, v0, v194
	v_cmp_gt_i32_e32 vcc, s76, v2
	v_mov_b32_e32 v1, 0x47
	s_and_saveexec_b64 s[36:37], vcc
	s_cbranch_execz .LBB30_125
; %bb.124:                              ;   in Loop: Header=BB30_14 Depth=1
	v_accvgpr_read_b32 v0, a32
	ds_read2st64_b32 v[4:5], v0 offset0:2 offset1:35
	ds_read2st64_b32 v[6:7], v0 offset0:68 offset1:101
	v_accvgpr_read_b32 v0, a46
	ds_read2st64_b32 v[8:9], v0 offset1:1
	ds_read2st64_b32 v[10:11], v0 offset0:33 offset1:34
	ds_read2st64_b32 v[12:13], v0 offset0:66 offset1:67
	ds_read2st64_b32 v[14:15], v0 offset0:99 offset1:100
	v_readlane_b32 s38, v255, 40
	s_waitcnt lgkmcnt(3)
	v_cvt_f32_f16_sdwa v19, v8 dst_sel:DWORD dst_unused:UNUSED_PAD src0_sel:WORD_1
	v_cvt_f32_f16_e32 v18, v8
	s_waitcnt lgkmcnt(2)
	v_cvt_f32_f16_sdwa v21, v10 dst_sel:DWORD dst_unused:UNUSED_PAD src0_sel:WORD_1
	v_cvt_f32_f16_e32 v20, v10
	v_mov_b32_e32 v8, v5
	v_pk_fma_f32 v[18:19], v[4:5], v[18:19], 0 op_sel_hi:[0,1,0]
	v_mul_lo_u32 v2, s38, v2
	v_pk_fma_f32 v[18:19], v[8:9], v[20:21], v[18:19] op_sel_hi:[0,1,1]
	s_waitcnt lgkmcnt(1)
	v_cvt_f32_f16_sdwa v21, v12 dst_sel:DWORD dst_unused:UNUSED_PAD src0_sel:WORD_1
	v_cvt_f32_f16_e32 v20, v12
	v_add_u32_e32 v16, v44, v2
	v_ashrrev_i32_e32 v17, 31, v16
	v_mov_b32_e32 v10, v7
	v_pk_fma_f32 v[18:19], v[6:7], v[20:21], v[18:19] op_sel_hi:[0,1,1]
	s_waitcnt lgkmcnt(0)
	v_cvt_f32_f16_sdwa v21, v14 dst_sel:DWORD dst_unused:UNUSED_PAD src0_sel:WORD_1
	v_cvt_f32_f16_e32 v20, v14
	v_lshl_add_u64 v[16:17], v[16:17], 3, v[120:121]
	v_ashrrev_i32_e32 v3, 31, v2
	v_lshl_add_u64 v[2:3], v[44:45], 0, v[2:3]
	v_pk_fma_f32 v[18:19], v[10:11], v[20:21], v[18:19] op_sel_hi:[0,1,1]
	global_store_dwordx2 v[16:17], v[18:19], off
	v_cvt_f32_f16_sdwa v17, v9 dst_sel:DWORD dst_unused:UNUSED_PAD src0_sel:WORD_1
	v_cvt_f32_f16_e32 v16, v9
	v_lshl_add_u64 v[2:3], v[2:3], 3, v[120:121]
	v_mov_b32_e32 v1, 0
	v_pk_fma_f32 v[4:5], v[4:5], v[16:17], 0 op_sel_hi:[0,1,0]
	v_cvt_f32_f16_sdwa v17, v11 dst_sel:DWORD dst_unused:UNUSED_PAD src0_sel:WORD_1
	v_cvt_f32_f16_e32 v16, v11
	v_pk_fma_f32 v[4:5], v[8:9], v[16:17], v[4:5] op_sel_hi:[0,1,1]
	v_cvt_f32_f16_sdwa v9, v13 dst_sel:DWORD dst_unused:UNUSED_PAD src0_sel:WORD_1
	v_cvt_f32_f16_e32 v8, v13
	;; [unrolled: 3-line block ×3, first 2 shown]
	v_pk_fma_f32 v[4:5], v[10:11], v[6:7], v[4:5] op_sel_hi:[0,1,1]
	global_store_dwordx2 v[2:3], v[4:5], off offset:512
.LBB30_125:                             ;   in Loop: Header=BB30_14 Depth=1
	s_or_b64 exec, exec, s[36:37]
	s_movk_i32 s36, 0x47
	v_cmp_gt_i32_e32 vcc, s36, v1
	s_mov_b64 s[36:37], -1
	s_and_saveexec_b64 s[38:39], vcc
; %bb.126:                              ;   in Loop: Header=BB30_14 Depth=1
	v_cmp_eq_u32_e32 vcc, 0, v1
	s_orn2_b64 s[36:37], vcc, exec
; %bb.127:                              ;   in Loop: Header=BB30_14 Depth=1
	s_or_b64 exec, exec, s[38:39]
	s_and_b64 exec, exec, s[36:37]
	s_cbranch_execz .LBB30_180
; %bb.128:                              ;   in Loop: Header=BB30_14 Depth=1
	v_accvgpr_read_b32 v0, a16
	v_add_u32_e32 v2, v0, v194
	v_cmp_gt_i32_e32 vcc, s76, v2
	v_mov_b32_e32 v1, 0x47
	s_and_saveexec_b64 s[36:37], vcc
	s_cbranch_execz .LBB30_130
; %bb.129:                              ;   in Loop: Header=BB30_14 Depth=1
	v_accvgpr_read_b32 v0, a33
	ds_read2st64_b32 v[4:5], v0 offset0:2 offset1:35
	ds_read2st64_b32 v[6:7], v0 offset0:68 offset1:101
	v_accvgpr_read_b32 v0, a47
	ds_read2st64_b32 v[8:9], v0 offset1:1
	ds_read2st64_b32 v[10:11], v0 offset0:33 offset1:34
	ds_read2st64_b32 v[12:13], v0 offset0:66 offset1:67
	;; [unrolled: 1-line block ×3, first 2 shown]
	v_readlane_b32 s38, v255, 40
	s_waitcnt lgkmcnt(3)
	v_cvt_f32_f16_sdwa v19, v8 dst_sel:DWORD dst_unused:UNUSED_PAD src0_sel:WORD_1
	v_cvt_f32_f16_e32 v18, v8
	s_waitcnt lgkmcnt(2)
	v_cvt_f32_f16_sdwa v21, v10 dst_sel:DWORD dst_unused:UNUSED_PAD src0_sel:WORD_1
	v_cvt_f32_f16_e32 v20, v10
	v_mov_b32_e32 v8, v5
	v_pk_fma_f32 v[18:19], v[4:5], v[18:19], 0 op_sel_hi:[0,1,0]
	v_mul_lo_u32 v2, s38, v2
	v_pk_fma_f32 v[18:19], v[8:9], v[20:21], v[18:19] op_sel_hi:[0,1,1]
	s_waitcnt lgkmcnt(1)
	v_cvt_f32_f16_sdwa v21, v12 dst_sel:DWORD dst_unused:UNUSED_PAD src0_sel:WORD_1
	v_cvt_f32_f16_e32 v20, v12
	v_add_u32_e32 v16, v44, v2
	v_ashrrev_i32_e32 v17, 31, v16
	v_mov_b32_e32 v10, v7
	v_pk_fma_f32 v[18:19], v[6:7], v[20:21], v[18:19] op_sel_hi:[0,1,1]
	s_waitcnt lgkmcnt(0)
	v_cvt_f32_f16_sdwa v21, v14 dst_sel:DWORD dst_unused:UNUSED_PAD src0_sel:WORD_1
	v_cvt_f32_f16_e32 v20, v14
	v_lshl_add_u64 v[16:17], v[16:17], 3, v[120:121]
	v_ashrrev_i32_e32 v3, 31, v2
	v_lshl_add_u64 v[2:3], v[44:45], 0, v[2:3]
	v_pk_fma_f32 v[18:19], v[10:11], v[20:21], v[18:19] op_sel_hi:[0,1,1]
	global_store_dwordx2 v[16:17], v[18:19], off
	v_cvt_f32_f16_sdwa v17, v9 dst_sel:DWORD dst_unused:UNUSED_PAD src0_sel:WORD_1
	v_cvt_f32_f16_e32 v16, v9
	v_lshl_add_u64 v[2:3], v[2:3], 3, v[120:121]
	v_mov_b32_e32 v1, 0
	v_pk_fma_f32 v[4:5], v[4:5], v[16:17], 0 op_sel_hi:[0,1,0]
	v_cvt_f32_f16_sdwa v17, v11 dst_sel:DWORD dst_unused:UNUSED_PAD src0_sel:WORD_1
	v_cvt_f32_f16_e32 v16, v11
	v_pk_fma_f32 v[4:5], v[8:9], v[16:17], v[4:5] op_sel_hi:[0,1,1]
	v_cvt_f32_f16_sdwa v9, v13 dst_sel:DWORD dst_unused:UNUSED_PAD src0_sel:WORD_1
	v_cvt_f32_f16_e32 v8, v13
	;; [unrolled: 3-line block ×3, first 2 shown]
	v_pk_fma_f32 v[4:5], v[10:11], v[6:7], v[4:5] op_sel_hi:[0,1,1]
	global_store_dwordx2 v[2:3], v[4:5], off offset:512
.LBB30_130:                             ;   in Loop: Header=BB30_14 Depth=1
	s_or_b64 exec, exec, s[36:37]
	s_movk_i32 s36, 0x47
	v_cmp_gt_i32_e32 vcc, s36, v1
	s_mov_b64 s[36:37], -1
	s_and_saveexec_b64 s[38:39], vcc
; %bb.131:                              ;   in Loop: Header=BB30_14 Depth=1
	v_cmp_eq_u32_e32 vcc, 0, v1
	s_orn2_b64 s[36:37], vcc, exec
; %bb.132:                              ;   in Loop: Header=BB30_14 Depth=1
	s_or_b64 exec, exec, s[38:39]
	s_and_b64 exec, exec, s[36:37]
	s_cbranch_execz .LBB30_180
; %bb.133:                              ;   in Loop: Header=BB30_14 Depth=1
	v_accvgpr_read_b32 v0, a17
	v_add_u32_e32 v2, v0, v194
	v_cmp_gt_i32_e32 vcc, s76, v2
	v_mov_b32_e32 v1, 0x47
	s_and_saveexec_b64 s[36:37], vcc
	s_cbranch_execz .LBB30_135
; %bb.134:                              ;   in Loop: Header=BB30_14 Depth=1
	v_accvgpr_read_b32 v0, a34
	ds_read2st64_b32 v[4:5], v0 offset0:2 offset1:35
	ds_read2st64_b32 v[6:7], v0 offset0:68 offset1:101
	v_accvgpr_read_b32 v0, a48
	ds_read2st64_b32 v[8:9], v0 offset1:1
	ds_read2st64_b32 v[10:11], v0 offset0:33 offset1:34
	ds_read2st64_b32 v[12:13], v0 offset0:66 offset1:67
	;; [unrolled: 1-line block ×3, first 2 shown]
	v_readlane_b32 s38, v255, 40
	s_waitcnt lgkmcnt(3)
	v_cvt_f32_f16_sdwa v19, v8 dst_sel:DWORD dst_unused:UNUSED_PAD src0_sel:WORD_1
	v_cvt_f32_f16_e32 v18, v8
	s_waitcnt lgkmcnt(2)
	v_cvt_f32_f16_sdwa v21, v10 dst_sel:DWORD dst_unused:UNUSED_PAD src0_sel:WORD_1
	v_cvt_f32_f16_e32 v20, v10
	v_mov_b32_e32 v8, v5
	v_pk_fma_f32 v[18:19], v[4:5], v[18:19], 0 op_sel_hi:[0,1,0]
	v_mul_lo_u32 v2, s38, v2
	v_pk_fma_f32 v[18:19], v[8:9], v[20:21], v[18:19] op_sel_hi:[0,1,1]
	s_waitcnt lgkmcnt(1)
	v_cvt_f32_f16_sdwa v21, v12 dst_sel:DWORD dst_unused:UNUSED_PAD src0_sel:WORD_1
	v_cvt_f32_f16_e32 v20, v12
	v_add_u32_e32 v16, v44, v2
	v_ashrrev_i32_e32 v17, 31, v16
	v_mov_b32_e32 v10, v7
	v_pk_fma_f32 v[18:19], v[6:7], v[20:21], v[18:19] op_sel_hi:[0,1,1]
	s_waitcnt lgkmcnt(0)
	v_cvt_f32_f16_sdwa v21, v14 dst_sel:DWORD dst_unused:UNUSED_PAD src0_sel:WORD_1
	v_cvt_f32_f16_e32 v20, v14
	v_lshl_add_u64 v[16:17], v[16:17], 3, v[120:121]
	v_ashrrev_i32_e32 v3, 31, v2
	v_lshl_add_u64 v[2:3], v[44:45], 0, v[2:3]
	v_pk_fma_f32 v[18:19], v[10:11], v[20:21], v[18:19] op_sel_hi:[0,1,1]
	global_store_dwordx2 v[16:17], v[18:19], off
	v_cvt_f32_f16_sdwa v17, v9 dst_sel:DWORD dst_unused:UNUSED_PAD src0_sel:WORD_1
	v_cvt_f32_f16_e32 v16, v9
	v_lshl_add_u64 v[2:3], v[2:3], 3, v[120:121]
	v_mov_b32_e32 v1, 0
	v_pk_fma_f32 v[4:5], v[4:5], v[16:17], 0 op_sel_hi:[0,1,0]
	v_cvt_f32_f16_sdwa v17, v11 dst_sel:DWORD dst_unused:UNUSED_PAD src0_sel:WORD_1
	v_cvt_f32_f16_e32 v16, v11
	v_pk_fma_f32 v[4:5], v[8:9], v[16:17], v[4:5] op_sel_hi:[0,1,1]
	v_cvt_f32_f16_sdwa v9, v13 dst_sel:DWORD dst_unused:UNUSED_PAD src0_sel:WORD_1
	v_cvt_f32_f16_e32 v8, v13
	;; [unrolled: 3-line block ×3, first 2 shown]
	v_pk_fma_f32 v[4:5], v[10:11], v[6:7], v[4:5] op_sel_hi:[0,1,1]
	global_store_dwordx2 v[2:3], v[4:5], off offset:512
.LBB30_135:                             ;   in Loop: Header=BB30_14 Depth=1
	s_or_b64 exec, exec, s[36:37]
	s_movk_i32 s36, 0x47
	v_cmp_gt_i32_e32 vcc, s36, v1
	s_mov_b64 s[36:37], -1
	s_and_saveexec_b64 s[38:39], vcc
; %bb.136:                              ;   in Loop: Header=BB30_14 Depth=1
	v_cmp_eq_u32_e32 vcc, 0, v1
	s_orn2_b64 s[36:37], vcc, exec
; %bb.137:                              ;   in Loop: Header=BB30_14 Depth=1
	s_or_b64 exec, exec, s[38:39]
	s_and_b64 exec, exec, s[36:37]
	s_cbranch_execz .LBB30_180
; %bb.138:                              ;   in Loop: Header=BB30_14 Depth=1
	v_accvgpr_read_b32 v0, a18
	v_add_u32_e32 v2, v0, v194
	v_cmp_gt_i32_e32 vcc, s76, v2
	v_mov_b32_e32 v1, 0x47
	s_and_saveexec_b64 s[36:37], vcc
	s_cbranch_execz .LBB30_140
; %bb.139:                              ;   in Loop: Header=BB30_14 Depth=1
	v_accvgpr_read_b32 v0, a35
	ds_read2st64_b32 v[4:5], v0 offset0:2 offset1:35
	ds_read2st64_b32 v[6:7], v0 offset0:68 offset1:101
	v_accvgpr_read_b32 v0, a49
	ds_read2st64_b32 v[8:9], v0 offset1:1
	ds_read2st64_b32 v[10:11], v0 offset0:33 offset1:34
	ds_read2st64_b32 v[12:13], v0 offset0:66 offset1:67
	;; [unrolled: 1-line block ×3, first 2 shown]
	v_readlane_b32 s38, v255, 40
	s_waitcnt lgkmcnt(3)
	v_cvt_f32_f16_sdwa v19, v8 dst_sel:DWORD dst_unused:UNUSED_PAD src0_sel:WORD_1
	v_cvt_f32_f16_e32 v18, v8
	s_waitcnt lgkmcnt(2)
	v_cvt_f32_f16_sdwa v21, v10 dst_sel:DWORD dst_unused:UNUSED_PAD src0_sel:WORD_1
	v_cvt_f32_f16_e32 v20, v10
	v_mov_b32_e32 v8, v5
	v_pk_fma_f32 v[18:19], v[4:5], v[18:19], 0 op_sel_hi:[0,1,0]
	v_mul_lo_u32 v2, s38, v2
	v_pk_fma_f32 v[18:19], v[8:9], v[20:21], v[18:19] op_sel_hi:[0,1,1]
	s_waitcnt lgkmcnt(1)
	v_cvt_f32_f16_sdwa v21, v12 dst_sel:DWORD dst_unused:UNUSED_PAD src0_sel:WORD_1
	v_cvt_f32_f16_e32 v20, v12
	v_add_u32_e32 v16, v44, v2
	v_ashrrev_i32_e32 v17, 31, v16
	v_mov_b32_e32 v10, v7
	v_pk_fma_f32 v[18:19], v[6:7], v[20:21], v[18:19] op_sel_hi:[0,1,1]
	s_waitcnt lgkmcnt(0)
	v_cvt_f32_f16_sdwa v21, v14 dst_sel:DWORD dst_unused:UNUSED_PAD src0_sel:WORD_1
	v_cvt_f32_f16_e32 v20, v14
	v_lshl_add_u64 v[16:17], v[16:17], 3, v[120:121]
	v_ashrrev_i32_e32 v3, 31, v2
	v_lshl_add_u64 v[2:3], v[44:45], 0, v[2:3]
	v_pk_fma_f32 v[18:19], v[10:11], v[20:21], v[18:19] op_sel_hi:[0,1,1]
	global_store_dwordx2 v[16:17], v[18:19], off
	v_cvt_f32_f16_sdwa v17, v9 dst_sel:DWORD dst_unused:UNUSED_PAD src0_sel:WORD_1
	v_cvt_f32_f16_e32 v16, v9
	v_lshl_add_u64 v[2:3], v[2:3], 3, v[120:121]
	v_mov_b32_e32 v1, 0
	v_pk_fma_f32 v[4:5], v[4:5], v[16:17], 0 op_sel_hi:[0,1,0]
	v_cvt_f32_f16_sdwa v17, v11 dst_sel:DWORD dst_unused:UNUSED_PAD src0_sel:WORD_1
	v_cvt_f32_f16_e32 v16, v11
	v_pk_fma_f32 v[4:5], v[8:9], v[16:17], v[4:5] op_sel_hi:[0,1,1]
	v_cvt_f32_f16_sdwa v9, v13 dst_sel:DWORD dst_unused:UNUSED_PAD src0_sel:WORD_1
	v_cvt_f32_f16_e32 v8, v13
	;; [unrolled: 3-line block ×3, first 2 shown]
	v_pk_fma_f32 v[4:5], v[10:11], v[6:7], v[4:5] op_sel_hi:[0,1,1]
	global_store_dwordx2 v[2:3], v[4:5], off offset:512
.LBB30_140:                             ;   in Loop: Header=BB30_14 Depth=1
	s_or_b64 exec, exec, s[36:37]
	s_movk_i32 s36, 0x47
	v_cmp_gt_i32_e32 vcc, s36, v1
	s_mov_b64 s[36:37], -1
	s_and_saveexec_b64 s[38:39], vcc
; %bb.141:                              ;   in Loop: Header=BB30_14 Depth=1
	v_cmp_eq_u32_e32 vcc, 0, v1
	s_orn2_b64 s[36:37], vcc, exec
; %bb.142:                              ;   in Loop: Header=BB30_14 Depth=1
	s_or_b64 exec, exec, s[38:39]
	s_and_b64 exec, exec, s[36:37]
	s_cbranch_execz .LBB30_180
; %bb.143:                              ;   in Loop: Header=BB30_14 Depth=1
	v_accvgpr_read_b32 v0, a19
	v_add_u32_e32 v2, v0, v194
	v_cmp_gt_i32_e32 vcc, s76, v2
	v_mov_b32_e32 v1, 0x47
	s_and_saveexec_b64 s[36:37], vcc
	s_cbranch_execz .LBB30_145
; %bb.144:                              ;   in Loop: Header=BB30_14 Depth=1
	v_accvgpr_read_b32 v0, a36
	ds_read2st64_b32 v[4:5], v0 offset0:2 offset1:35
	ds_read2st64_b32 v[6:7], v0 offset0:68 offset1:101
	v_accvgpr_read_b32 v0, a50
	ds_read2st64_b32 v[8:9], v0 offset1:1
	ds_read2st64_b32 v[10:11], v0 offset0:33 offset1:34
	ds_read2st64_b32 v[12:13], v0 offset0:66 offset1:67
	;; [unrolled: 1-line block ×3, first 2 shown]
	v_readlane_b32 s38, v255, 40
	s_waitcnt lgkmcnt(3)
	v_cvt_f32_f16_sdwa v19, v8 dst_sel:DWORD dst_unused:UNUSED_PAD src0_sel:WORD_1
	v_cvt_f32_f16_e32 v18, v8
	s_waitcnt lgkmcnt(2)
	v_cvt_f32_f16_sdwa v21, v10 dst_sel:DWORD dst_unused:UNUSED_PAD src0_sel:WORD_1
	v_cvt_f32_f16_e32 v20, v10
	v_mov_b32_e32 v8, v5
	v_pk_fma_f32 v[18:19], v[4:5], v[18:19], 0 op_sel_hi:[0,1,0]
	v_mul_lo_u32 v2, s38, v2
	v_pk_fma_f32 v[18:19], v[8:9], v[20:21], v[18:19] op_sel_hi:[0,1,1]
	s_waitcnt lgkmcnt(1)
	v_cvt_f32_f16_sdwa v21, v12 dst_sel:DWORD dst_unused:UNUSED_PAD src0_sel:WORD_1
	v_cvt_f32_f16_e32 v20, v12
	v_add_u32_e32 v16, v44, v2
	v_ashrrev_i32_e32 v17, 31, v16
	v_mov_b32_e32 v10, v7
	v_pk_fma_f32 v[18:19], v[6:7], v[20:21], v[18:19] op_sel_hi:[0,1,1]
	s_waitcnt lgkmcnt(0)
	v_cvt_f32_f16_sdwa v21, v14 dst_sel:DWORD dst_unused:UNUSED_PAD src0_sel:WORD_1
	v_cvt_f32_f16_e32 v20, v14
	v_lshl_add_u64 v[16:17], v[16:17], 3, v[120:121]
	v_ashrrev_i32_e32 v3, 31, v2
	v_lshl_add_u64 v[2:3], v[44:45], 0, v[2:3]
	v_pk_fma_f32 v[18:19], v[10:11], v[20:21], v[18:19] op_sel_hi:[0,1,1]
	global_store_dwordx2 v[16:17], v[18:19], off
	v_cvt_f32_f16_sdwa v17, v9 dst_sel:DWORD dst_unused:UNUSED_PAD src0_sel:WORD_1
	v_cvt_f32_f16_e32 v16, v9
	v_lshl_add_u64 v[2:3], v[2:3], 3, v[120:121]
	v_mov_b32_e32 v1, 0
	v_pk_fma_f32 v[4:5], v[4:5], v[16:17], 0 op_sel_hi:[0,1,0]
	v_cvt_f32_f16_sdwa v17, v11 dst_sel:DWORD dst_unused:UNUSED_PAD src0_sel:WORD_1
	v_cvt_f32_f16_e32 v16, v11
	v_pk_fma_f32 v[4:5], v[8:9], v[16:17], v[4:5] op_sel_hi:[0,1,1]
	v_cvt_f32_f16_sdwa v9, v13 dst_sel:DWORD dst_unused:UNUSED_PAD src0_sel:WORD_1
	v_cvt_f32_f16_e32 v8, v13
	;; [unrolled: 3-line block ×3, first 2 shown]
	v_pk_fma_f32 v[4:5], v[10:11], v[6:7], v[4:5] op_sel_hi:[0,1,1]
	global_store_dwordx2 v[2:3], v[4:5], off offset:512
.LBB30_145:                             ;   in Loop: Header=BB30_14 Depth=1
	s_or_b64 exec, exec, s[36:37]
	s_movk_i32 s36, 0x47
	v_cmp_gt_i32_e32 vcc, s36, v1
	s_mov_b64 s[36:37], -1
	s_and_saveexec_b64 s[38:39], vcc
; %bb.146:                              ;   in Loop: Header=BB30_14 Depth=1
	v_cmp_eq_u32_e32 vcc, 0, v1
	s_orn2_b64 s[36:37], vcc, exec
; %bb.147:                              ;   in Loop: Header=BB30_14 Depth=1
	s_or_b64 exec, exec, s[38:39]
	s_and_b64 exec, exec, s[36:37]
	s_cbranch_execz .LBB30_180
; %bb.148:                              ;   in Loop: Header=BB30_14 Depth=1
	v_accvgpr_read_b32 v0, a20
	v_add_u32_e32 v2, v0, v194
	v_cmp_gt_i32_e32 vcc, s76, v2
	v_mov_b32_e32 v1, 0x47
	s_and_saveexec_b64 s[36:37], vcc
	s_cbranch_execz .LBB30_150
; %bb.149:                              ;   in Loop: Header=BB30_14 Depth=1
	v_accvgpr_read_b32 v0, a37
	ds_read2st64_b32 v[4:5], v0 offset0:2 offset1:35
	ds_read2st64_b32 v[6:7], v0 offset0:68 offset1:101
	v_accvgpr_read_b32 v0, a51
	ds_read2st64_b32 v[8:9], v0 offset1:1
	ds_read2st64_b32 v[10:11], v0 offset0:33 offset1:34
	ds_read2st64_b32 v[12:13], v0 offset0:66 offset1:67
	;; [unrolled: 1-line block ×3, first 2 shown]
	v_readlane_b32 s38, v255, 40
	s_waitcnt lgkmcnt(3)
	v_cvt_f32_f16_sdwa v19, v8 dst_sel:DWORD dst_unused:UNUSED_PAD src0_sel:WORD_1
	v_cvt_f32_f16_e32 v18, v8
	s_waitcnt lgkmcnt(2)
	v_cvt_f32_f16_sdwa v21, v10 dst_sel:DWORD dst_unused:UNUSED_PAD src0_sel:WORD_1
	v_cvt_f32_f16_e32 v20, v10
	v_mov_b32_e32 v8, v5
	v_pk_fma_f32 v[18:19], v[4:5], v[18:19], 0 op_sel_hi:[0,1,0]
	v_mul_lo_u32 v2, s38, v2
	v_pk_fma_f32 v[18:19], v[8:9], v[20:21], v[18:19] op_sel_hi:[0,1,1]
	s_waitcnt lgkmcnt(1)
	v_cvt_f32_f16_sdwa v21, v12 dst_sel:DWORD dst_unused:UNUSED_PAD src0_sel:WORD_1
	v_cvt_f32_f16_e32 v20, v12
	v_add_u32_e32 v16, v44, v2
	v_ashrrev_i32_e32 v17, 31, v16
	v_mov_b32_e32 v10, v7
	v_pk_fma_f32 v[18:19], v[6:7], v[20:21], v[18:19] op_sel_hi:[0,1,1]
	s_waitcnt lgkmcnt(0)
	v_cvt_f32_f16_sdwa v21, v14 dst_sel:DWORD dst_unused:UNUSED_PAD src0_sel:WORD_1
	v_cvt_f32_f16_e32 v20, v14
	v_lshl_add_u64 v[16:17], v[16:17], 3, v[120:121]
	v_ashrrev_i32_e32 v3, 31, v2
	v_lshl_add_u64 v[2:3], v[44:45], 0, v[2:3]
	v_pk_fma_f32 v[18:19], v[10:11], v[20:21], v[18:19] op_sel_hi:[0,1,1]
	global_store_dwordx2 v[16:17], v[18:19], off
	v_cvt_f32_f16_sdwa v17, v9 dst_sel:DWORD dst_unused:UNUSED_PAD src0_sel:WORD_1
	v_cvt_f32_f16_e32 v16, v9
	v_lshl_add_u64 v[2:3], v[2:3], 3, v[120:121]
	v_mov_b32_e32 v1, 0
	v_pk_fma_f32 v[4:5], v[4:5], v[16:17], 0 op_sel_hi:[0,1,0]
	v_cvt_f32_f16_sdwa v17, v11 dst_sel:DWORD dst_unused:UNUSED_PAD src0_sel:WORD_1
	v_cvt_f32_f16_e32 v16, v11
	v_pk_fma_f32 v[4:5], v[8:9], v[16:17], v[4:5] op_sel_hi:[0,1,1]
	v_cvt_f32_f16_sdwa v9, v13 dst_sel:DWORD dst_unused:UNUSED_PAD src0_sel:WORD_1
	v_cvt_f32_f16_e32 v8, v13
	;; [unrolled: 3-line block ×3, first 2 shown]
	v_pk_fma_f32 v[4:5], v[10:11], v[6:7], v[4:5] op_sel_hi:[0,1,1]
	global_store_dwordx2 v[2:3], v[4:5], off offset:512
.LBB30_150:                             ;   in Loop: Header=BB30_14 Depth=1
	s_or_b64 exec, exec, s[36:37]
	s_movk_i32 s36, 0x47
	v_cmp_gt_i32_e32 vcc, s36, v1
	s_mov_b64 s[36:37], -1
	s_and_saveexec_b64 s[38:39], vcc
; %bb.151:                              ;   in Loop: Header=BB30_14 Depth=1
	v_cmp_eq_u32_e32 vcc, 0, v1
	s_orn2_b64 s[36:37], vcc, exec
; %bb.152:                              ;   in Loop: Header=BB30_14 Depth=1
	s_or_b64 exec, exec, s[38:39]
	s_and_b64 exec, exec, s[36:37]
	s_cbranch_execz .LBB30_180
; %bb.153:                              ;   in Loop: Header=BB30_14 Depth=1
	v_accvgpr_read_b32 v0, a21
	v_add_u32_e32 v2, v0, v194
	v_cmp_gt_i32_e32 vcc, s76, v2
	v_mov_b32_e32 v1, 0x47
	s_and_saveexec_b64 s[36:37], vcc
	s_cbranch_execz .LBB30_155
; %bb.154:                              ;   in Loop: Header=BB30_14 Depth=1
	v_accvgpr_read_b32 v0, a38
	ds_read2st64_b32 v[4:5], v0 offset0:2 offset1:35
	ds_read2st64_b32 v[6:7], v0 offset0:68 offset1:101
	v_accvgpr_read_b32 v0, a52
	ds_read2st64_b32 v[8:9], v0 offset1:1
	ds_read2st64_b32 v[10:11], v0 offset0:33 offset1:34
	ds_read2st64_b32 v[12:13], v0 offset0:66 offset1:67
	;; [unrolled: 1-line block ×3, first 2 shown]
	v_readlane_b32 s38, v255, 40
	s_waitcnt lgkmcnt(3)
	v_cvt_f32_f16_sdwa v19, v8 dst_sel:DWORD dst_unused:UNUSED_PAD src0_sel:WORD_1
	v_cvt_f32_f16_e32 v18, v8
	s_waitcnt lgkmcnt(2)
	v_cvt_f32_f16_sdwa v21, v10 dst_sel:DWORD dst_unused:UNUSED_PAD src0_sel:WORD_1
	v_cvt_f32_f16_e32 v20, v10
	v_mov_b32_e32 v8, v5
	v_pk_fma_f32 v[18:19], v[4:5], v[18:19], 0 op_sel_hi:[0,1,0]
	v_mul_lo_u32 v2, s38, v2
	v_pk_fma_f32 v[18:19], v[8:9], v[20:21], v[18:19] op_sel_hi:[0,1,1]
	s_waitcnt lgkmcnt(1)
	v_cvt_f32_f16_sdwa v21, v12 dst_sel:DWORD dst_unused:UNUSED_PAD src0_sel:WORD_1
	v_cvt_f32_f16_e32 v20, v12
	v_add_u32_e32 v16, v44, v2
	v_ashrrev_i32_e32 v17, 31, v16
	v_mov_b32_e32 v10, v7
	v_pk_fma_f32 v[18:19], v[6:7], v[20:21], v[18:19] op_sel_hi:[0,1,1]
	s_waitcnt lgkmcnt(0)
	v_cvt_f32_f16_sdwa v21, v14 dst_sel:DWORD dst_unused:UNUSED_PAD src0_sel:WORD_1
	v_cvt_f32_f16_e32 v20, v14
	v_lshl_add_u64 v[16:17], v[16:17], 3, v[120:121]
	v_ashrrev_i32_e32 v3, 31, v2
	v_lshl_add_u64 v[2:3], v[44:45], 0, v[2:3]
	v_pk_fma_f32 v[18:19], v[10:11], v[20:21], v[18:19] op_sel_hi:[0,1,1]
	global_store_dwordx2 v[16:17], v[18:19], off
	v_cvt_f32_f16_sdwa v17, v9 dst_sel:DWORD dst_unused:UNUSED_PAD src0_sel:WORD_1
	v_cvt_f32_f16_e32 v16, v9
	v_lshl_add_u64 v[2:3], v[2:3], 3, v[120:121]
	v_mov_b32_e32 v1, 0
	v_pk_fma_f32 v[4:5], v[4:5], v[16:17], 0 op_sel_hi:[0,1,0]
	v_cvt_f32_f16_sdwa v17, v11 dst_sel:DWORD dst_unused:UNUSED_PAD src0_sel:WORD_1
	v_cvt_f32_f16_e32 v16, v11
	v_pk_fma_f32 v[4:5], v[8:9], v[16:17], v[4:5] op_sel_hi:[0,1,1]
	v_cvt_f32_f16_sdwa v9, v13 dst_sel:DWORD dst_unused:UNUSED_PAD src0_sel:WORD_1
	v_cvt_f32_f16_e32 v8, v13
	;; [unrolled: 3-line block ×3, first 2 shown]
	v_pk_fma_f32 v[4:5], v[10:11], v[6:7], v[4:5] op_sel_hi:[0,1,1]
	global_store_dwordx2 v[2:3], v[4:5], off offset:512
.LBB30_155:                             ;   in Loop: Header=BB30_14 Depth=1
	s_or_b64 exec, exec, s[36:37]
	s_movk_i32 s36, 0x47
	v_cmp_gt_i32_e32 vcc, s36, v1
	s_mov_b64 s[36:37], -1
	s_and_saveexec_b64 s[38:39], vcc
; %bb.156:                              ;   in Loop: Header=BB30_14 Depth=1
	v_cmp_eq_u32_e32 vcc, 0, v1
	s_orn2_b64 s[36:37], vcc, exec
; %bb.157:                              ;   in Loop: Header=BB30_14 Depth=1
	s_or_b64 exec, exec, s[38:39]
	s_and_b64 exec, exec, s[36:37]
	s_cbranch_execz .LBB30_180
; %bb.158:                              ;   in Loop: Header=BB30_14 Depth=1
	v_accvgpr_read_b32 v0, a22
	v_add_u32_e32 v2, v0, v194
	v_cmp_gt_i32_e32 vcc, s76, v2
	v_mov_b32_e32 v1, 0x47
	s_and_saveexec_b64 s[36:37], vcc
	s_cbranch_execz .LBB30_160
; %bb.159:                              ;   in Loop: Header=BB30_14 Depth=1
	v_accvgpr_read_b32 v0, a39
	ds_read2st64_b32 v[4:5], v0 offset0:2 offset1:35
	ds_read2st64_b32 v[6:7], v0 offset0:68 offset1:101
	v_accvgpr_read_b32 v0, a53
	ds_read2st64_b32 v[8:9], v0 offset1:1
	ds_read2st64_b32 v[10:11], v0 offset0:33 offset1:34
	ds_read2st64_b32 v[12:13], v0 offset0:66 offset1:67
	;; [unrolled: 1-line block ×3, first 2 shown]
	v_readlane_b32 s38, v255, 40
	s_waitcnt lgkmcnt(3)
	v_cvt_f32_f16_sdwa v19, v8 dst_sel:DWORD dst_unused:UNUSED_PAD src0_sel:WORD_1
	v_cvt_f32_f16_e32 v18, v8
	s_waitcnt lgkmcnt(2)
	v_cvt_f32_f16_sdwa v21, v10 dst_sel:DWORD dst_unused:UNUSED_PAD src0_sel:WORD_1
	v_cvt_f32_f16_e32 v20, v10
	v_mov_b32_e32 v8, v5
	v_pk_fma_f32 v[18:19], v[4:5], v[18:19], 0 op_sel_hi:[0,1,0]
	v_mul_lo_u32 v2, s38, v2
	v_pk_fma_f32 v[18:19], v[8:9], v[20:21], v[18:19] op_sel_hi:[0,1,1]
	s_waitcnt lgkmcnt(1)
	v_cvt_f32_f16_sdwa v21, v12 dst_sel:DWORD dst_unused:UNUSED_PAD src0_sel:WORD_1
	v_cvt_f32_f16_e32 v20, v12
	v_add_u32_e32 v16, v44, v2
	v_ashrrev_i32_e32 v17, 31, v16
	v_mov_b32_e32 v10, v7
	v_pk_fma_f32 v[18:19], v[6:7], v[20:21], v[18:19] op_sel_hi:[0,1,1]
	s_waitcnt lgkmcnt(0)
	v_cvt_f32_f16_sdwa v21, v14 dst_sel:DWORD dst_unused:UNUSED_PAD src0_sel:WORD_1
	v_cvt_f32_f16_e32 v20, v14
	v_lshl_add_u64 v[16:17], v[16:17], 3, v[120:121]
	v_ashrrev_i32_e32 v3, 31, v2
	v_lshl_add_u64 v[2:3], v[44:45], 0, v[2:3]
	v_pk_fma_f32 v[18:19], v[10:11], v[20:21], v[18:19] op_sel_hi:[0,1,1]
	global_store_dwordx2 v[16:17], v[18:19], off
	v_cvt_f32_f16_sdwa v17, v9 dst_sel:DWORD dst_unused:UNUSED_PAD src0_sel:WORD_1
	v_cvt_f32_f16_e32 v16, v9
	v_lshl_add_u64 v[2:3], v[2:3], 3, v[120:121]
	v_mov_b32_e32 v1, 0
	v_pk_fma_f32 v[4:5], v[4:5], v[16:17], 0 op_sel_hi:[0,1,0]
	v_cvt_f32_f16_sdwa v17, v11 dst_sel:DWORD dst_unused:UNUSED_PAD src0_sel:WORD_1
	v_cvt_f32_f16_e32 v16, v11
	v_pk_fma_f32 v[4:5], v[8:9], v[16:17], v[4:5] op_sel_hi:[0,1,1]
	v_cvt_f32_f16_sdwa v9, v13 dst_sel:DWORD dst_unused:UNUSED_PAD src0_sel:WORD_1
	v_cvt_f32_f16_e32 v8, v13
	;; [unrolled: 3-line block ×3, first 2 shown]
	v_pk_fma_f32 v[4:5], v[10:11], v[6:7], v[4:5] op_sel_hi:[0,1,1]
	global_store_dwordx2 v[2:3], v[4:5], off offset:512
.LBB30_160:                             ;   in Loop: Header=BB30_14 Depth=1
	s_or_b64 exec, exec, s[36:37]
	s_movk_i32 s36, 0x47
	v_cmp_gt_i32_e32 vcc, s36, v1
	s_mov_b64 s[36:37], -1
	s_and_saveexec_b64 s[38:39], vcc
; %bb.161:                              ;   in Loop: Header=BB30_14 Depth=1
	v_cmp_eq_u32_e32 vcc, 0, v1
	s_orn2_b64 s[36:37], vcc, exec
; %bb.162:                              ;   in Loop: Header=BB30_14 Depth=1
	s_or_b64 exec, exec, s[38:39]
	s_and_b64 exec, exec, s[36:37]
	s_cbranch_execz .LBB30_180
; %bb.163:                              ;   in Loop: Header=BB30_14 Depth=1
	v_accvgpr_read_b32 v0, a23
	v_add_u32_e32 v2, v0, v194
	v_cmp_gt_i32_e32 vcc, s76, v2
	v_mov_b32_e32 v1, 0x47
	s_and_saveexec_b64 s[36:37], vcc
	s_cbranch_execz .LBB30_165
; %bb.164:                              ;   in Loop: Header=BB30_14 Depth=1
	v_accvgpr_read_b32 v0, a40
	ds_read2st64_b32 v[4:5], v0 offset0:2 offset1:35
	ds_read2st64_b32 v[6:7], v0 offset0:68 offset1:101
	v_accvgpr_read_b32 v0, a54
	ds_read2st64_b32 v[8:9], v0 offset1:1
	ds_read2st64_b32 v[10:11], v0 offset0:33 offset1:34
	ds_read2st64_b32 v[12:13], v0 offset0:66 offset1:67
	;; [unrolled: 1-line block ×3, first 2 shown]
	v_readlane_b32 s38, v255, 40
	s_waitcnt lgkmcnt(3)
	v_cvt_f32_f16_sdwa v19, v8 dst_sel:DWORD dst_unused:UNUSED_PAD src0_sel:WORD_1
	v_cvt_f32_f16_e32 v18, v8
	s_waitcnt lgkmcnt(2)
	v_cvt_f32_f16_sdwa v21, v10 dst_sel:DWORD dst_unused:UNUSED_PAD src0_sel:WORD_1
	v_cvt_f32_f16_e32 v20, v10
	v_mov_b32_e32 v8, v5
	v_pk_fma_f32 v[18:19], v[4:5], v[18:19], 0 op_sel_hi:[0,1,0]
	v_mul_lo_u32 v2, s38, v2
	v_pk_fma_f32 v[18:19], v[8:9], v[20:21], v[18:19] op_sel_hi:[0,1,1]
	s_waitcnt lgkmcnt(1)
	v_cvt_f32_f16_sdwa v21, v12 dst_sel:DWORD dst_unused:UNUSED_PAD src0_sel:WORD_1
	v_cvt_f32_f16_e32 v20, v12
	v_add_u32_e32 v16, v44, v2
	v_ashrrev_i32_e32 v17, 31, v16
	v_mov_b32_e32 v10, v7
	v_pk_fma_f32 v[18:19], v[6:7], v[20:21], v[18:19] op_sel_hi:[0,1,1]
	s_waitcnt lgkmcnt(0)
	v_cvt_f32_f16_sdwa v21, v14 dst_sel:DWORD dst_unused:UNUSED_PAD src0_sel:WORD_1
	v_cvt_f32_f16_e32 v20, v14
	v_lshl_add_u64 v[16:17], v[16:17], 3, v[120:121]
	v_ashrrev_i32_e32 v3, 31, v2
	v_lshl_add_u64 v[2:3], v[44:45], 0, v[2:3]
	v_pk_fma_f32 v[18:19], v[10:11], v[20:21], v[18:19] op_sel_hi:[0,1,1]
	global_store_dwordx2 v[16:17], v[18:19], off
	v_cvt_f32_f16_sdwa v17, v9 dst_sel:DWORD dst_unused:UNUSED_PAD src0_sel:WORD_1
	v_cvt_f32_f16_e32 v16, v9
	v_lshl_add_u64 v[2:3], v[2:3], 3, v[120:121]
	v_mov_b32_e32 v1, 0
	v_pk_fma_f32 v[4:5], v[4:5], v[16:17], 0 op_sel_hi:[0,1,0]
	v_cvt_f32_f16_sdwa v17, v11 dst_sel:DWORD dst_unused:UNUSED_PAD src0_sel:WORD_1
	v_cvt_f32_f16_e32 v16, v11
	v_pk_fma_f32 v[4:5], v[8:9], v[16:17], v[4:5] op_sel_hi:[0,1,1]
	v_cvt_f32_f16_sdwa v9, v13 dst_sel:DWORD dst_unused:UNUSED_PAD src0_sel:WORD_1
	v_cvt_f32_f16_e32 v8, v13
	;; [unrolled: 3-line block ×3, first 2 shown]
	v_pk_fma_f32 v[4:5], v[10:11], v[6:7], v[4:5] op_sel_hi:[0,1,1]
	global_store_dwordx2 v[2:3], v[4:5], off offset:512
.LBB30_165:                             ;   in Loop: Header=BB30_14 Depth=1
	s_or_b64 exec, exec, s[36:37]
	s_movk_i32 s36, 0x47
	v_cmp_gt_i32_e32 vcc, s36, v1
	s_mov_b64 s[36:37], -1
	s_and_saveexec_b64 s[38:39], vcc
; %bb.166:                              ;   in Loop: Header=BB30_14 Depth=1
	v_cmp_eq_u32_e32 vcc, 0, v1
	s_orn2_b64 s[36:37], vcc, exec
; %bb.167:                              ;   in Loop: Header=BB30_14 Depth=1
	s_or_b64 exec, exec, s[38:39]
	s_and_b64 exec, exec, s[36:37]
	s_cbranch_execz .LBB30_180
; %bb.168:                              ;   in Loop: Header=BB30_14 Depth=1
	v_accvgpr_read_b32 v0, a24
	v_add_u32_e32 v2, v0, v194
	v_cmp_gt_i32_e32 vcc, s76, v2
	v_mov_b32_e32 v1, 0x47
	s_and_saveexec_b64 s[36:37], vcc
	s_cbranch_execz .LBB30_170
; %bb.169:                              ;   in Loop: Header=BB30_14 Depth=1
	v_accvgpr_read_b32 v0, a41
	ds_read2st64_b32 v[4:5], v0 offset0:2 offset1:35
	ds_read2st64_b32 v[6:7], v0 offset0:68 offset1:101
	v_accvgpr_read_b32 v0, a55
	ds_read2st64_b32 v[8:9], v0 offset1:1
	ds_read2st64_b32 v[10:11], v0 offset0:33 offset1:34
	ds_read2st64_b32 v[12:13], v0 offset0:66 offset1:67
	;; [unrolled: 1-line block ×3, first 2 shown]
	v_readlane_b32 s38, v255, 40
	s_waitcnt lgkmcnt(3)
	v_cvt_f32_f16_sdwa v19, v8 dst_sel:DWORD dst_unused:UNUSED_PAD src0_sel:WORD_1
	v_cvt_f32_f16_e32 v18, v8
	s_waitcnt lgkmcnt(2)
	v_cvt_f32_f16_sdwa v21, v10 dst_sel:DWORD dst_unused:UNUSED_PAD src0_sel:WORD_1
	v_cvt_f32_f16_e32 v20, v10
	v_mov_b32_e32 v8, v5
	v_pk_fma_f32 v[18:19], v[4:5], v[18:19], 0 op_sel_hi:[0,1,0]
	v_mul_lo_u32 v2, s38, v2
	v_pk_fma_f32 v[18:19], v[8:9], v[20:21], v[18:19] op_sel_hi:[0,1,1]
	s_waitcnt lgkmcnt(1)
	v_cvt_f32_f16_sdwa v21, v12 dst_sel:DWORD dst_unused:UNUSED_PAD src0_sel:WORD_1
	v_cvt_f32_f16_e32 v20, v12
	v_add_u32_e32 v16, v44, v2
	v_ashrrev_i32_e32 v17, 31, v16
	v_mov_b32_e32 v10, v7
	v_pk_fma_f32 v[18:19], v[6:7], v[20:21], v[18:19] op_sel_hi:[0,1,1]
	s_waitcnt lgkmcnt(0)
	v_cvt_f32_f16_sdwa v21, v14 dst_sel:DWORD dst_unused:UNUSED_PAD src0_sel:WORD_1
	v_cvt_f32_f16_e32 v20, v14
	v_lshl_add_u64 v[16:17], v[16:17], 3, v[120:121]
	v_ashrrev_i32_e32 v3, 31, v2
	v_lshl_add_u64 v[2:3], v[44:45], 0, v[2:3]
	v_pk_fma_f32 v[18:19], v[10:11], v[20:21], v[18:19] op_sel_hi:[0,1,1]
	global_store_dwordx2 v[16:17], v[18:19], off
	v_cvt_f32_f16_sdwa v17, v9 dst_sel:DWORD dst_unused:UNUSED_PAD src0_sel:WORD_1
	v_cvt_f32_f16_e32 v16, v9
	v_lshl_add_u64 v[2:3], v[2:3], 3, v[120:121]
	v_mov_b32_e32 v1, 0
	v_pk_fma_f32 v[4:5], v[4:5], v[16:17], 0 op_sel_hi:[0,1,0]
	v_cvt_f32_f16_sdwa v17, v11 dst_sel:DWORD dst_unused:UNUSED_PAD src0_sel:WORD_1
	v_cvt_f32_f16_e32 v16, v11
	v_pk_fma_f32 v[4:5], v[8:9], v[16:17], v[4:5] op_sel_hi:[0,1,1]
	v_cvt_f32_f16_sdwa v9, v13 dst_sel:DWORD dst_unused:UNUSED_PAD src0_sel:WORD_1
	v_cvt_f32_f16_e32 v8, v13
	;; [unrolled: 3-line block ×3, first 2 shown]
	v_pk_fma_f32 v[4:5], v[10:11], v[6:7], v[4:5] op_sel_hi:[0,1,1]
	global_store_dwordx2 v[2:3], v[4:5], off offset:512
.LBB30_170:                             ;   in Loop: Header=BB30_14 Depth=1
	s_or_b64 exec, exec, s[36:37]
	s_movk_i32 s36, 0x47
	v_cmp_gt_i32_e32 vcc, s36, v1
	s_mov_b64 s[36:37], -1
	s_and_saveexec_b64 s[38:39], vcc
; %bb.171:                              ;   in Loop: Header=BB30_14 Depth=1
	v_cmp_eq_u32_e32 vcc, 0, v1
	s_orn2_b64 s[36:37], vcc, exec
; %bb.172:                              ;   in Loop: Header=BB30_14 Depth=1
	s_or_b64 exec, exec, s[38:39]
	s_and_b64 exec, exec, s[36:37]
	s_cbranch_execz .LBB30_180
; %bb.173:                              ;   in Loop: Header=BB30_14 Depth=1
	v_accvgpr_read_b32 v0, a25
	v_add_u32_e32 v2, v0, v194
	v_cmp_gt_i32_e32 vcc, s76, v2
	v_mov_b32_e32 v1, 0x47
	s_and_saveexec_b64 s[36:37], vcc
	s_cbranch_execz .LBB30_175
; %bb.174:                              ;   in Loop: Header=BB30_14 Depth=1
	v_accvgpr_read_b32 v0, a42
	ds_read2st64_b32 v[4:5], v0 offset0:2 offset1:35
	ds_read2st64_b32 v[6:7], v0 offset0:68 offset1:101
	v_accvgpr_read_b32 v0, a56
	ds_read2st64_b32 v[8:9], v0 offset1:1
	ds_read2st64_b32 v[10:11], v0 offset0:33 offset1:34
	ds_read2st64_b32 v[12:13], v0 offset0:66 offset1:67
	;; [unrolled: 1-line block ×3, first 2 shown]
	v_readlane_b32 s38, v255, 40
	s_waitcnt lgkmcnt(3)
	v_cvt_f32_f16_sdwa v19, v8 dst_sel:DWORD dst_unused:UNUSED_PAD src0_sel:WORD_1
	v_cvt_f32_f16_e32 v18, v8
	s_waitcnt lgkmcnt(2)
	v_cvt_f32_f16_sdwa v21, v10 dst_sel:DWORD dst_unused:UNUSED_PAD src0_sel:WORD_1
	v_cvt_f32_f16_e32 v20, v10
	v_mov_b32_e32 v8, v5
	v_pk_fma_f32 v[18:19], v[4:5], v[18:19], 0 op_sel_hi:[0,1,0]
	v_mul_lo_u32 v2, s38, v2
	v_pk_fma_f32 v[18:19], v[8:9], v[20:21], v[18:19] op_sel_hi:[0,1,1]
	s_waitcnt lgkmcnt(1)
	v_cvt_f32_f16_sdwa v21, v12 dst_sel:DWORD dst_unused:UNUSED_PAD src0_sel:WORD_1
	v_cvt_f32_f16_e32 v20, v12
	v_add_u32_e32 v16, v44, v2
	v_ashrrev_i32_e32 v17, 31, v16
	v_mov_b32_e32 v10, v7
	v_pk_fma_f32 v[18:19], v[6:7], v[20:21], v[18:19] op_sel_hi:[0,1,1]
	s_waitcnt lgkmcnt(0)
	v_cvt_f32_f16_sdwa v21, v14 dst_sel:DWORD dst_unused:UNUSED_PAD src0_sel:WORD_1
	v_cvt_f32_f16_e32 v20, v14
	v_lshl_add_u64 v[16:17], v[16:17], 3, v[120:121]
	v_ashrrev_i32_e32 v3, 31, v2
	v_lshl_add_u64 v[2:3], v[44:45], 0, v[2:3]
	v_pk_fma_f32 v[18:19], v[10:11], v[20:21], v[18:19] op_sel_hi:[0,1,1]
	global_store_dwordx2 v[16:17], v[18:19], off
	v_cvt_f32_f16_sdwa v17, v9 dst_sel:DWORD dst_unused:UNUSED_PAD src0_sel:WORD_1
	v_cvt_f32_f16_e32 v16, v9
	v_lshl_add_u64 v[2:3], v[2:3], 3, v[120:121]
	v_mov_b32_e32 v1, 0
	v_pk_fma_f32 v[4:5], v[4:5], v[16:17], 0 op_sel_hi:[0,1,0]
	v_cvt_f32_f16_sdwa v17, v11 dst_sel:DWORD dst_unused:UNUSED_PAD src0_sel:WORD_1
	v_cvt_f32_f16_e32 v16, v11
	v_pk_fma_f32 v[4:5], v[8:9], v[16:17], v[4:5] op_sel_hi:[0,1,1]
	v_cvt_f32_f16_sdwa v9, v13 dst_sel:DWORD dst_unused:UNUSED_PAD src0_sel:WORD_1
	v_cvt_f32_f16_e32 v8, v13
	;; [unrolled: 3-line block ×3, first 2 shown]
	v_pk_fma_f32 v[4:5], v[10:11], v[6:7], v[4:5] op_sel_hi:[0,1,1]
	global_store_dwordx2 v[2:3], v[4:5], off offset:512
.LBB30_175:                             ;   in Loop: Header=BB30_14 Depth=1
	s_or_b64 exec, exec, s[36:37]
	s_movk_i32 s36, 0x47
	v_cmp_gt_i32_e32 vcc, s36, v1
	s_mov_b64 s[36:37], -1
	s_and_saveexec_b64 s[38:39], vcc
; %bb.176:                              ;   in Loop: Header=BB30_14 Depth=1
	v_cmp_eq_u32_e32 vcc, 0, v1
	s_orn2_b64 s[36:37], vcc, exec
; %bb.177:                              ;   in Loop: Header=BB30_14 Depth=1
	s_or_b64 exec, exec, s[38:39]
	s_and_b64 exec, exec, s[36:37]
	s_cbranch_execz .LBB30_180
; %bb.178:                              ;   in Loop: Header=BB30_14 Depth=1
	v_accvgpr_read_b32 v0, a26
	v_add_u32_e32 v1, v0, v194
	v_cmp_gt_i32_e32 vcc, s76, v1
	s_and_b64 exec, exec, vcc
	s_cbranch_execz .LBB30_180
; %bb.179:                              ;   in Loop: Header=BB30_14 Depth=1
	v_accvgpr_read_b32 v0, a43
	ds_read2st64_b32 v[4:5], v0 offset0:2 offset1:35
	ds_read2st64_b32 v[6:7], v0 offset0:68 offset1:101
	v_accvgpr_read_b32 v0, a57
	ds_read2st64_b32 v[8:9], v0 offset1:1
	ds_read2st64_b32 v[10:11], v0 offset0:33 offset1:34
	ds_read2st64_b32 v[12:13], v0 offset0:66 offset1:67
	;; [unrolled: 1-line block ×3, first 2 shown]
	v_readlane_b32 s36, v255, 40
	s_waitcnt lgkmcnt(3)
	v_cvt_f32_f16_sdwa v19, v8 dst_sel:DWORD dst_unused:UNUSED_PAD src0_sel:WORD_1
	v_cvt_f32_f16_e32 v18, v8
	s_waitcnt lgkmcnt(2)
	v_cvt_f32_f16_sdwa v21, v10 dst_sel:DWORD dst_unused:UNUSED_PAD src0_sel:WORD_1
	v_cvt_f32_f16_e32 v20, v10
	v_mov_b32_e32 v8, v5
	v_pk_fma_f32 v[18:19], v[4:5], v[18:19], 0 op_sel_hi:[0,1,0]
	v_mul_lo_u32 v2, s36, v1
	v_pk_fma_f32 v[18:19], v[8:9], v[20:21], v[18:19] op_sel_hi:[0,1,1]
	s_waitcnt lgkmcnt(1)
	v_cvt_f32_f16_sdwa v21, v12 dst_sel:DWORD dst_unused:UNUSED_PAD src0_sel:WORD_1
	v_cvt_f32_f16_e32 v20, v12
	v_add_u32_e32 v16, v44, v2
	v_ashrrev_i32_e32 v17, 31, v16
	v_mov_b32_e32 v10, v7
	v_pk_fma_f32 v[18:19], v[6:7], v[20:21], v[18:19] op_sel_hi:[0,1,1]
	s_waitcnt lgkmcnt(0)
	v_cvt_f32_f16_sdwa v21, v14 dst_sel:DWORD dst_unused:UNUSED_PAD src0_sel:WORD_1
	v_cvt_f32_f16_e32 v20, v14
	v_lshl_add_u64 v[16:17], v[16:17], 3, v[120:121]
	v_ashrrev_i32_e32 v3, 31, v2
	v_lshl_add_u64 v[2:3], v[44:45], 0, v[2:3]
	v_pk_fma_f32 v[18:19], v[10:11], v[20:21], v[18:19] op_sel_hi:[0,1,1]
	global_store_dwordx2 v[16:17], v[18:19], off
	v_cvt_f32_f16_sdwa v17, v9 dst_sel:DWORD dst_unused:UNUSED_PAD src0_sel:WORD_1
	v_cvt_f32_f16_e32 v16, v9
	v_lshl_add_u64 v[2:3], v[2:3], 3, v[120:121]
	v_pk_fma_f32 v[4:5], v[4:5], v[16:17], 0 op_sel_hi:[0,1,0]
	v_cvt_f32_f16_sdwa v17, v11 dst_sel:DWORD dst_unused:UNUSED_PAD src0_sel:WORD_1
	v_cvt_f32_f16_e32 v16, v11
	v_pk_fma_f32 v[4:5], v[8:9], v[16:17], v[4:5] op_sel_hi:[0,1,1]
	v_cvt_f32_f16_sdwa v9, v13 dst_sel:DWORD dst_unused:UNUSED_PAD src0_sel:WORD_1
	v_cvt_f32_f16_e32 v8, v13
	v_pk_fma_f32 v[4:5], v[6:7], v[8:9], v[4:5] op_sel_hi:[0,1,1]
	v_cvt_f32_f16_sdwa v7, v15 dst_sel:DWORD dst_unused:UNUSED_PAD src0_sel:WORD_1
	v_cvt_f32_f16_e32 v6, v15
	v_pk_fma_f32 v[4:5], v[10:11], v[6:7], v[4:5] op_sel_hi:[0,1,1]
	global_store_dwordx2 v[2:3], v[4:5], off offset:512
.LBB30_180:                             ;   in Loop: Header=BB30_14 Depth=1
	s_or_b64 exec, exec, s[34:35]
	s_barrier
	s_branch .LBB30_13
.LBB30_181:                             ;   in Loop: Header=BB30_14 Depth=1
	v_cmp_le_i32_e32 vcc, s76, v193
	s_and_saveexec_b64 s[34:35], vcc
	s_xor_b64 s[34:35], exec, s[34:35]
; %bb.182:                              ;   in Loop: Header=BB30_14 Depth=1
	v_add_u32_e32 v1, v226, v235
	ds_write2st64_b32 v1, v47, v47 offset1:1
; %bb.183:                              ;   in Loop: Header=BB30_14 Depth=1
	s_andn2_saveexec_b64 s[34:35], s[34:35]
	s_cbranch_execz .LBB30_185
; %bb.184:                              ;   in Loop: Header=BB30_14 Depth=1
	v_mad_u64_u32 v[2:3], s[36:37], v193, s97, v[44:45]
	v_ashrrev_i32_e32 v3, 31, v2
	v_lshl_add_u64 v[2:3], v[2:3], 3, v[140:141]
	global_load_dwordx2 v[4:5], v[2:3], off
	s_nop 0
	global_load_dwordx2 v[2:3], v[2:3], off offset:512
	s_waitcnt vmcnt(1)
	v_cvt_pk_f16_f32 v1, v4, v5
	s_waitcnt vmcnt(0)
	v_cvt_pk_f16_f32 v2, v2, v3
	v_pk_mul_f16 v1, v1, v244
	v_pk_mul_f16 v2, v2, v244
	ds_write2st64_b32 v234, v1, v2 offset1:1
.LBB30_185:                             ;   in Loop: Header=BB30_14 Depth=1
	s_or_b64 exec, exec, s[34:35]
	v_add_u32_e32 v225, v177, v194
	v_cmp_le_i32_e32 vcc, s76, v225
	s_and_saveexec_b64 s[34:35], vcc
	s_xor_b64 s[34:35], exec, s[34:35]
; %bb.186:                              ;   in Loop: Header=BB30_14 Depth=1
	v_add_u32_e32 v1, v226, v235
	v_add_u32_e32 v1, 64, v1
	ds_write2st64_b32 v1, v47, v47 offset0:8 offset1:9
; %bb.187:                              ;   in Loop: Header=BB30_14 Depth=1
	s_andn2_saveexec_b64 s[34:35], s[34:35]
	s_cbranch_execz .LBB30_189
; %bb.188:                              ;   in Loop: Header=BB30_14 Depth=1
	v_mad_u64_u32 v[2:3], s[36:37], v225, s97, v[44:45]
	v_ashrrev_i32_e32 v3, 31, v2
	v_lshl_add_u64 v[2:3], v[2:3], 3, v[140:141]
	global_load_dwordx2 v[4:5], v[2:3], off
	s_nop 0
	global_load_dwordx2 v[2:3], v[2:3], off offset:512
	v_accvgpr_read_b32 v0, a62
	s_waitcnt vmcnt(1)
	v_cvt_pk_f16_f32 v1, v4, v5
	s_waitcnt vmcnt(0)
	v_cvt_pk_f16_f32 v2, v2, v3
	v_pk_mul_f16 v1, v1, v244
	v_pk_mul_f16 v2, v2, v244
	ds_write2st64_b32 v0, v1, v2 offset1:1
.LBB30_189:                             ;   in Loop: Header=BB30_14 Depth=1
	s_or_b64 exec, exec, s[34:35]
	v_add_u32_e32 v224, v49, v194
	v_cmp_le_i32_e32 vcc, s76, v224
	s_and_saveexec_b64 s[34:35], vcc
	s_xor_b64 s[34:35], exec, s[34:35]
; %bb.190:                              ;   in Loop: Header=BB30_14 Depth=1
	v_add_u32_e32 v1, v226, v235
	v_add_u32_e32 v1, 0x80, v1
	ds_write2st64_b32 v1, v47, v47 offset0:16 offset1:17
; %bb.191:                              ;   in Loop: Header=BB30_14 Depth=1
	s_andn2_saveexec_b64 s[34:35], s[34:35]
	s_cbranch_execz .LBB30_193
; %bb.192:                              ;   in Loop: Header=BB30_14 Depth=1
	v_mad_u64_u32 v[2:3], s[36:37], v224, s97, v[44:45]
	v_ashrrev_i32_e32 v3, 31, v2
	v_lshl_add_u64 v[2:3], v[2:3], 3, v[140:141]
	global_load_dwordx2 v[4:5], v[2:3], off
	s_nop 0
	global_load_dwordx2 v[2:3], v[2:3], off offset:512
	v_accvgpr_read_b32 v0, a63
	s_waitcnt vmcnt(1)
	v_cvt_pk_f16_f32 v1, v4, v5
	s_waitcnt vmcnt(0)
	v_cvt_pk_f16_f32 v2, v2, v3
	v_pk_mul_f16 v1, v1, v244
	v_pk_mul_f16 v2, v2, v244
	ds_write2st64_b32 v0, v1, v2 offset1:1
.LBB30_193:                             ;   in Loop: Header=BB30_14 Depth=1
	s_or_b64 exec, exec, s[34:35]
	v_add_u32_e32 v223, v43, v194
	v_cmp_le_i32_e32 vcc, s76, v223
	s_and_saveexec_b64 s[34:35], vcc
	s_xor_b64 s[34:35], exec, s[34:35]
; %bb.194:                              ;   in Loop: Header=BB30_14 Depth=1
	v_add_u32_e32 v1, v226, v235
	v_add_u32_e32 v1, 0xc0, v1
	ds_write2st64_b32 v1, v47, v47 offset0:24 offset1:25
                                        ; implicit-def: $vgpr140_vgpr141
; %bb.195:                              ;   in Loop: Header=BB30_14 Depth=1
	s_andn2_saveexec_b64 s[34:35], s[34:35]
	s_cbranch_execz .LBB30_197
; %bb.196:                              ;   in Loop: Header=BB30_14 Depth=1
	v_mad_u64_u32 v[2:3], s[36:37], v223, s97, v[44:45]
	v_ashrrev_i32_e32 v3, 31, v2
	v_lshl_add_u64 v[2:3], v[2:3], 3, v[140:141]
	global_load_dwordx2 v[4:5], v[2:3], off
	s_nop 0
	global_load_dwordx2 v[2:3], v[2:3], off offset:512
	v_accvgpr_read_b32 v0, a64
	s_waitcnt vmcnt(1)
	v_cvt_pk_f16_f32 v1, v4, v5
	s_waitcnt vmcnt(0)
	v_cvt_pk_f16_f32 v2, v2, v3
	v_pk_mul_f16 v1, v1, v244
	v_pk_mul_f16 v2, v2, v244
	ds_write2st64_b32 v0, v1, v2 offset1:1
.LBB30_197:                             ;   in Loop: Header=BB30_14 Depth=1
	s_or_b64 exec, exec, s[34:35]
	s_waitcnt lgkmcnt(0)
	s_barrier
	ds_read2_b64 v[30:33], v179 offset1:4
	ds_read2_b64 v[26:29], v179 offset0:8 offset1:12
	ds_read2_b64 v[22:25], v179 offset0:16 offset1:20
	;; [unrolled: 1-line block ×7, first 2 shown]
	v_cmp_gt_i32_e32 vcc, 2, v154
	v_cmp_ne_u64_e64 s[34:35], 0, v[128:129]
	s_waitcnt lgkmcnt(0)
	s_barrier
	s_cbranch_vccnz .LBB30_224
; %bb.198:                              ;   in Loop: Header=BB30_14 Depth=1
	v_mul_hi_u32 v34, s94, v225
	v_add_u32_e32 v34, v225, v34
	v_lshrrev_b32_e32 v34, s95, v34
	v_mul_lo_u32 v34, v34, s76
	v_sub_u32_e32 v36, v225, v34
	v_mul_hi_u32 v34, s94, v224
	v_add_u32_e32 v34, v224, v34
	v_lshrrev_b32_e32 v34, s95, v34
	v_mul_lo_u32 v34, v34, s76
	v_sub_u32_e32 v37, v224, v34
	v_mul_hi_u32 v34, s94, v223
	v_add_u32_e32 v34, v223, v34
	v_lshrrev_b32_e32 v34, s95, v34
	v_mul_lo_u32 v34, v34, s76
	v_sub_u32_e32 v38, v223, v34
	v_and_b32_e32 v34, 64, v243
	v_add_u32_e32 v34, 64, v34
	v_xor_b32_e32 v35, 32, v243
	v_cmp_lt_i32_e32 vcc, v35, v34
	v_mul_hi_u32 v1, s94, v193
	v_add_u32_e32 v1, v193, v1
	v_cndmask_b32_e32 v35, v243, v35, vcc
	v_lshlrev_b32_e32 v222, 2, v35
	v_xor_b32_e32 v35, 16, v243
	v_cmp_lt_i32_e32 vcc, v35, v34
	v_lshrrev_b32_e32 v1, s95, v1
	v_mul_lo_u32 v1, v1, s76
	v_cndmask_b32_e32 v34, v243, v35, vcc
	v_lshlrev_b32_e32 v221, 2, v34
	v_accvgpr_read_b32 v35, a29
	v_accvgpr_read_b32 v34, a28
	v_readlane_b32 s36, v255, 50
	v_sub_u32_e32 v1, v193, v1
	v_lshl_add_u64 v[34:35], v[128:129], 0, v[34:35]
	v_readlane_b32 s37, v255, 51
	s_mov_b32 s38, s36
	v_mad_i64_i32 v[142:143], s[36:37], s38, v1, v[34:35]
	v_accvgpr_read_b32 v0, a66
	v_mad_i64_i32 v[144:145], s[36:37], s38, v36, v[34:35]
	v_mad_i64_i32 v[146:147], s[36:37], s38, v37, v[34:35]
	;; [unrolled: 1-line block ×3, first 2 shown]
	v_lshl_add_u64 v[34:35], v[132:133], 0, v[134:135]
	v_accvgpr_read_b32 v1, a67
	v_lshl_add_u64 v[132:133], v[0:1], 0, v[34:35]
	v_accvgpr_read_b32 v0, a68
	v_accvgpr_read_b32 v1, a69
	v_lshl_add_u64 v[134:135], v[0:1], 0, v[34:35]
	v_accvgpr_read_b32 v0, a70
	;; [unrolled: 3-line block ×4, first 2 shown]
	v_accvgpr_read_b32 v1, a75
	v_add_u32_e32 v220, -1, v154
	v_lshl_add_u64 v[154:155], v[0:1], 0, v[34:35]
	v_accvgpr_read_b32 v0, a76
	v_accvgpr_read_b32 v1, a77
	v_lshl_add_u64 v[156:157], v[0:1], 0, v[34:35]
	v_accvgpr_read_b32 v0, a78
	v_accvgpr_read_b32 v1, a79
	;; [unrolled: 3-line block ×3, first 2 shown]
	v_lshl_add_u64 v[160:161], v[0:1], 0, v[34:35]
	v_accvgpr_read_b32 v0, a82
	v_lshl_add_u64 v[34:35], v[136:137], 0, v[138:139]
	v_accvgpr_read_b32 v1, a83
	;; [unrolled: 2-line block ×3, first 2 shown]
	v_accvgpr_read_b32 v1, a85
	v_lshl_add_u64 v[138:139], v[0:1], 0, v[34:35]
	v_accvgpr_read_b32 v0, a86
	v_accvgpr_read_b32 v1, a87
	v_lshl_add_u64 v[162:163], v[0:1], 0, v[34:35]
	v_accvgpr_read_b32 v0, a88
	v_accvgpr_read_b32 v1, a89
	v_lshl_add_u64 v[164:165], v[0:1], 0, v[34:35]
	v_accvgpr_read_b32 v0, a90
	v_accvgpr_read_b32 v1, a91
	v_lshl_add_u64 v[166:167], v[0:1], 0, v[34:35]
	v_accvgpr_read_b32 v0, a92
	v_accvgpr_read_b32 v1, a93
	v_lshl_add_u64 v[168:169], v[0:1], 0, v[34:35]
	v_accvgpr_read_b32 v0, a94
	v_accvgpr_read_b32 v1, a95
	v_lshl_add_u64 v[170:171], v[0:1], 0, v[34:35]
	v_accvgpr_read_b32 v0, a96
	v_accvgpr_read_b32 v1, a97
	v_mov_b32_e32 v140, v126
	v_mov_b32_e32 v141, v126
	v_lshl_add_u64 v[172:173], v[0:1], 0, v[34:35]
	v_mov_b32_e32 v219, 0
	v_mov_b32_e32 v101, 0xfeffffff
	;; [unrolled: 1-line block ×35, first 2 shown]
	s_andn2_b64 vcc, exec, s[34:35]
	s_cbranch_vccnz .LBB30_202
.LBB30_199:                             ;   in Loop: Header=BB30_14 Depth=1
	v_mov_b32_e32 v1, 0
	v_mov_b32_e32 v34, 0
	;; [unrolled: 1-line block ×4, first 2 shown]
	s_and_saveexec_b64 s[36:37], s[0:1]
	s_cbranch_execz .LBB30_201
; %bb.200:                              ;   in Loop: Header=BB30_14 Depth=1
	global_load_ushort v1, v[142:143], off
	global_load_ushort v34, v[144:145], off
	;; [unrolled: 1-line block ×4, first 2 shown]
.LBB30_201:                             ;   in Loop: Header=BB30_14 Depth=1
	s_or_b64 exec, exec, s[36:37]
	s_waitcnt vmcnt(3)
	ds_write_b16 v207, v1 offset:33792
	s_waitcnt vmcnt(2)
	ds_write_b16 v245, v34 offset:33792
	;; [unrolled: 2-line block ×4, first 2 shown]
.LBB30_202:                             ;   Parent Loop BB30_14 Depth=1
                                        ; =>  This Inner Loop Header: Depth=2
	v_lshl_add_u64 v[34:35], v[136:137], 0, v[84:85]
	v_mov_b32_e32 v1, s91
	v_cndmask_b32_e64 v35, v1, v35, s[6:7]
	v_cndmask_b32_e64 v34, v233, v34, s[6:7]
	scratch_store_dwordx4 off, a[4:7], off
	flat_load_dwordx4 v[34:37], v[34:35]
	v_lshl_add_u64 v[38:39], v[138:139], 0, v[84:85]
	v_cndmask_b32_e64 v39, v1, v39, s[8:9]
	v_cndmask_b32_e64 v38, v233, v38, s[8:9]
	s_waitcnt vmcnt(0) lgkmcnt(0)
	ds_write_b128 v181, v[34:37]
	flat_load_dwordx4 v[34:37], v[38:39]
	v_lshl_add_u64 v[38:39], v[162:163], 0, v[84:85]
	v_cndmask_b32_e64 v39, v1, v39, s[10:11]
	v_cndmask_b32_e64 v38, v233, v38, s[10:11]
	s_waitcnt vmcnt(0) lgkmcnt(0)
	ds_write_b128 v249, v[34:37]
	;; [unrolled: 6-line block ×7, first 2 shown]
	flat_load_dwordx4 v[34:37], v[38:39]
                                        ; implicit-def: $vgpr38
	s_waitcnt vmcnt(0) lgkmcnt(0)
	ds_write_b128 v236, v[34:37]
	s_waitcnt lgkmcnt(0)
	s_barrier
	ds_read2_b64 v[34:37], v182 offset1:4
	s_waitcnt lgkmcnt(0)
	v_mfma_f32_16x16x16_f16 a[0:3], v[34:35], v[30:31], 0
	v_mfma_f32_16x16x16_f16 a[0:3], v[36:37], v[32:33], a[0:3]
	ds_read2_b64 v[34:37], v182 offset0:8 offset1:12
	s_waitcnt lgkmcnt(0)
	v_mfma_f32_16x16x16_f16 a[0:3], v[34:35], v[26:27], a[0:3]
	v_mfma_f32_16x16x16_f16 a[0:3], v[36:37], v[28:29], a[0:3]
	ds_read2_b64 v[34:37], v182 offset0:16 offset1:20
	;; [unrolled: 4-line block ×7, first 2 shown]
	s_waitcnt lgkmcnt(0)
	s_barrier
	v_mfma_f32_16x16x16_f16 a[0:3], v[34:35], v[2:3], a[0:3]
	v_mfma_f32_16x16x16_f16 a[0:3], v[36:37], v[4:5], a[0:3]
	s_nop 7
	v_accvgpr_read_b32 v1, a0
	v_cmp_nlt_f32_e64 s[36:37], |v1|, s2
	s_and_saveexec_b64 s[38:39], s[36:37]
	s_xor_b64 s[36:37], exec, s[38:39]
	s_cbranch_execz .LBB30_204
; %bb.203:                              ;   in Loop: Header=BB30_202 Depth=2
	v_add_f32_e64 v34, |v1|, |v1|
	v_mul_f32_e32 v35, 0x3fb8aa3b, v34
	v_rndne_f32_e32 v36, v35
	v_sub_f32_e32 v37, v35, v36
	v_fma_f32 v35, v34, s5, -v35
	v_fmac_f32_e32 v35, 0x32a5705f, v34
	v_add_f32_e32 v35, v37, v35
	v_cvt_i32_f32_e32 v36, v36
	v_exp_f32_e32 v35, v35
	v_cmp_ngt_f32_e32 vcc, s82, v34
	v_ldexp_f32 v35, v35, v36
	s_nop 0
	v_cndmask_b32_e32 v35, 0, v35, vcc
	v_cmp_nlt_f32_e32 vcc, s77, v34
	s_nop 1
	v_cndmask_b32_e32 v34, v196, v35, vcc
	v_add_f32_e32 v34, 1.0, v34
	v_rcp_f32_e32 v34, v34
	s_nop 0
	v_fma_f32 v38, v34, -2.0, 1.0
.LBB30_204:                             ;   in Loop: Header=BB30_202 Depth=2
	s_andn2_saveexec_b64 s[36:37], s[36:37]
; %bb.205:                              ;   in Loop: Header=BB30_202 Depth=2
	v_mul_f32_e32 v34, v1, v1
	v_fmamk_f32 v35, v34, 0xbbbac73d, v197
	v_fmaak_f32 v35, v34, v35, 0xbd5c1c4e
	v_fmaak_f32 v35, v34, v35, 0x3e088382
	;; [unrolled: 1-line block ×3, first 2 shown]
	v_mul_f32_e64 v35, |v1|, v35
	v_fma_f32 v38, v34, v35, |v1|
; %bb.206:                              ;   in Loop: Header=BB30_202 Depth=2
	s_or_b64 exec, exec, s[36:37]
	v_accvgpr_read_b32 v37, a3
	v_accvgpr_read_b32 v35, a1
	;; [unrolled: 1-line block ×4, first 2 shown]
	v_cmp_nlt_f32_e64 s[36:37], |v35|, s2
                                        ; implicit-def: $vgpr34
	s_and_saveexec_b64 s[38:39], s[36:37]
	s_xor_b64 s[36:37], exec, s[38:39]
	s_cbranch_execz .LBB30_208
; %bb.207:                              ;   in Loop: Header=BB30_202 Depth=2
	v_add_f32_e64 v34, |v35|, |v35|
	v_mul_f32_e32 v39, 0x3fb8aa3b, v34
	v_rndne_f32_e32 v40, v39
	v_sub_f32_e32 v41, v39, v40
	v_fma_f32 v39, v34, s5, -v39
	v_fmac_f32_e32 v39, 0x32a5705f, v34
	v_add_f32_e32 v39, v41, v39
	v_cvt_i32_f32_e32 v40, v40
	v_exp_f32_e32 v39, v39
	v_cmp_ngt_f32_e32 vcc, s82, v34
	v_ldexp_f32 v39, v39, v40
	s_nop 0
	v_cndmask_b32_e32 v39, 0, v39, vcc
	v_cmp_nlt_f32_e32 vcc, s77, v34
	s_nop 1
	v_cndmask_b32_e32 v34, v196, v39, vcc
	v_add_f32_e32 v34, 1.0, v34
	v_rcp_f32_e32 v34, v34
	s_nop 0
	v_fma_f32 v34, v34, -2.0, 1.0
.LBB30_208:                             ;   in Loop: Header=BB30_202 Depth=2
	s_andn2_saveexec_b64 s[36:37], s[36:37]
; %bb.209:                              ;   in Loop: Header=BB30_202 Depth=2
	v_mul_f32_e32 v34, v35, v35
	v_fmamk_f32 v39, v34, 0xbbbac73d, v197
	v_fmaak_f32 v39, v34, v39, 0xbd5c1c4e
	v_fmaak_f32 v39, v34, v39, 0x3e088382
	;; [unrolled: 1-line block ×3, first 2 shown]
	v_mul_f32_e64 v39, |v35|, v39
	v_fma_f32 v34, v34, v39, |v35|
; %bb.210:                              ;   in Loop: Header=BB30_202 Depth=2
	s_or_b64 exec, exec, s[36:37]
	v_cmp_nlt_f32_e64 s[36:37], |v36|, s2
                                        ; implicit-def: $vgpr40
	s_and_saveexec_b64 s[38:39], s[36:37]
	s_xor_b64 s[36:37], exec, s[38:39]
	s_cbranch_execz .LBB30_212
; %bb.211:                              ;   in Loop: Header=BB30_202 Depth=2
	v_add_f32_e64 v39, |v36|, |v36|
	v_mul_f32_e32 v40, 0x3fb8aa3b, v39
	v_rndne_f32_e32 v41, v40
	v_sub_f32_e32 v102, v40, v41
	v_fma_f32 v40, v39, s5, -v40
	v_fmac_f32_e32 v40, 0x32a5705f, v39
	v_add_f32_e32 v40, v102, v40
	v_cvt_i32_f32_e32 v41, v41
	v_exp_f32_e32 v40, v40
	v_cmp_ngt_f32_e32 vcc, s82, v39
	v_ldexp_f32 v40, v40, v41
	s_nop 0
	v_cndmask_b32_e32 v40, 0, v40, vcc
	v_cmp_nlt_f32_e32 vcc, s77, v39
	s_nop 1
	v_cndmask_b32_e32 v39, v196, v40, vcc
	v_add_f32_e32 v39, 1.0, v39
	v_rcp_f32_e32 v39, v39
	s_nop 0
	v_fma_f32 v40, v39, -2.0, 1.0
.LBB30_212:                             ;   in Loop: Header=BB30_202 Depth=2
	s_andn2_saveexec_b64 s[36:37], s[36:37]
; %bb.213:                              ;   in Loop: Header=BB30_202 Depth=2
	v_mul_f32_e32 v39, v36, v36
	v_fmamk_f32 v40, v39, 0xbbbac73d, v197
	v_fmaak_f32 v40, v39, v40, 0xbd5c1c4e
	v_fmaak_f32 v40, v39, v40, 0x3e088382
	v_fmaak_f32 v40, v39, v40, 0xbeaaaa99
	v_mul_f32_e64 v40, |v36|, v40
	v_fma_f32 v40, v39, v40, |v36|
; %bb.214:                              ;   in Loop: Header=BB30_202 Depth=2
	s_or_b64 exec, exec, s[36:37]
	v_cmp_nlt_f32_e64 s[36:37], |v37|, s2
                                        ; implicit-def: $vgpr41
	s_and_saveexec_b64 s[38:39], s[36:37]
	s_xor_b64 s[36:37], exec, s[38:39]
	s_cbranch_execz .LBB30_216
; %bb.215:                              ;   in Loop: Header=BB30_202 Depth=2
	v_add_f32_e64 v39, |v37|, |v37|
	v_mul_f32_e32 v41, 0x3fb8aa3b, v39
	v_rndne_f32_e32 v102, v41
	v_sub_f32_e32 v103, v41, v102
	v_fma_f32 v41, v39, s5, -v41
	v_fmac_f32_e32 v41, 0x32a5705f, v39
	v_add_f32_e32 v41, v103, v41
	v_cvt_i32_f32_e32 v102, v102
	v_exp_f32_e32 v41, v41
	v_cmp_ngt_f32_e32 vcc, s82, v39
	v_ldexp_f32 v41, v41, v102
	s_nop 0
	v_cndmask_b32_e32 v41, 0, v41, vcc
	v_cmp_nlt_f32_e32 vcc, s77, v39
	s_nop 1
	v_cndmask_b32_e32 v39, v196, v41, vcc
	v_add_f32_e32 v39, 1.0, v39
	v_rcp_f32_e32 v39, v39
	s_nop 0
	v_fma_f32 v41, v39, -2.0, 1.0
.LBB30_216:                             ;   in Loop: Header=BB30_202 Depth=2
	s_andn2_saveexec_b64 s[36:37], s[36:37]
; %bb.217:                              ;   in Loop: Header=BB30_202 Depth=2
	v_mul_f32_e32 v39, v37, v37
	v_fmamk_f32 v41, v39, 0xbbbac73d, v197
	v_fmaak_f32 v41, v39, v41, 0xbd5c1c4e
	v_fmaak_f32 v41, v39, v41, 0x3e088382
	;; [unrolled: 1-line block ×3, first 2 shown]
	v_mul_f32_e64 v41, |v37|, v41
	v_fma_f32 v41, v39, v41, |v37|
; %bb.218:                              ;   in Loop: Header=BB30_202 Depth=2
	s_or_b64 exec, exec, s[36:37]
	v_bfi_b32 v1, s96, v38, v1
	v_mul_f32_e32 v38, s89, v1
	v_bfi_b32 v1, s96, v34, v35
	v_mul_f32_e32 v39, s89, v1
	;; [unrolled: 2-line block ×4, first 2 shown]
	s_and_b64 vcc, exec, s[34:35]
	s_cbranch_vccz .LBB30_223
; %bb.219:                              ;   in Loop: Header=BB30_202 Depth=2
	v_add_u32_e32 v1, 0x8400, v184
	ds_read2_b32 v[34:35], v1 offset1:1
	v_mov_b32_e32 v127, v126
	s_waitcnt lgkmcnt(0)
	v_cvt_f32_f16_e32 v102, v34
	v_cvt_f32_f16_e32 v36, v35
	v_cvt_f32_f16_sdwa v37, v35 dst_sel:DWORD dst_unused:UNUSED_PAD src0_sel:WORD_1
	v_cvt_f32_f16_sdwa v103, v34 dst_sel:DWORD dst_unused:UNUSED_PAD src0_sel:WORD_1
	v_pk_fma_f32 v[36:37], v[126:127], v[36:37], v[40:41]
	v_pk_fma_f32 v[34:35], v[140:141], v[102:103], v[38:39]
	s_cbranch_execnz .LBB30_221
.LBB30_220:                             ;   in Loop: Header=BB30_202 Depth=2
	v_mov_b64_e32 v[34:35], v[38:39]
	v_mov_b64_e32 v[36:37], v[40:41]
.LBB30_221:                             ;   in Loop: Header=BB30_202 Depth=2
	v_add_f32_e32 v1, 0x40051340, v34
	v_max_f32_e32 v38, v101, v101
	v_max_f32_e32 v1, v38, v1
	v_cndmask_b32_e64 v1, v101, v1, s[22:23]
	v_add_f32_e32 v38, 0x40051340, v35
	v_max_f32_e32 v39, v1, v1
	v_max_f32_e32 v38, v39, v38
	v_cndmask_b32_e64 v1, v1, v38, s[24:25]
	;; [unrolled: 4-line block ×4, first 2 shown]
	ds_bpermute_b32 v38, v222, v1
	v_max_f32_e32 v1, v1, v1
	scratch_store_dwordx4 off, a[4:7], off
	v_add_u32_e32 v46, -1, v46
	v_lshl_add_u64 v[142:143], v[142:143], 0, s[52:53]
	s_waitcnt lgkmcnt(0)
	v_max_f32_e32 v38, v38, v38
	v_max_f32_e32 v1, v1, v38
	ds_bpermute_b32 v38, v221, v1
	v_lshl_add_u64 v[144:145], v[144:145], 0, s[52:53]
	v_lshl_add_u64 v[146:147], v[146:147], 0, s[52:53]
	;; [unrolled: 1-line block ×4, first 2 shown]
	s_waitcnt lgkmcnt(0)
	v_max_f32_e32 v38, v38, v38
	v_max_f32_e32 v38, v1, v38
	v_sub_f32_e32 v1, v34, v38
	v_mul_f32_e32 v34, 0x3fb8aa3b, v1
	v_fma_f32 v39, v1, s5, -v34
	v_rndne_f32_e32 v40, v34
	v_fmac_f32_e32 v39, 0x32a5705f, v1
	v_sub_f32_e32 v34, v34, v40
	v_add_f32_e32 v34, v34, v39
	v_exp_f32_e32 v34, v34
	v_cvt_i32_f32_e32 v39, v40
	v_cmp_ngt_f32_e32 vcc, s82, v1
	v_sub_f32_e32 v36, v36, v38
	v_lshl_add_u64 v[138:139], v[138:139], 0, s[98:99]
	v_ldexp_f32 v34, v34, v39
	v_cndmask_b32_e32 v34, 0, v34, vcc
	v_cmp_nlt_f32_e32 vcc, s77, v1
	v_lshl_add_u64 v[162:163], v[162:163], 0, s[98:99]
	v_lshl_add_u64 v[164:165], v[164:165], 0, s[98:99]
	v_cndmask_b32_e32 v1, v196, v34, vcc
	v_cndmask_b32_e64 v34, 0, v1, s[22:23]
	v_sub_f32_e32 v1, v35, v38
	v_mul_f32_e32 v35, 0x3fb8aa3b, v1
	v_fma_f32 v39, v1, s5, -v35
	v_rndne_f32_e32 v40, v35
	v_fmac_f32_e32 v39, 0x32a5705f, v1
	v_sub_f32_e32 v35, v35, v40
	v_add_f32_e32 v35, v35, v39
	v_exp_f32_e32 v35, v35
	v_cvt_i32_f32_e32 v39, v40
	v_cmp_ngt_f32_e32 vcc, s82, v1
	v_lshl_add_u64 v[166:167], v[166:167], 0, s[98:99]
	v_lshl_add_u64 v[168:169], v[168:169], 0, s[98:99]
	v_ldexp_f32 v35, v35, v39
	v_cndmask_b32_e32 v35, 0, v35, vcc
	v_cmp_nlt_f32_e32 vcc, s77, v1
	v_mov_b32_e32 v1, s87
	v_lshl_add_u64 v[170:171], v[170:171], 0, s[98:99]
	v_cndmask_b32_e32 v35, v196, v35, vcc
	v_add_f32_e32 v39, v35, v34
	v_cndmask_b32_e64 v1, v1, v35, s[24:25]
	v_cndmask_b32_e64 v35, v34, v39, s[24:25]
	v_mul_f32_e32 v39, 0x3fb8aa3b, v36
	v_fma_f32 v40, v36, s5, -v39
	v_rndne_f32_e32 v41, v39
	v_fmac_f32_e32 v40, 0x32a5705f, v36
	v_sub_f32_e32 v39, v39, v41
	v_add_f32_e32 v39, v39, v40
	v_exp_f32_e32 v39, v39
	v_cvt_i32_f32_e32 v40, v41
	v_cmp_ngt_f32_e32 vcc, s82, v36
	v_cvt_pk_f16_f32 v34, v34, v1
	v_lshl_add_u64 v[172:173], v[172:173], 0, s[98:99]
	v_ldexp_f32 v39, v39, v40
	v_cndmask_b32_e32 v39, 0, v39, vcc
	v_cmp_nlt_f32_e32 vcc, s77, v36
	v_mov_b32_e32 v36, s87
	s_nop 0
	v_cndmask_b32_e32 v39, v196, v39, vcc
	v_add_f32_e32 v40, v35, v39
	v_cndmask_b32_e64 v36, v36, v39, s[26:27]
	v_cndmask_b32_e64 v39, v35, v40, s[26:27]
	v_sub_f32_e32 v35, v37, v38
	v_mul_f32_e32 v37, 0x3fb8aa3b, v35
	v_fma_f32 v40, v35, s5, -v37
	v_rndne_f32_e32 v41, v37
	v_fmac_f32_e32 v40, 0x32a5705f, v35
	v_sub_f32_e32 v37, v37, v41
	v_add_f32_e32 v37, v37, v40
	v_exp_f32_e32 v37, v37
	v_cvt_i32_f32_e32 v40, v41
	v_cmp_ngt_f32_e32 vcc, s82, v35
	v_ldexp_f32 v37, v37, v40
	s_nop 0
	v_cndmask_b32_e32 v37, 0, v37, vcc
	v_cmp_nlt_f32_e32 vcc, s77, v35
	v_mov_b32_e32 v35, s87
	s_nop 0
	v_cndmask_b32_e32 v37, v196, v37, vcc
	v_add_f32_e32 v40, v39, v37
	v_cndmask_b32_e64 v35, v35, v37, s[28:29]
	v_cndmask_b32_e64 v37, v39, v40, s[28:29]
	v_sub_f32_e32 v39, v101, v38
	v_mul_f32_e32 v40, 0x3fb8aa3b, v39
	v_fma_f32 v41, v39, s5, -v40
	v_rndne_f32_e32 v101, v40
	v_fmac_f32_e32 v41, 0x32a5705f, v39
	v_sub_f32_e32 v40, v40, v101
	v_add_f32_e32 v40, v40, v41
	v_exp_f32_e32 v40, v40
	v_cvt_i32_f32_e32 v41, v101
	v_cmp_ngt_f32_e32 vcc, s82, v39
	v_cvt_pk_f16_f32 v35, v36, v35
	v_ldexp_f32 v40, v40, v41
	v_cndmask_b32_e32 v40, 0, v40, vcc
	v_cmp_nlt_f32_e32 vcc, s77, v39
	s_nop 1
	v_cndmask_b32_e32 v40, v196, v40, vcc
	v_cmp_le_f32_e32 vcc, s3, v39
	s_nop 1
	v_cndmask_b32_e32 v39, 0, v40, vcc
	v_fmac_f32_e32 v37, v100, v39
	v_cvt_f16_f32_e32 v39, v39
	v_cmp_ne_u32_e32 vcc, 0, v46
	s_and_b64 vcc, exec, vcc
	v_mul_u32_u24_e32 v39, 0x10001, v39
	v_pk_mul_f16 v111, v97, v39
	v_pk_mul_f16 v107, v93, v39
	;; [unrolled: 1-line block ×5, first 2 shown]
	v_mov_b32_e32 v175, s91
	v_lshl_add_u64 v[212:213], v[134:135], 0, v[84:85]
	v_pk_mul_f16 v103, v88, v39
	v_pk_mul_f16 v101, v87, v39
	;; [unrolled: 1-line block ×4, first 2 shown]
	v_cndmask_b32_e64 v217, v175, v213, s[8:9]
	v_cndmask_b32_e64 v216, v233, v212, s[8:9]
	v_lshl_add_u64 v[212:213], v[150:151], 0, v[84:85]
	v_pk_mul_f16 v41, v218, v39
	v_pk_mul_f16 v40, v219, v39
	v_cndmask_b32_e64 v219, v175, v213, s[10:11]
	v_cndmask_b32_e64 v218, v233, v212, s[10:11]
	v_lshl_add_u64 v[212:213], v[152:153], 0, v[84:85]
	v_pk_mul_f16 v112, v98, v39
	v_pk_mul_f16 v127, v91, v39
	;; [unrolled: 1-line block ×4, first 2 shown]
	v_cndmask_b32_e64 v231, v175, v213, s[12:13]
	v_cndmask_b32_e64 v230, v233, v212, s[12:13]
	v_lshl_add_u64 v[212:213], v[154:155], 0, v[84:85]
	v_cndmask_b32_e64 v115, v175, v213, s[14:15]
	v_cndmask_b32_e64 v114, v233, v212, s[14:15]
	v_lshl_add_u64 v[212:213], v[156:157], 0, v[84:85]
	v_pk_mul_f16 v108, v94, v39
	v_pk_mul_f16 v104, v89, v39
	;; [unrolled: 1-line block ×4, first 2 shown]
	v_lshl_add_u64 v[190:191], v[132:133], 0, v[84:85]
	v_cndmask_b32_e64 v117, v175, v213, s[16:17]
	v_cndmask_b32_e64 v116, v233, v212, s[16:17]
	v_lshl_add_u64 v[212:213], v[158:159], 0, v[84:85]
	v_cndmask_b32_e64 v191, v175, v191, s[6:7]
	v_cndmask_b32_e64 v190, v233, v190, s[6:7]
	;; [unrolled: 1-line block ×4, first 2 shown]
	v_lshl_add_u64 v[212:213], v[160:161], 0, v[84:85]
	v_pk_mul_f16 v106, v92, v39
	v_pk_mul_f16 v105, v90, v39
	;; [unrolled: 1-line block ×4, first 2 shown]
	v_cndmask_b32_e64 v203, v175, v213, s[20:21]
	v_cndmask_b32_e64 v202, v233, v212, s[20:21]
	flat_load_dwordx4 v[212:215], v[190:191]
	v_pk_mul_f16 v113, v99, v39
	v_pk_mul_f16 v110, v96, v39
	;; [unrolled: 1-line block ×9, first 2 shown]
	v_lshl_add_u64 v[132:133], v[132:133], 0, s[30:31]
	v_lshl_add_u64 v[134:135], v[134:135], 0, s[30:31]
	;; [unrolled: 1-line block ×8, first 2 shown]
	s_waitcnt vmcnt(0) lgkmcnt(0)
	ds_write_b128 v181, v[212:215]
	flat_load_dwordx4 v[212:215], v[216:217]
	s_waitcnt vmcnt(0) lgkmcnt(0)
	ds_write_b128 v249, v[212:215]
	flat_load_dwordx4 v[212:215], v[218:219]
	;; [unrolled: 3-line block ×5, first 2 shown]
	v_add_u32_e32 v116, v185, v208
	s_waitcnt vmcnt(0) lgkmcnt(0)
	ds_write_b128 v240, v[212:215]
	flat_load_dwordx4 v[212:215], v[118:119]
	s_waitcnt vmcnt(0) lgkmcnt(0)
	ds_write_b128 v238, v[212:215]
	flat_load_dwordx4 v[212:215], v[202:203]
	s_waitcnt vmcnt(0) lgkmcnt(0)
	ds_write_b128 v236, v[212:215]
	s_waitcnt lgkmcnt(0)
	s_barrier
	ds_read_u16 v1, v186 offset:528
	ds_read_u16 v36, v186 offset:1056
	ds_read_u16 v114, v186
	ds_read_u16 v117, v186 offset:32
	s_waitcnt lgkmcnt(1)
	v_perm_b32 v114, v1, v114, s86
	ds_read_u16 v1, v116
	ds_read_u16 v118, v116 offset:32
	s_waitcnt lgkmcnt(1)
	v_perm_b32 v115, v1, v36, s86
	v_cvt_f32_f16_e32 v1, v113
	v_cvt_f32_f16_sdwa v36, v113 dst_sel:DWORD dst_unused:UNUSED_PAD src0_sel:WORD_1
	v_cvt_f32_f16_e32 v113, v112
	v_cvt_f32_f16_sdwa v112, v112 dst_sel:DWORD dst_unused:UNUSED_PAD src0_sel:WORD_1
	v_accvgpr_write_b32 a0, v1
	v_accvgpr_write_b32 a1, v36
	;; [unrolled: 1-line block ×4, first 2 shown]
	ds_read_u16 v112, v186 offset:560
	ds_read_u16 v113, v186 offset:1088
	v_mfma_f32_16x16x16_f16 a[0:3], v[114:115], v[34:35], a[0:3]
	s_waitcnt lgkmcnt(1)
	v_perm_b32 v112, v112, v117, s86
	s_waitcnt lgkmcnt(0)
	v_perm_b32 v113, v118, v113, s86
	v_cvt_f32_f16_e32 v117, v111
	v_cvt_f32_f16_sdwa v111, v111 dst_sel:DWORD dst_unused:UNUSED_PAD src0_sel:WORD_1
	v_cvt_f32_f16_e32 v118, v110
	v_cvt_f32_f16_sdwa v110, v110 dst_sel:DWORD dst_unused:UNUSED_PAD src0_sel:WORD_1
	v_accvgpr_read_b32 v36, a1
	v_accvgpr_read_b32 v115, a3
	v_accvgpr_write_b32 a1, v111
	v_accvgpr_write_b32 a3, v110
	ds_read_u16 v110, v186 offset:64
	ds_read_u16 v111, v186 offset:592
	;; [unrolled: 1-line block ×4, first 2 shown]
	v_accvgpr_read_b32 v1, a0
	v_accvgpr_read_b32 v114, a2
	v_accvgpr_write_b32 a0, v117
	v_accvgpr_write_b32 a2, v118
	s_waitcnt lgkmcnt(2)
	v_perm_b32 v110, v111, v110, s86
	s_waitcnt lgkmcnt(0)
	v_perm_b32 v111, v175, v119, s86
	v_mfma_f32_16x16x16_f16 a[0:3], v[112:113], v[34:35], a[0:3]
	v_cvt_f32_f16_e32 v119, v109
	v_cvt_f32_f16_sdwa v109, v109 dst_sel:DWORD dst_unused:UNUSED_PAD src0_sel:WORD_1
	v_cvt_f32_f16_e32 v175, v108
	v_cvt_f32_f16_sdwa v108, v108 dst_sel:DWORD dst_unused:UNUSED_PAD src0_sel:WORD_1
	s_nop 3
	v_accvgpr_read_b32 v113, a1
	v_accvgpr_read_b32 v117, a2
	;; [unrolled: 1-line block ×3, first 2 shown]
	v_accvgpr_write_b32 a1, v109
	v_accvgpr_write_b32 a2, v175
	;; [unrolled: 1-line block ×3, first 2 shown]
	ds_read_u16 v108, v186 offset:96
	ds_read_u16 v109, v186 offset:624
	ds_read_u16 v175, v186 offset:1152
	ds_read_u16 v176, v116 offset:96
	v_accvgpr_read_b32 v112, a0
	v_accvgpr_write_b32 a0, v119
	s_waitcnt lgkmcnt(2)
	v_perm_b32 v108, v109, v108, s86
	s_waitcnt lgkmcnt(0)
	v_perm_b32 v109, v176, v175, s86
	v_mfma_f32_16x16x16_f16 a[0:3], v[110:111], v[34:35], a[0:3]
	v_cvt_f32_f16_e32 v175, v107
	v_cvt_f32_f16_sdwa v107, v107 dst_sel:DWORD dst_unused:UNUSED_PAD src0_sel:WORD_1
	v_cvt_f32_f16_e32 v176, v106
	v_cvt_f32_f16_sdwa v106, v106 dst_sel:DWORD dst_unused:UNUSED_PAD src0_sel:WORD_1
	s_nop 3
	v_accvgpr_read_b32 v110, a0
	v_accvgpr_read_b32 v111, a1
	;; [unrolled: 1-line block ×4, first 2 shown]
	v_accvgpr_write_b32 a0, v175
	v_accvgpr_write_b32 a1, v107
	;; [unrolled: 1-line block ×4, first 2 shown]
	ds_read_u16 v106, v186 offset:128
	ds_read_u16 v107, v186 offset:656
	;; [unrolled: 1-line block ×4, first 2 shown]
	v_mfma_f32_16x16x16_f16 a[0:3], v[108:109], v[34:35], a[0:3]
	s_waitcnt lgkmcnt(2)
	v_perm_b32 v106, v107, v106, s86
	s_waitcnt lgkmcnt(0)
	v_perm_b32 v107, v176, v175, s86
	v_cvt_f32_f16_e32 v175, v127
	v_cvt_f32_f16_sdwa v127, v127 dst_sel:DWORD dst_unused:UNUSED_PAD src0_sel:WORD_1
	v_cvt_f32_f16_e32 v176, v105
	v_cvt_f32_f16_sdwa v105, v105 dst_sel:DWORD dst_unused:UNUSED_PAD src0_sel:WORD_1
	v_accvgpr_read_b32 v108, a0
	v_accvgpr_read_b32 v109, a1
	v_accvgpr_read_b32 v203, a2
	v_accvgpr_read_b32 v201, a3
	v_accvgpr_write_b32 a0, v175
	v_accvgpr_write_b32 a1, v127
	;; [unrolled: 1-line block ×4, first 2 shown]
	s_nop 1
	v_mfma_f32_16x16x16_f16 a[0:3], v[106:107], v[34:35], a[0:3]
	ds_read_u16 v105, v186 offset:160
	ds_read_u16 v106, v186 offset:688
	;; [unrolled: 1-line block ×4, first 2 shown]
	s_waitcnt lgkmcnt(2)
	v_perm_b32 v106, v106, v105, s86
	v_cvt_f32_f16_e32 v105, v104
	s_waitcnt lgkmcnt(0)
	v_perm_b32 v107, v175, v107, s86
	v_cvt_f32_f16_sdwa v104, v104 dst_sel:DWORD dst_unused:UNUSED_PAD src0_sel:WORD_1
	v_cvt_f32_f16_e32 v175, v103
	v_cvt_f32_f16_sdwa v103, v103 dst_sel:DWORD dst_unused:UNUSED_PAD src0_sel:WORD_1
	v_accvgpr_read_b32 v127, a0
	v_accvgpr_read_b32 v229, a1
	v_accvgpr_read_b32 v50, a2
	v_accvgpr_read_b32 v51, a3
	v_accvgpr_write_b32 a0, v105
	v_accvgpr_write_b32 a1, v104
	v_accvgpr_write_b32 a2, v175
	v_accvgpr_write_b32 a3, v103
	ds_read_u16 v103, v186 offset:192
	ds_read_u16 v104, v186 offset:720
	ds_read_u16 v105, v186 offset:1248
	ds_read_u16 v175, v116 offset:192
	v_mfma_f32_16x16x16_f16 a[0:3], v[106:107], v[34:35], a[0:3]
	s_waitcnt lgkmcnt(2)
	v_perm_b32 v104, v104, v103, s86
	v_cvt_f32_f16_e32 v103, v102
	s_waitcnt lgkmcnt(0)
	v_perm_b32 v105, v175, v105, s86
	v_cvt_f32_f16_sdwa v102, v102 dst_sel:DWORD dst_unused:UNUSED_PAD src0_sel:WORD_1
	v_cvt_f32_f16_e32 v175, v101
	v_cvt_f32_f16_sdwa v101, v101 dst_sel:DWORD dst_unused:UNUSED_PAD src0_sel:WORD_1
	v_accvgpr_read_b32 v106, a0
	v_accvgpr_read_b32 v107, a1
	v_accvgpr_read_b32 v211, a2
	v_accvgpr_read_b32 v0, a3
	v_accvgpr_write_b32 a0, v103
	v_accvgpr_write_b32 a1, v102
	v_accvgpr_write_b32 a2, v175
	v_accvgpr_write_b32 a3, v101
	ds_read_u16 v101, v186 offset:224
	ds_read_u16 v102, v186 offset:752
	ds_read_u16 v103, v186 offset:1280
	ds_read_u16 v175, v116 offset:224
	v_mfma_f32_16x16x16_f16 a[0:3], v[104:105], v[34:35], a[0:3]
	;; [unrolled: 21-line block ×4, first 2 shown]
	v_cvt_pk_f16_f32 v189, v189, v212
	s_waitcnt lgkmcnt(2)
	v_perm_b32 v98, v98, v97, s86
	v_cvt_f32_f16_e32 v97, v96
	s_waitcnt lgkmcnt(0)
	v_perm_b32 v99, v175, v99, s86
	v_cvt_f32_f16_sdwa v96, v96 dst_sel:DWORD dst_unused:UNUSED_PAD src0_sel:WORD_1
	v_cvt_f32_f16_e32 v175, v95
	v_cvt_f32_f16_sdwa v95, v95 dst_sel:DWORD dst_unused:UNUSED_PAD src0_sel:WORD_1
	v_cvt_pk_f16_f32 v212, v104, v105
	v_accvgpr_read_b32 v100, a0
	v_accvgpr_read_b32 v101, a1
	;; [unrolled: 1-line block ×4, first 2 shown]
	v_accvgpr_write_b32 a0, v97
	v_accvgpr_write_b32 a1, v96
	;; [unrolled: 1-line block ×4, first 2 shown]
	ds_read_u16 v95, v186 offset:320
	ds_read_u16 v96, v186 offset:848
	;; [unrolled: 1-line block ×4, first 2 shown]
	v_mfma_f32_16x16x16_f16 a[0:3], v[98:99], v[34:35], a[0:3]
	v_cvt_pk_f16_f32 v213, v213, v250
	s_waitcnt lgkmcnt(2)
	v_perm_b32 v96, v96, v95, s86
	v_cvt_f32_f16_e32 v95, v94
	s_waitcnt lgkmcnt(0)
	v_perm_b32 v97, v175, v97, s86
	v_cvt_f32_f16_sdwa v94, v94 dst_sel:DWORD dst_unused:UNUSED_PAD src0_sel:WORD_1
	v_cvt_f32_f16_e32 v175, v93
	v_cvt_f32_f16_sdwa v93, v93 dst_sel:DWORD dst_unused:UNUSED_PAD src0_sel:WORD_1
	v_accvgpr_read_b32 v98, a0
	v_accvgpr_read_b32 v99, a1
	;; [unrolled: 1-line block ×3, first 2 shown]
	v_accvgpr_write_b32 a0, v95
	v_accvgpr_write_b32 a1, v94
	;; [unrolled: 1-line block ×3, first 2 shown]
	ds_read_u16 v93, v186 offset:352
	ds_read_u16 v94, v186 offset:880
	;; [unrolled: 1-line block ×4, first 2 shown]
	v_accvgpr_read_b32 v178, a2
	v_accvgpr_write_b32 a2, v175
	s_waitcnt lgkmcnt(2)
	v_perm_b32 v94, v94, v93, s86
	v_cvt_f32_f16_e32 v93, v92
	v_mfma_f32_16x16x16_f16 a[0:3], v[96:97], v[34:35], a[0:3]
	s_waitcnt lgkmcnt(0)
	v_perm_b32 v95, v190, v95, s86
	v_cvt_f32_f16_sdwa v92, v92 dst_sel:DWORD dst_unused:UNUSED_PAD src0_sel:WORD_1
	v_cvt_f32_f16_e32 v190, v91
	v_cvt_f32_f16_sdwa v91, v91 dst_sel:DWORD dst_unused:UNUSED_PAD src0_sel:WORD_1
	v_cvt_pk_f16_f32 v178, v178, v230
	v_cvt_pk_f16_f32 v230, v100, v101
	s_nop 0
	v_accvgpr_read_b32 v96, a0
	v_accvgpr_read_b32 v97, a1
	;; [unrolled: 1-line block ×3, first 2 shown]
	v_accvgpr_write_b32 a0, v93
	v_accvgpr_write_b32 a1, v92
	;; [unrolled: 1-line block ×3, first 2 shown]
	ds_read_u16 v91, v186 offset:384
	ds_read_u16 v92, v186 offset:912
	;; [unrolled: 1-line block ×4, first 2 shown]
	v_accvgpr_read_b32 v175, a2
	v_accvgpr_write_b32 a2, v190
	s_waitcnt lgkmcnt(2)
	v_perm_b32 v92, v92, v91, s86
	v_cvt_f32_f16_e32 v91, v90
	v_mfma_f32_16x16x16_f16 a[0:3], v[94:95], v[34:35], a[0:3]
	s_waitcnt lgkmcnt(0)
	v_perm_b32 v93, v191, v93, s86
	v_cvt_f32_f16_sdwa v90, v90 dst_sel:DWORD dst_unused:UNUSED_PAD src0_sel:WORD_1
	v_cvt_f32_f16_e32 v191, v89
	v_cvt_f32_f16_sdwa v89, v89 dst_sel:DWORD dst_unused:UNUSED_PAD src0_sel:WORD_1
	v_cvt_pk_f16_f32 v175, v175, v176
	v_cvt_pk_f16_f32 v176, v98, v99
	;; [unrolled: 1-line block ×4, first 2 shown]
	v_accvgpr_read_b32 v94, a0
	v_accvgpr_read_b32 v95, a1
	;; [unrolled: 1-line block ×3, first 2 shown]
	v_accvgpr_write_b32 a0, v91
	v_accvgpr_write_b32 a1, v90
	;; [unrolled: 1-line block ×3, first 2 shown]
	ds_read_u16 v89, v186 offset:416
	ds_read_u16 v90, v186 offset:944
	;; [unrolled: 1-line block ×4, first 2 shown]
	v_accvgpr_read_b32 v190, a2
	v_accvgpr_write_b32 a2, v191
	s_waitcnt lgkmcnt(2)
	v_perm_b32 v90, v90, v89, s86
	v_cvt_f32_f16_e32 v89, v88
	v_mfma_f32_16x16x16_f16 a[0:3], v[92:93], v[34:35], a[0:3]
	s_waitcnt lgkmcnt(0)
	v_perm_b32 v91, v192, v91, s86
	v_cvt_f32_f16_sdwa v88, v88 dst_sel:DWORD dst_unused:UNUSED_PAD src0_sel:WORD_1
	v_cvt_f32_f16_e32 v192, v87
	v_cvt_f32_f16_sdwa v87, v87 dst_sel:DWORD dst_unused:UNUSED_PAD src0_sel:WORD_1
	v_cvt_pk_f16_f32 v231, v190, v231
	v_cvt_pk_f16_f32 v190, v96, v97
	;; [unrolled: 1-line block ×4, first 2 shown]
	v_accvgpr_read_b32 v92, a0
	v_accvgpr_read_b32 v93, a1
	;; [unrolled: 1-line block ×4, first 2 shown]
	v_accvgpr_write_b32 a0, v89
	v_accvgpr_write_b32 a1, v88
	;; [unrolled: 1-line block ×4, first 2 shown]
	ds_read_u16 v87, v186 offset:448
	ds_read_u16 v88, v186 offset:976
	;; [unrolled: 1-line block ×4, first 2 shown]
	v_mfma_f32_16x16x16_f16 a[0:3], v[90:91], v[34:35], a[0:3]
	v_cvt_pk_f16_f32 v191, v191, v214
	s_waitcnt lgkmcnt(2)
	v_perm_b32 v88, v88, v87, s86
	v_cvt_f32_f16_e32 v87, v86
	s_waitcnt lgkmcnt(0)
	v_perm_b32 v89, v192, v89, s86
	v_cvt_f32_f16_sdwa v86, v86 dst_sel:DWORD dst_unused:UNUSED_PAD src0_sel:WORD_1
	v_cvt_f32_f16_e32 v192, v41
	v_cvt_f32_f16_sdwa v41, v41 dst_sel:DWORD dst_unused:UNUSED_PAD src0_sel:WORD_1
	v_cvt_pk_f16_f32 v214, v94, v95
	v_accvgpr_read_b32 v90, a0
	v_accvgpr_read_b32 v91, a1
	;; [unrolled: 1-line block ×3, first 2 shown]
	v_accvgpr_write_b32 a0, v87
	v_accvgpr_write_b32 a1, v86
	;; [unrolled: 1-line block ×3, first 2 shown]
	ds_read_u16 v86, v186 offset:480
	ds_read_u16 v87, v186 offset:1008
	;; [unrolled: 1-line block ×4, first 2 shown]
	v_accvgpr_read_b32 v217, a3
	v_accvgpr_write_b32 a3, v41
	s_waitcnt lgkmcnt(2)
	v_perm_b32 v86, v87, v86, s86
	v_cvt_pk_f16_f32 v217, v215, v217
	v_mfma_f32_16x16x16_f16 a[0:3], v[88:89], v[34:35], a[0:3]
	s_waitcnt lgkmcnt(0)
	v_perm_b32 v87, v116, v192, s86
	v_cvt_f32_f16_e32 v116, v40
	v_cvt_f32_f16_sdwa v40, v40 dst_sel:DWORD dst_unused:UNUSED_PAD src0_sel:WORD_1
	v_cvt_f32_f16_e32 v192, v39
	v_cvt_f32_f16_sdwa v39, v39 dst_sel:DWORD dst_unused:UNUSED_PAD src0_sel:WORD_1
	v_cvt_pk_f16_f32 v215, v92, v93
	v_cvt_pk_f16_f32 v93, v108, v109
	;; [unrolled: 1-line block ×3, first 2 shown]
	v_accvgpr_read_b32 v41, a0
	v_accvgpr_read_b32 v88, a1
	;; [unrolled: 1-line block ×4, first 2 shown]
	v_accvgpr_write_b32 a0, v116
	v_accvgpr_write_b32 a1, v40
	;; [unrolled: 1-line block ×4, first 2 shown]
	v_cvt_pk_f16_f32 v232, v41, v88
	v_cvt_pk_f16_f32 v218, v89, v216
	v_mfma_f32_16x16x16_f16 a[0:3], v[86:87], v[34:35], a[0:3]
	v_cvt_pk_f16_f32 v216, v90, v91
	v_cvt_pk_f16_f32 v86, v102, v103
	v_cvt_pk_f16_f32 v87, v195, v248
	v_cvt_pk_f16_f32 v89, v106, v107
	v_cvt_pk_f16_f32 v88, v211, v0
	v_cvt_pk_f16_f32 v91, v127, v229
	v_cvt_pk_f16_f32 v90, v50, v51
	v_cvt_pk_f16_f32 v95, v110, v111
	v_accvgpr_read_b32 v34, a0
	v_accvgpr_read_b32 v35, a1
	;; [unrolled: 1-line block ×4, first 2 shown]
	v_cvt_pk_f16_f32 v219, v34, v35
	v_cvt_pk_f16_f32 v192, v39, v40
	;; [unrolled: 1-line block ×3, first 2 shown]
	s_barrier
	s_cbranch_vccz .LBB30_225
; %bb.222:                              ;   in Loop: Header=BB30_202 Depth=2
	v_mov_b32_e32 v100, v37
	v_mov_b32_e32 v101, v38
	s_andn2_b64 vcc, exec, s[34:35]
	s_cbranch_vccz .LBB30_199
	s_branch .LBB30_202
.LBB30_223:                             ;   in Loop: Header=BB30_202 Depth=2
                                        ; implicit-def: $vgpr34_vgpr35_vgpr36_vgpr37
	s_branch .LBB30_220
.LBB30_224:                             ;   in Loop: Header=BB30_14 Depth=1
	v_mov_b32_e32 v38, 0xfeffffff
	v_mov_b32_e32 v37, 0
	;; [unrolled: 1-line block ×35, first 2 shown]
	s_branch .LBB30_226
.LBB30_225:                             ;   in Loop: Header=BB30_14 Depth=1
	v_lshlrev_b32_e32 v46, 6, v220
.LBB30_226:                             ;   in Loop: Header=BB30_14 Depth=1
	v_cmp_eq_u64_e32 vcc, 0, v[128:129]
	v_readlane_b32 s36, v255, 4
	v_readlane_b32 s37, v255, 5
	s_nop 0
	v_sub_u32_e32 v1, s36, v46
	s_cbranch_vccnz .LBB30_232
; %bb.227:                              ;   in Loop: Header=BB30_14 Depth=1
	v_cmp_ge_i32_e32 vcc, v44, v1
	s_and_saveexec_b64 s[36:37], vcc
	s_xor_b64 s[36:37], exec, s[36:37]
	s_cbranch_execz .LBB30_229
; %bb.228:                              ;   in Loop: Header=BB30_14 Depth=1
	ds_write_b16 v207, v47 offset:33792
	ds_write_b16 v245, v47 offset:33792
                                        ; implicit-def: $vgpr128_vgpr129
                                        ; implicit-def: $vgpr193
                                        ; implicit-def: $vgpr225
                                        ; implicit-def: $vgpr224
                                        ; implicit-def: $vgpr223
.LBB30_229:                             ;   in Loop: Header=BB30_14 Depth=1
	s_or_saveexec_b64 s[36:37], s[36:37]
	v_mov_b32_e32 v34, 0
	v_mov_b32_e32 v35, 0
	s_xor_b64 exec, exec, s[36:37]
	s_cbranch_execz .LBB30_231
; %bb.230:                              ;   in Loop: Header=BB30_14 Depth=1
	v_mul_hi_u32 v0, s94, v193
	v_add_u32_e32 v0, v193, v0
	v_lshrrev_b32_e32 v0, s95, v0
	v_lshlrev_b64 v[34:35], 1, v[46:47]
	v_mul_lo_u32 v0, v0, s76
	v_readlane_b32 s38, v255, 48
	v_lshl_add_u64 v[34:35], v[128:129], 0, v[34:35]
	v_lshlrev_b32_e32 v40, 1, v44
	v_mov_b32_e32 v41, v47
	v_sub_u32_e32 v0, v193, v0
	v_readlane_b32 s39, v255, 49
	s_mov_b32 s40, s38
	v_lshl_add_u64 v[40:41], v[34:35], 0, v[40:41]
	v_mad_i64_i32 v[34:35], s[38:39], v0, s40, 0
	v_lshl_add_u64 v[34:35], v[34:35], 1, v[40:41]
	global_load_ushort v0, v[34:35], off
	v_mul_hi_u32 v34, s94, v225
	v_add_u32_e32 v34, v225, v34
	v_lshrrev_b32_e32 v34, s95, v34
	v_mul_lo_u32 v34, v34, s76
	v_sub_u32_e32 v34, v225, v34
	v_mad_i64_i32 v[34:35], s[38:39], v34, s40, 0
	v_lshl_add_u64 v[34:35], v[34:35], 1, v[40:41]
	global_load_ushort v34, v[34:35], off
	s_waitcnt vmcnt(1)
	ds_write_b16 v207, v0 offset:33792
	s_waitcnt vmcnt(0)
	ds_write_b16 v245, v34 offset:33792
	v_mul_hi_u32 v0, s94, v224
	v_add_u32_e32 v0, v224, v0
	v_lshrrev_b32_e32 v0, s95, v0
	v_mul_lo_u32 v0, v0, s76
	v_sub_u32_e32 v0, v224, v0
	v_mad_i64_i32 v[34:35], s[38:39], v0, s40, 0
	v_mul_hi_u32 v0, s94, v223
	v_add_u32_e32 v0, v223, v0
	v_lshrrev_b32_e32 v0, s95, v0
	v_mul_lo_u32 v0, v0, s76
	v_sub_u32_e32 v0, v223, v0
	v_mad_i64_i32 v[100:101], s[38:39], v0, s40, 0
	v_lshl_add_u64 v[34:35], v[34:35], 1, v[40:41]
	v_lshl_add_u64 v[40:41], v[100:101], 1, v[40:41]
	global_load_ushort v34, v[34:35], off
	s_nop 0
	global_load_ushort v35, v[40:41], off
.LBB30_231:                             ;   in Loop: Header=BB30_14 Depth=1
	s_or_b64 exec, exec, s[36:37]
	s_waitcnt vmcnt(1)
	ds_write_b16 v246, v34 offset:33792
	s_waitcnt vmcnt(0)
	ds_write_b16 v247, v35 offset:33792
.LBB30_232:                             ;   in Loop: Header=BB30_14 Depth=1
	v_mul_lo_u32 v0, v46, s93
	v_mul_hi_u32 v34, v46, s92
	v_add_u32_e32 v35, v34, v0
	v_mul_lo_u32 v34, v46, s92
	v_lshlrev_b64 v[34:35], 2, v[34:35]
	v_lshl_add_u64 v[40:41], v[130:131], 0, v[34:35]
	v_lshl_add_u64 v[100:101], v[52:53], 2, v[40:41]
	v_lshlrev_b32_e32 v34, 2, v48
	v_mov_b32_e32 v35, v47
	v_lshl_add_u64 v[100:101], v[100:101], 0, v[34:35]
	v_mov_b32_e32 v0, s91
	v_cmp_lt_i32_e64 s[36:37], v180, v1
	scratch_store_dwordx4 off, a[4:7], off
	v_lshl_add_u64 v[104:105], v[54:55], 2, v[40:41]
	v_cndmask_b32_e64 v101, v0, v101, s[36:37]
	v_cndmask_b32_e64 v100, v233, v100, s[36:37]
	flat_load_dwordx4 v[100:103], v[100:101]
	v_accvgpr_read_b32 v36, a60
	v_lshl_add_u64 v[104:105], v[104:105], 0, v[34:35]
	v_cmp_lt_i32_e64 s[38:39], v36, v1
	v_accvgpr_read_b32 v36, a61
	v_cmp_lt_i32_e64 s[40:41], v36, v1
	v_cndmask_b32_e64 v105, v0, v105, s[38:39]
	v_cndmask_b32_e64 v104, v233, v104, s[38:39]
	v_cmp_lt_i32_e64 s[42:43], v252, v1
	v_cmp_lt_i32_e64 s[44:45], v254, v1
	;; [unrolled: 1-line block ×5, first 2 shown]
	s_waitcnt vmcnt(0) lgkmcnt(0)
	ds_write_b128 v181, v[100:103]
	flat_load_dwordx4 v[100:103], v[104:105]
	v_lshl_add_u64 v[104:105], v[56:57], 2, v[40:41]
	v_lshl_add_u64 v[104:105], v[104:105], 0, v[34:35]
	v_cndmask_b32_e64 v105, v0, v105, s[40:41]
	v_cndmask_b32_e64 v104, v233, v104, s[40:41]
	s_waitcnt vmcnt(0) lgkmcnt(0)
	ds_write_b128 v249, v[100:103]
	flat_load_dwordx4 v[100:103], v[104:105]
	v_lshl_add_u64 v[104:105], v[58:59], 2, v[40:41]
	v_lshl_add_u64 v[104:105], v[104:105], 0, v[34:35]
	v_cndmask_b32_e64 v105, v0, v105, s[42:43]
	v_cndmask_b32_e64 v104, v233, v104, s[42:43]
	;; [unrolled: 7-line block ×5, first 2 shown]
	v_lshl_add_u64 v[40:41], v[66:67], 2, v[40:41]
	v_lshl_add_u64 v[40:41], v[40:41], 0, v[34:35]
	v_cndmask_b32_e64 v41, v0, v41, s[50:51]
	v_cndmask_b32_e64 v40, v233, v40, s[50:51]
	s_waitcnt vmcnt(0) lgkmcnt(0)
	ds_write_b128 v240, v[100:103]
	flat_load_dwordx4 v[100:103], v[104:105]
	s_waitcnt vmcnt(0) lgkmcnt(0)
	ds_write_b128 v238, v[100:103]
	flat_load_dwordx4 v[100:103], v[40:41]
	s_waitcnt vmcnt(0) lgkmcnt(0)
	ds_write_b128 v236, v[100:103]
	s_waitcnt lgkmcnt(0)
	s_barrier
	ds_read2_b64 v[100:103], v182 offset1:4
	s_waitcnt lgkmcnt(0)
	v_mfma_f32_16x16x16_f16 a[0:3], v[100:101], v[30:31], 0
	v_mfma_f32_16x16x16_f16 a[0:3], v[102:103], v[32:33], a[0:3]
	ds_read2_b64 v[30:33], v182 offset0:8 offset1:12
	s_waitcnt lgkmcnt(0)
	v_mfma_f32_16x16x16_f16 a[0:3], v[30:31], v[26:27], a[0:3]
	v_mfma_f32_16x16x16_f16 a[0:3], v[32:33], v[28:29], a[0:3]
	ds_read2_b64 v[26:29], v182 offset0:16 offset1:20
	;; [unrolled: 4-line block ×7, first 2 shown]
	s_waitcnt lgkmcnt(0)
	s_barrier
	v_mfma_f32_16x16x16_f16 a[0:3], v[6:7], v[2:3], a[0:3]
                                        ; implicit-def: $vgpr7
	v_mfma_f32_16x16x16_f16 a[0:3], v[8:9], v[4:5], a[0:3]
	s_nop 7
	v_accvgpr_read_b32 v6, a0
	v_cmp_nlt_f32_e64 s[54:55], |v6|, s2
	s_and_saveexec_b64 s[56:57], s[54:55]
	s_xor_b64 s[54:55], exec, s[56:57]
	s_cbranch_execz .LBB30_234
; %bb.233:                              ;   in Loop: Header=BB30_14 Depth=1
	v_add_f32_e64 v0, |v6|, |v6|
	v_mul_f32_e32 v2, 0x3fb8aa3b, v0
	v_rndne_f32_e32 v3, v2
	v_sub_f32_e32 v4, v2, v3
	v_fma_f32 v2, v0, s5, -v2
	v_fmac_f32_e32 v2, 0x32a5705f, v0
	v_add_f32_e32 v2, v4, v2
	v_cvt_i32_f32_e32 v3, v3
	v_exp_f32_e32 v2, v2
	v_cmp_ngt_f32_e32 vcc, s82, v0
	v_ldexp_f32 v2, v2, v3
	s_nop 0
	v_cndmask_b32_e32 v2, 0, v2, vcc
	v_cmp_nlt_f32_e32 vcc, s77, v0
	s_nop 1
	v_cndmask_b32_e32 v0, v196, v2, vcc
	v_add_f32_e32 v0, 1.0, v0
	v_rcp_f32_e32 v0, v0
	s_nop 0
	v_fma_f32 v7, v0, -2.0, 1.0
.LBB30_234:                             ;   in Loop: Header=BB30_14 Depth=1
	s_andn2_saveexec_b64 s[54:55], s[54:55]
; %bb.235:                              ;   in Loop: Header=BB30_14 Depth=1
	v_mul_f32_e32 v0, v6, v6
	v_fmamk_f32 v2, v0, 0xbbbac73d, v197
	v_fmaak_f32 v2, v0, v2, 0xbd5c1c4e
	v_fmaak_f32 v2, v0, v2, 0x3e088382
	;; [unrolled: 1-line block ×3, first 2 shown]
	v_mul_f32_e64 v2, |v6|, v2
	v_fma_f32 v7, v0, v2, |v6|
; %bb.236:                              ;   in Loop: Header=BB30_14 Depth=1
	s_or_b64 exec, exec, s[54:55]
	v_accvgpr_read_b32 v5, a3
	v_accvgpr_read_b32 v3, a1
	;; [unrolled: 1-line block ×4, first 2 shown]
	v_cmp_nlt_f32_e64 s[54:55], |v3|, s2
                                        ; implicit-def: $vgpr2
	s_and_saveexec_b64 s[56:57], s[54:55]
	s_xor_b64 s[54:55], exec, s[56:57]
	s_cbranch_execz .LBB30_238
; %bb.237:                              ;   in Loop: Header=BB30_14 Depth=1
	v_add_f32_e64 v0, |v3|, |v3|
	v_mul_f32_e32 v2, 0x3fb8aa3b, v0
	v_rndne_f32_e32 v8, v2
	v_sub_f32_e32 v9, v2, v8
	v_fma_f32 v2, v0, s5, -v2
	v_fmac_f32_e32 v2, 0x32a5705f, v0
	v_add_f32_e32 v2, v9, v2
	v_cvt_i32_f32_e32 v8, v8
	v_exp_f32_e32 v2, v2
	v_cmp_ngt_f32_e32 vcc, s82, v0
	v_ldexp_f32 v2, v2, v8
	s_nop 0
	v_cndmask_b32_e32 v2, 0, v2, vcc
	v_cmp_nlt_f32_e32 vcc, s77, v0
	s_nop 1
	v_cndmask_b32_e32 v0, v196, v2, vcc
	v_add_f32_e32 v0, 1.0, v0
	v_rcp_f32_e32 v0, v0
	s_nop 0
	v_fma_f32 v2, v0, -2.0, 1.0
.LBB30_238:                             ;   in Loop: Header=BB30_14 Depth=1
	s_andn2_saveexec_b64 s[54:55], s[54:55]
; %bb.239:                              ;   in Loop: Header=BB30_14 Depth=1
	v_mul_f32_e32 v0, v3, v3
	v_fmamk_f32 v2, v0, 0xbbbac73d, v197
	v_fmaak_f32 v2, v0, v2, 0xbd5c1c4e
	v_fmaak_f32 v2, v0, v2, 0x3e088382
	;; [unrolled: 1-line block ×3, first 2 shown]
	v_mul_f32_e64 v2, |v3|, v2
	v_fma_f32 v2, v0, v2, |v3|
; %bb.240:                              ;   in Loop: Header=BB30_14 Depth=1
	s_or_b64 exec, exec, s[54:55]
	v_cmp_nlt_f32_e64 s[54:55], |v4|, s2
                                        ; implicit-def: $vgpr8
	s_and_saveexec_b64 s[56:57], s[54:55]
	s_xor_b64 s[54:55], exec, s[56:57]
	s_cbranch_execz .LBB30_242
; %bb.241:                              ;   in Loop: Header=BB30_14 Depth=1
	v_add_f32_e64 v0, |v4|, |v4|
	v_mul_f32_e32 v8, 0x3fb8aa3b, v0
	v_rndne_f32_e32 v9, v8
	v_sub_f32_e32 v10, v8, v9
	v_fma_f32 v8, v0, s5, -v8
	v_fmac_f32_e32 v8, 0x32a5705f, v0
	v_add_f32_e32 v8, v10, v8
	v_cvt_i32_f32_e32 v9, v9
	v_exp_f32_e32 v8, v8
	v_cmp_ngt_f32_e32 vcc, s82, v0
	v_ldexp_f32 v8, v8, v9
	s_nop 0
	v_cndmask_b32_e32 v8, 0, v8, vcc
	v_cmp_nlt_f32_e32 vcc, s77, v0
	s_nop 1
	v_cndmask_b32_e32 v0, v196, v8, vcc
	v_add_f32_e32 v0, 1.0, v0
	v_rcp_f32_e32 v0, v0
	s_nop 0
	v_fma_f32 v8, v0, -2.0, 1.0
.LBB30_242:                             ;   in Loop: Header=BB30_14 Depth=1
	s_andn2_saveexec_b64 s[54:55], s[54:55]
; %bb.243:                              ;   in Loop: Header=BB30_14 Depth=1
	v_mul_f32_e32 v0, v4, v4
	v_fmamk_f32 v8, v0, 0xbbbac73d, v197
	v_fmaak_f32 v8, v0, v8, 0xbd5c1c4e
	v_fmaak_f32 v8, v0, v8, 0x3e088382
	;; [unrolled: 1-line block ×3, first 2 shown]
	v_mul_f32_e64 v8, |v4|, v8
	v_fma_f32 v8, v0, v8, |v4|
; %bb.244:                              ;   in Loop: Header=BB30_14 Depth=1
	s_or_b64 exec, exec, s[54:55]
	v_cmp_nlt_f32_e64 s[54:55], |v5|, s2
                                        ; implicit-def: $vgpr9
	s_and_saveexec_b64 s[56:57], s[54:55]
	s_xor_b64 s[54:55], exec, s[56:57]
	s_cbranch_execz .LBB30_246
; %bb.245:                              ;   in Loop: Header=BB30_14 Depth=1
	v_add_f32_e64 v0, |v5|, |v5|
	v_mul_f32_e32 v9, 0x3fb8aa3b, v0
	v_rndne_f32_e32 v10, v9
	v_sub_f32_e32 v11, v9, v10
	v_fma_f32 v9, v0, s5, -v9
	v_fmac_f32_e32 v9, 0x32a5705f, v0
	v_add_f32_e32 v9, v11, v9
	v_cvt_i32_f32_e32 v10, v10
	v_exp_f32_e32 v9, v9
	v_cmp_ngt_f32_e32 vcc, s82, v0
	v_ldexp_f32 v9, v9, v10
	s_nop 0
	v_cndmask_b32_e32 v9, 0, v9, vcc
	v_cmp_nlt_f32_e32 vcc, s77, v0
	s_nop 1
	v_cndmask_b32_e32 v0, v196, v9, vcc
	v_add_f32_e32 v0, 1.0, v0
	v_rcp_f32_e32 v0, v0
	s_nop 0
	v_fma_f32 v9, v0, -2.0, 1.0
.LBB30_246:                             ;   in Loop: Header=BB30_14 Depth=1
	s_andn2_saveexec_b64 s[54:55], s[54:55]
; %bb.247:                              ;   in Loop: Header=BB30_14 Depth=1
	v_mul_f32_e32 v0, v5, v5
	v_fmamk_f32 v9, v0, 0xbbbac73d, v197
	v_fmaak_f32 v9, v0, v9, 0xbd5c1c4e
	v_fmaak_f32 v9, v0, v9, 0x3e088382
	v_fmaak_f32 v9, v0, v9, 0xbeaaaa99
	v_mul_f32_e64 v9, |v5|, v9
	v_fma_f32 v9, v0, v9, |v5|
; %bb.248:                              ;   in Loop: Header=BB30_14 Depth=1
	s_or_b64 exec, exec, s[54:55]
	v_bfi_b32 v0, s96, v7, v6
	v_mul_f32_e32 v6, s89, v0
	v_bfi_b32 v0, s96, v2, v3
	v_mul_f32_e32 v7, s89, v0
	;; [unrolled: 2-line block ×4, first 2 shown]
	s_and_b64 vcc, exec, s[34:35]
	s_cbranch_vccz .LBB30_338
; %bb.249:                              ;   in Loop: Header=BB30_14 Depth=1
	v_add_u32_e32 v0, 0x8400, v184
	ds_read2_b32 v[2:3], v0 offset1:1
	s_waitcnt lgkmcnt(0)
	v_cvt_f32_f16_e32 v10, v2
	v_cvt_f32_f16_e32 v4, v3
	v_cvt_f32_f16_sdwa v5, v3 dst_sel:DWORD dst_unused:UNUSED_PAD src0_sel:WORD_1
	v_cvt_f32_f16_sdwa v11, v2 dst_sel:DWORD dst_unused:UNUSED_PAD src0_sel:WORD_1
	v_pk_fma_f32 v[4:5], v[126:127], v[4:5], v[8:9] op_sel_hi:[0,1,1]
	v_pk_fma_f32 v[2:3], v[126:127], v[10:11], v[6:7] op_sel_hi:[0,1,1]
	s_cbranch_execnz .LBB30_251
.LBB30_250:                             ;   in Loop: Header=BB30_14 Depth=1
	v_mov_b64_e32 v[2:3], v[6:7]
	v_mov_b64_e32 v[4:5], v[8:9]
.LBB30_251:                             ;   in Loop: Header=BB30_14 Depth=1
	v_add_f32_e32 v0, 0x40051340, v2
	v_max_f32_e32 v6, v38, v38
	v_cmp_lt_u32_e32 vcc, v183, v1
	v_max_f32_e32 v0, v6, v0
	v_add_f32_e32 v6, 0x40051340, v3
	v_cndmask_b32_e32 v0, v38, v0, vcc
	v_max_f32_e32 v7, v0, v0
	v_cmp_lt_u32_e64 s[34:35], v200, v1
	v_max_f32_e32 v6, v7, v6
	v_cmp_lt_u32_e64 s[54:55], v199, v1
	v_cndmask_b32_e64 v0, v0, v6, s[34:35]
	v_add_f32_e32 v6, 0x40051340, v4
	v_max_f32_e32 v7, v0, v0
	v_max_f32_e32 v6, v7, v6
	v_cndmask_b32_e64 v0, v0, v6, s[54:55]
	v_cmp_lt_u32_e64 s[56:57], v198, v1
	v_add_f32_e32 v1, 0x40051340, v5
	v_max_f32_e32 v6, v0, v0
	v_max_f32_e32 v1, v6, v1
	v_cndmask_b32_e64 v0, v0, v1, s[56:57]
	v_and_b32_e32 v1, 64, v243
	v_add_u32_e32 v1, 64, v1
	v_xor_b32_e32 v6, 32, v243
	v_cmp_lt_i32_e64 s[58:59], v6, v1
	v_mul_hi_u32 v27, v46, s78
	v_mul_lo_u32 v28, v46, s78
	v_cndmask_b32_e64 v6, v243, v6, s[58:59]
	v_lshlrev_b32_e32 v8, 2, v6
	ds_bpermute_b32 v6, v8, v0
	v_max_f32_e32 v0, v0, v0
	v_mov_b32_e32 v35, v47
	scratch_store_dwordx4 off, a[4:7], off
	v_add_u32_e32 v50, v185, v208
	s_waitcnt lgkmcnt(0)
	v_max_f32_e32 v6, v6, v6
	v_max_f32_e32 v0, v0, v6
	v_xor_b32_e32 v6, 16, v243
	v_cmp_lt_i32_e64 s[58:59], v6, v1
	s_nop 1
	v_cndmask_b32_e64 v1, v243, v6, s[58:59]
	v_lshlrev_b32_e32 v9, 2, v1
	ds_bpermute_b32 v1, v9, v0
	s_waitcnt lgkmcnt(0)
	v_max_f32_e32 v1, v1, v1
	v_max_f32_e32 v6, v0, v1
	v_sub_f32_e32 v0, v2, v6
	v_mul_f32_e32 v1, 0x3fb8aa3b, v0
	v_fma_f32 v2, v0, s5, -v1
	v_rndne_f32_e32 v7, v1
	v_fmac_f32_e32 v2, 0x32a5705f, v0
	v_sub_f32_e32 v1, v1, v7
	v_add_f32_e32 v1, v1, v2
	v_exp_f32_e32 v1, v1
	v_cvt_i32_f32_e32 v2, v7
	v_cmp_ngt_f32_e64 s[58:59], s82, v0
	v_ldexp_f32 v1, v1, v2
	s_nop 0
	v_cndmask_b32_e64 v1, 0, v1, s[58:59]
	v_cmp_nlt_f32_e64 s[58:59], s77, v0
	s_nop 1
	v_cndmask_b32_e64 v0, v196, v1, s[58:59]
	v_cndmask_b32_e32 v2, 0, v0, vcc
	v_sub_f32_e32 v0, v3, v6
	v_mul_f32_e32 v1, 0x3fb8aa3b, v0
	v_fma_f32 v3, v0, s5, -v1
	v_rndne_f32_e32 v7, v1
	v_fmac_f32_e32 v3, 0x32a5705f, v0
	v_sub_f32_e32 v1, v1, v7
	v_add_f32_e32 v1, v1, v3
	v_exp_f32_e32 v1, v1
	v_cvt_i32_f32_e32 v3, v7
	v_cmp_ngt_f32_e32 vcc, s82, v0
	v_ldexp_f32 v1, v1, v3
	s_nop 0
	v_cndmask_b32_e32 v1, 0, v1, vcc
	v_cmp_nlt_f32_e32 vcc, s77, v0
	s_nop 1
	v_cndmask_b32_e32 v0, v196, v1, vcc
	v_add_f32_e32 v3, v0, v2
	v_mov_b32_e32 v1, s87
	v_cndmask_b32_e64 v1, v1, v0, s[34:35]
	v_cndmask_b32_e64 v0, v2, v3, s[34:35]
	v_sub_f32_e32 v3, v4, v6
	v_mul_f32_e32 v4, 0x3fb8aa3b, v3
	v_fma_f32 v7, v3, s5, -v4
	v_rndne_f32_e32 v10, v4
	v_fmac_f32_e32 v7, 0x32a5705f, v3
	v_sub_f32_e32 v4, v4, v10
	v_add_f32_e32 v4, v4, v7
	v_exp_f32_e32 v4, v4
	v_cvt_i32_f32_e32 v7, v10
	v_cmp_ngt_f32_e32 vcc, s82, v3
	v_cvt_pk_f16_f32 v2, v2, v1
	v_ldexp_f32 v4, v4, v7
	v_cndmask_b32_e32 v4, 0, v4, vcc
	v_cmp_nlt_f32_e32 vcc, s77, v3
	s_nop 1
	v_cndmask_b32_e32 v3, v196, v4, vcc
	v_mov_b32_e32 v4, s87
	v_add_f32_e32 v7, v0, v3
	v_cndmask_b32_e64 v4, v4, v3, s[54:55]
	v_sub_f32_e32 v3, v5, v6
	v_mul_f32_e32 v5, 0x3fb8aa3b, v3
	v_cndmask_b32_e64 v0, v0, v7, s[54:55]
	v_fma_f32 v7, v3, s5, -v5
	v_rndne_f32_e32 v10, v5
	v_fmac_f32_e32 v7, 0x32a5705f, v3
	v_sub_f32_e32 v5, v5, v10
	v_add_f32_e32 v5, v5, v7
	v_exp_f32_e32 v5, v5
	v_cvt_i32_f32_e32 v7, v10
	v_cmp_ngt_f32_e32 vcc, s82, v3
	v_ldexp_f32 v5, v5, v7
	s_nop 0
	v_cndmask_b32_e32 v5, 0, v5, vcc
	v_cmp_nlt_f32_e32 vcc, s77, v3
	v_mov_b32_e32 v3, s87
	s_nop 0
	v_cndmask_b32_e32 v5, v196, v5, vcc
	v_add_f32_e32 v7, v0, v5
	v_cndmask_b32_e64 v7, v0, v7, s[56:57]
	v_sub_f32_e32 v0, v38, v6
	v_cndmask_b32_e64 v3, v3, v5, s[56:57]
	v_mul_f32_e32 v5, 0x3fb8aa3b, v0
	v_fma_f32 v10, v0, s5, -v5
	v_rndne_f32_e32 v11, v5
	v_fmac_f32_e32 v10, 0x32a5705f, v0
	v_sub_f32_e32 v5, v5, v11
	v_add_f32_e32 v5, v5, v10
	v_exp_f32_e32 v5, v5
	v_cvt_i32_f32_e32 v10, v11
	v_cmp_ngt_f32_e32 vcc, s82, v0
	v_cvt_pk_f16_f32 v3, v4, v3
	v_ldexp_f32 v5, v5, v10
	v_cndmask_b32_e32 v5, 0, v5, vcc
	v_cmp_nlt_f32_e32 vcc, s77, v0
	s_nop 1
	v_cndmask_b32_e32 v5, v196, v5, vcc
	v_cmp_le_f32_e32 vcc, s3, v0
	s_nop 1
	v_cndmask_b32_e32 v0, 0, v5, vcc
	v_fmac_f32_e32 v7, v37, v0
	v_cvt_f16_f32_e32 v0, v0
	v_cmp_ne_u64_e32 vcc, 0, v[122:123]
	v_mul_u32_u24_e32 v0, 0x10001, v0
	v_pk_mul_f16 v23, v99, v0
	v_pk_mul_f16 v22, v98, v0
	;; [unrolled: 1-line block ×32, first 2 shown]
	v_mul_lo_u32 v0, v46, s79
	v_add_u32_e32 v29, v27, v0
	v_lshlrev_b64 v[28:29], 2, v[28:29]
	v_lshl_add_u64 v[28:29], v[124:125], 0, v[28:29]
	v_lshl_add_u64 v[32:33], v[68:69], 2, v[28:29]
	;; [unrolled: 1-line block ×3, first 2 shown]
	v_mov_b32_e32 v0, s91
	v_cndmask_b32_e64 v33, v0, v33, s[36:37]
	v_cndmask_b32_e64 v32, v233, v32, s[36:37]
	v_lshl_add_u64 v[36:37], v[70:71], 2, v[28:29]
	v_lshl_add_u64 v[40:41], v[72:73], 2, v[28:29]
	;; [unrolled: 1-line block ×14, first 2 shown]
	flat_load_dwordx4 v[32:35], v[32:33]
	v_cndmask_b32_e64 v37, v0, v37, s[38:39]
	v_cndmask_b32_e64 v36, v233, v36, s[38:39]
	;; [unrolled: 1-line block ×14, first 2 shown]
	v_readlane_b32 s38, v255, 31
	v_readlane_b32 s39, v255, 32
	s_and_b64 s[34:35], s[38:39], vcc
	s_waitcnt vmcnt(0) lgkmcnt(0)
	ds_write_b128 v181, v[32:35]
	flat_load_dwordx4 v[32:35], v[36:37]
	s_waitcnt vmcnt(0) lgkmcnt(0)
	ds_write_b128 v249, v[32:35]
	flat_load_dwordx4 v[32:35], v[40:41]
	;; [unrolled: 3-line block ×7, first 2 shown]
	s_waitcnt vmcnt(0) lgkmcnt(0)
	ds_write_b128 v236, v[32:35]
	s_waitcnt lgkmcnt(0)
	s_barrier
	ds_read_u16 v0, v186 offset:528
	ds_read_u16 v1, v186 offset:1056
	ds_read_u16 v4, v186
	ds_read_u16 v27, v186 offset:32
	s_waitcnt lgkmcnt(1)
	v_perm_b32 v28, v0, v4, s86
	ds_read_u16 v0, v50
	ds_read_u16 v4, v50 offset:32
	s_waitcnt lgkmcnt(1)
	v_perm_b32 v29, v0, v1, s86
	v_cvt_f32_f16_e32 v0, v23
	v_cvt_f32_f16_sdwa v1, v23 dst_sel:DWORD dst_unused:UNUSED_PAD src0_sel:WORD_1
	v_cvt_f32_f16_e32 v23, v22
	v_cvt_f32_f16_sdwa v22, v22 dst_sel:DWORD dst_unused:UNUSED_PAD src0_sel:WORD_1
	v_accvgpr_write_b32 a0, v0
	v_accvgpr_write_b32 a1, v1
	;; [unrolled: 1-line block ×4, first 2 shown]
	s_nop 1
	v_mfma_f32_16x16x16_f16 a[0:3], v[28:29], v[2:3], a[0:3]
	s_nop 7
	v_accvgpr_read_b32 v0, a2
	v_accvgpr_read_b32 v1, a3
	v_cvt_f16_f32_e32 v0, v0
	v_cvt_f16_f32_e32 v1, v1
	v_accvgpr_read_b32 v22, a0
	v_accvgpr_read_b32 v23, a1
	v_cvt_f16_f32_e32 v28, v22
	v_perm_b32 v1, v1, v0, s86
	ds_read_u16 v0, v186 offset:560
	ds_read_u16 v31, v186 offset:1088
	v_cvt_f16_f32_e32 v29, v23
	s_waitcnt lgkmcnt(1)
	v_perm_b32 v32, v0, v27, s86
	s_waitcnt lgkmcnt(0)
	v_perm_b32 v33, v4, v31, s86
	v_cvt_f32_f16_e32 v0, v25
	v_cvt_f32_f16_sdwa v4, v25 dst_sel:DWORD dst_unused:UNUSED_PAD src0_sel:WORD_1
	v_cvt_f32_f16_e32 v25, v24
	v_cvt_f32_f16_sdwa v24, v24 dst_sel:DWORD dst_unused:UNUSED_PAD src0_sel:WORD_1
	v_accvgpr_write_b32 a0, v0
	v_accvgpr_write_b32 a1, v4
	v_accvgpr_write_b32 a2, v25
	v_accvgpr_write_b32 a3, v24
	v_perm_b32 v28, v29, v28, s86
	s_nop 0
	v_mfma_f32_16x16x16_f16 a[0:3], v[32:33], v[2:3], a[0:3]
	s_nop 7
	v_accvgpr_read_b32 v0, a2
	v_accvgpr_read_b32 v4, a3
	v_cvt_f16_f32_e32 v0, v0
	v_cvt_f16_f32_e32 v4, v4
	v_accvgpr_read_b32 v24, a0
	v_accvgpr_read_b32 v25, a1
	v_cvt_f16_f32_e32 v32, v24
	v_perm_b32 v4, v4, v0, s86
	ds_read_u16 v0, v186 offset:64
	ds_read_u16 v27, v186 offset:592
	ds_read_u16 v31, v186 offset:1120
	ds_read_u16 v35, v50 offset:64
	v_cvt_f16_f32_e32 v33, v25
	s_waitcnt lgkmcnt(2)
	v_perm_b32 v34, v27, v0, s86
	v_cvt_f32_f16_e32 v0, v26
	s_waitcnt lgkmcnt(0)
	v_perm_b32 v35, v35, v31, s86
	v_cvt_f32_f16_sdwa v26, v26 dst_sel:DWORD dst_unused:UNUSED_PAD src0_sel:WORD_1
	v_cvt_f32_f16_e32 v27, v5
	v_cvt_f32_f16_sdwa v5, v5 dst_sel:DWORD dst_unused:UNUSED_PAD src0_sel:WORD_1
	v_accvgpr_write_b32 a0, v0
	v_accvgpr_write_b32 a1, v26
	v_accvgpr_write_b32 a2, v27
	v_accvgpr_write_b32 a3, v5
	v_perm_b32 v32, v33, v32, s86
	s_nop 0
	v_mfma_f32_16x16x16_f16 a[0:3], v[34:35], v[2:3], a[0:3]
	s_nop 7
	v_accvgpr_read_b32 v0, a2
	v_accvgpr_read_b32 v5, a3
	v_cvt_f16_f32_e32 v0, v0
	v_cvt_f16_f32_e32 v5, v5
	v_accvgpr_read_b32 v26, a0
	v_accvgpr_read_b32 v27, a1
	v_cvt_f16_f32_e32 v36, v26
	v_perm_b32 v5, v5, v0, s86
	ds_read_u16 v0, v186 offset:96
	ds_read_u16 v31, v186 offset:624
	ds_read_u16 v35, v186 offset:1152
	ds_read_u16 v40, v50 offset:96
	v_cvt_f16_f32_e32 v37, v27
	s_waitcnt lgkmcnt(2)
	v_perm_b32 v34, v31, v0, s86
	v_cvt_f32_f16_e32 v0, v30
	s_waitcnt lgkmcnt(0)
	v_perm_b32 v35, v40, v35, s86
	;; [unrolled: 29-line block ×13, first 2 shown]
	v_cvt_f32_f16_sdwa v51, v99 dst_sel:DWORD dst_unused:UNUSED_PAD src0_sel:WORD_1
	v_cvt_f32_f16_e32 v99, v21
	v_cvt_f32_f16_sdwa v21, v21 dst_sel:DWORD dst_unused:UNUSED_PAD src0_sel:WORD_1
	v_accvgpr_write_b32 a0, v0
	v_accvgpr_write_b32 a1, v51
	;; [unrolled: 1-line block ×4, first 2 shown]
	v_cvt_f32_f16_sdwa v102, v129 dst_sel:DWORD dst_unused:UNUSED_PAD src0_sel:WORD_1
	s_nop 0
	v_mfma_f32_16x16x16_f16 a[0:3], v[100:101], v[2:3], a[0:3]
	s_nop 7
	v_accvgpr_read_b32 v0, a2
	v_accvgpr_read_b32 v21, a3
	v_cvt_f16_f32_e32 v0, v0
	v_cvt_f16_f32_e32 v21, v21
	v_accvgpr_read_b32 v99, a0
	v_accvgpr_read_b32 v124, a1
	v_accvgpr_write_b32 a3, v102
	v_perm_b32 v21, v21, v0, s86
	ds_read_u16 v0, v186 offset:480
	ds_read_u16 v51, v186 offset:1008
	;; [unrolled: 1-line block ×4, first 2 shown]
	v_cvt_f16_f32_e32 v148, v99
	v_cvt_f16_f32_e32 v149, v124
	s_waitcnt lgkmcnt(2)
	v_perm_b32 v100, v51, v0, s86
	v_cvt_f32_f16_e32 v0, v150
	s_waitcnt lgkmcnt(0)
	v_perm_b32 v101, v50, v101, s86
	v_cvt_f32_f16_sdwa v50, v150 dst_sel:DWORD dst_unused:UNUSED_PAD src0_sel:WORD_1
	v_cvt_f32_f16_e32 v51, v129
	v_accvgpr_write_b32 a0, v0
	v_perm_b32 v102, v147, v146, s86
	v_accvgpr_write_b32 a1, v50
	v_accvgpr_write_b32 a2, v51
	s_barrier
	s_nop 0
	v_mfma_f32_16x16x16_f16 a[0:3], v[100:101], v[2:3], a[0:3]
	v_perm_b32 v101, v149, v148, s86
	s_nop 6
	v_accvgpr_read_b32 v0, a2
	v_accvgpr_read_b32 v2, a3
	v_cvt_f16_f32_e32 v0, v0
	v_cvt_f16_f32_e32 v2, v2
	v_accvgpr_read_b32 v3, a0
	v_accvgpr_read_b32 v129, a1
	v_cvt_f16_f32_e32 v150, v3
	v_perm_b32 v2, v2, v0, s86
	ds_bpermute_b32 v0, v8, v7
	v_cvt_f16_f32_e32 v151, v129
	s_waitcnt lgkmcnt(0)
	v_add_f32_e32 v0, v7, v0
	ds_bpermute_b32 v7, v9, v0
	v_perm_b32 v100, v151, v150, s86
	s_waitcnt lgkmcnt(0)
	v_add_f32_e32 v7, v0, v7
	s_and_saveexec_b64 s[36:37], s[34:35]
	s_cbranch_execz .LBB30_253
; %bb.252:                              ;   in Loop: Header=BB30_14 Depth=1
	global_load_dword v0, v[122:123], off
	v_cvt_pk_f16_f32 v28, v22, v23
	v_max_f32_e32 v22, v6, v6
	v_cvt_pk_f16_f32 v24, v24, v25
	v_cvt_pk_f16_f32 v25, v26, v27
	;; [unrolled: 1-line block ×14, first 2 shown]
	s_waitcnt vmcnt(0)
	v_max_f32_e32 v23, v0, v0
	v_max_f32_e32 v22, v22, v23
	v_sub_f32_e32 v6, v6, v22
	v_sub_f32_e32 v0, v0, v22
	v_mul_f32_e32 v23, 0x3fb8aa3b, v6
	v_mul_f32_e32 v32, 0x3fb8aa3b, v0
	v_fma_f32 v36, v6, s5, -v23
	v_rndne_f32_e32 v40, v23
	v_fma_f32 v41, v0, s5, -v32
	v_rndne_f32_e32 v46, v32
	v_fmac_f32_e32 v36, 0x32a5705f, v6
	v_sub_f32_e32 v23, v23, v40
	v_fmac_f32_e32 v41, 0x32a5705f, v0
	v_sub_f32_e32 v32, v32, v46
	v_add_f32_e32 v23, v23, v36
	v_cvt_i32_f32_e32 v40, v40
	v_add_f32_e32 v32, v32, v41
	v_exp_f32_e32 v23, v23
	v_cvt_i32_f32_e32 v46, v46
	v_exp_f32_e32 v32, v32
	v_cmp_ngt_f32_e32 vcc, s82, v6
	v_ldexp_f32 v23, v23, v40
	v_cvt_pk_f16_f32 v41, v99, v124
	v_ldexp_f32 v32, v32, v46
	v_cndmask_b32_e32 v23, 0, v23, vcc
	v_cmp_ngt_f32_e32 vcc, s82, v0
	s_nop 1
	v_cndmask_b32_e32 v32, 0, v32, vcc
	v_cmp_nlt_f32_e32 vcc, s77, v6
	s_nop 1
	v_cndmask_b32_e32 v23, v196, v23, vcc
	v_cmp_le_f32_e32 vcc, s3, v6
	s_nop 1
	v_cndmask_b32_e32 v6, 0, v23, vcc
	v_cvt_f16_f32_e32 v36, v6
	v_cmp_nlt_f32_e32 vcc, s77, v0
	v_mul_u32_u24_e32 v0, 0x10001, v36
	s_nop 0
	v_cndmask_b32_e32 v23, v196, v32, vcc
	v_fmac_f32_e32 v23, v7, v6
	v_pk_mul_f16 v28, v28, v0
	v_pk_mul_f16 v1, v1, v0
	;; [unrolled: 1-line block ×32, first 2 shown]
	v_mov_b64_e32 v[6:7], v[22:23]
.LBB30_253:                             ;   in Loop: Header=BB30_14 Depth=1
	s_or_b64 exec, exec, s[36:37]
	s_mov_b64 s[34:35], exec
	v_readlane_b32 s36, v255, 46
	v_readlane_b32 s37, v255, 47
	s_and_b64 s[36:37], s[34:35], s[36:37]
	s_mov_b64 exec, s[36:37]
; %bb.254:                              ;   in Loop: Header=BB30_14 Depth=1
	v_add_u32_e32 v0, 0, v209
	ds_write2_b32 v0, v6, v7 offset0:128 offset1:129
; %bb.255:                              ;   in Loop: Header=BB30_14 Depth=1
	s_or_b64 exec, exec, s[34:35]
	s_waitcnt lgkmcnt(0)
	s_barrier
	s_mov_b64 s[34:35], exec
	v_readlane_b32 s36, v255, 33
	v_readlane_b32 s37, v255, 34
	s_and_b64 s[36:37], s[34:35], s[36:37]
	s_xor_b64 s[34:35], s[36:37], s[34:35]
	s_mov_b64 exec, s[36:37]
	s_cbranch_execz .LBB30_257
; %bb.256:                              ;   in Loop: Header=BB30_14 Depth=1
	s_barrier
                                        ; implicit-def: $vgpr8
                                        ; implicit-def: $vgpr9
.LBB30_257:                             ;   in Loop: Header=BB30_14 Depth=1
	s_andn2_saveexec_b64 s[34:35], s[34:35]
	s_cbranch_execz .LBB30_259
; %bb.258:                              ;   in Loop: Header=BB30_14 Depth=1
	v_add_u32_e32 v0, 0, v209
	ds_read_b64 v[6:7], v0 offset:512
	s_waitcnt lgkmcnt(0)
	s_barrier
	ds_bpermute_b32 v3, v8, v6
	v_max_f32_e32 v22, v6, v6
	s_waitcnt lgkmcnt(0)
	v_max_f32_e32 v3, v3, v3
	v_max_f32_e32 v3, v22, v3
	ds_bpermute_b32 v22, v9, v3
	s_waitcnt lgkmcnt(0)
	v_max_f32_e32 v22, v22, v22
	v_max_f32_e32 v3, v3, v22
	v_sub_f32_e32 v3, v6, v3
	v_mul_f32_e32 v6, 0x3fb8aa3b, v3
	v_fma_f32 v22, v3, s5, -v6
	v_rndne_f32_e32 v23, v6
	v_fmac_f32_e32 v22, 0x32a5705f, v3
	v_sub_f32_e32 v6, v6, v23
	v_add_f32_e32 v6, v6, v22
	v_cvt_i32_f32_e32 v23, v23
	v_exp_f32_e32 v6, v6
	v_cmp_ngt_f32_e32 vcc, s82, v3
	v_ldexp_f32 v6, v6, v23
	s_nop 0
	v_cndmask_b32_e32 v6, 0, v6, vcc
	v_cmp_nlt_f32_e32 vcc, s77, v3
	s_nop 1
	v_cndmask_b32_e32 v6, v196, v6, vcc
	v_mul_f32_e32 v3, v7, v6
	ds_bpermute_b32 v3, v8, v3
	s_waitcnt lgkmcnt(0)
	v_fmac_f32_e32 v3, v7, v6
	ds_bpermute_b32 v7, v9, v3
	s_waitcnt lgkmcnt(0)
	v_add_f32_e32 v7, v3, v7
	ds_write_b64 v0, v[6:7] offset:512
.LBB30_259:                             ;   in Loop: Header=BB30_14 Depth=1
	s_or_b64 exec, exec, s[34:35]
	ds_write2_b32 v187, v28, v1 offset1:1
	ds_write2_b32 v187, v32, v4 offset0:8 offset1:9
	ds_write2_b32 v187, v36, v5 offset0:16 offset1:17
	;; [unrolled: 1-line block ×15, first 2 shown]
	s_waitcnt lgkmcnt(0)
	s_barrier
	s_and_saveexec_b64 s[34:35], s[38:39]
	s_cbranch_execz .LBB30_12
; %bb.260:                              ;   in Loop: Header=BB30_14 Depth=1
	v_add_u32_e32 v2, v188, v194
	v_cmp_gt_i32_e32 vcc, s76, v2
	v_mov_b32_e32 v1, 0x47
	s_and_saveexec_b64 s[36:37], vcc
	s_cbranch_execz .LBB30_262
; %bb.261:                              ;   in Loop: Header=BB30_14 Depth=1
	v_readlane_b32 s38, v255, 40
	s_nop 1
	v_mul_lo_u32 v4, s38, v2
	ds_read2_b32 v[2:3], v210 offset0:128 offset1:129
	ds_read2st64_b32 v[6:7], v210 offset0:35 offset1:68
	ds_read_b32 v8, v210 offset:25856
	ds_read2st64_b32 v[10:11], v227 offset1:1
	ds_read2st64_b32 v[12:13], v227 offset0:33 offset1:34
	ds_read2st64_b32 v[14:15], v227 offset0:66 offset1:67
	;; [unrolled: 1-line block ×3, first 2 shown]
	v_add_u32_e32 v18, v44, v4
	s_waitcnt lgkmcnt(3)
	v_cvt_f32_f16_sdwa v21, v10 dst_sel:DWORD dst_unused:UNUSED_PAD src0_sel:WORD_1
	v_cvt_f32_f16_e32 v20, v10
	s_waitcnt lgkmcnt(2)
	v_cvt_f32_f16_sdwa v23, v12 dst_sel:DWORD dst_unused:UNUSED_PAD src0_sel:WORD_1
	v_cvt_f32_f16_e32 v22, v12
	v_mov_b32_e32 v10, v7
	v_pk_fma_f32 v[20:21], v[2:3], v[20:21], 0 op_sel_hi:[0,1,0]
	v_ashrrev_i32_e32 v19, 31, v18
	v_pk_fma_f32 v[20:21], v[6:7], v[22:23], v[20:21] op_sel_hi:[0,1,1]
	s_waitcnt lgkmcnt(1)
	v_cvt_f32_f16_sdwa v23, v14 dst_sel:DWORD dst_unused:UNUSED_PAD src0_sel:WORD_1
	v_cvt_f32_f16_e32 v22, v14
	v_lshl_add_u64 v[18:19], v[18:19], 3, v[120:121]
	v_cvt_f32_f16_e32 v12, v15
	v_pk_fma_f32 v[20:21], v[10:11], v[22:23], v[20:21] op_sel_hi:[0,1,1]
	s_waitcnt lgkmcnt(0)
	v_cvt_f32_f16_sdwa v23, v16 dst_sel:DWORD dst_unused:UNUSED_PAD src0_sel:WORD_1
	v_cvt_f32_f16_e32 v22, v16
	v_pk_fma_f32 v[20:21], v[8:9], v[22:23], v[20:21] op_sel_hi:[0,1,1]
	v_div_scale_f32 v0, s[38:39], v3, v3, v21
	v_rcp_f32_e32 v1, v0
	s_nop 0
	v_fma_f32 v5, -v0, v1, 1.0
	v_fmac_f32_e32 v1, v5, v1
	v_div_scale_f32 v5, vcc, v21, v3, v21
	v_mul_f32_e32 v7, v5, v1
	v_fma_f32 v9, -v0, v7, v5
	v_fmac_f32_e32 v7, v9, v1
	v_fma_f32 v0, -v0, v7, v5
	v_div_fmas_f32 v0, v0, v1, v7
	v_div_fixup_f32 v21, v0, v3, v21
	v_div_scale_f32 v0, s[38:39], v3, v3, v20
	v_rcp_f32_e32 v1, v0
	s_nop 0
	v_fma_f32 v5, -v0, v1, 1.0
	v_fmac_f32_e32 v1, v5, v1
	v_div_scale_f32 v5, vcc, v20, v3, v20
	v_mul_f32_e32 v7, v5, v1
	v_fma_f32 v9, -v0, v7, v5
	v_fmac_f32_e32 v7, v9, v1
	v_fma_f32 v0, -v0, v7, v5
	v_div_fmas_f32 v0, v0, v1, v7
	v_div_fixup_f32 v20, v0, v3, v20
	global_store_dwordx2 v[18:19], v[20:21], off
	v_cvt_f32_f16_sdwa v19, v11 dst_sel:DWORD dst_unused:UNUSED_PAD src0_sel:WORD_1
	v_cvt_f32_f16_e32 v18, v11
	v_cvt_f32_f16_sdwa v21, v13 dst_sel:DWORD dst_unused:UNUSED_PAD src0_sel:WORD_1
	v_cvt_f32_f16_e32 v20, v13
	v_cvt_f32_f16_sdwa v13, v15 dst_sel:DWORD dst_unused:UNUSED_PAD src0_sel:WORD_1
	v_pk_fma_f32 v[18:19], v[2:3], v[18:19], 0 op_sel_hi:[0,1,0]
	v_ashrrev_i32_e32 v5, 31, v4
	v_pk_fma_f32 v[6:7], v[6:7], v[20:21], v[18:19] op_sel_hi:[0,1,1]
	v_pk_fma_f32 v[6:7], v[10:11], v[12:13], v[6:7] op_sel_hi:[0,1,1]
	v_cvt_f32_f16_sdwa v11, v17 dst_sel:DWORD dst_unused:UNUSED_PAD src0_sel:WORD_1
	v_cvt_f32_f16_e32 v10, v17
	v_lshl_add_u64 v[4:5], v[44:45], 0, v[4:5]
	v_lshl_add_u64 v[4:5], v[4:5], 3, v[120:121]
	v_pk_fma_f32 v[6:7], v[8:9], v[10:11], v[6:7] op_sel_hi:[0,1,1]
	v_div_scale_f32 v0, s[38:39], v3, v3, v7
	v_rcp_f32_e32 v1, v0
	s_nop 0
	v_fma_f32 v2, -v0, v1, 1.0
	v_fmac_f32_e32 v1, v2, v1
	v_div_scale_f32 v2, vcc, v7, v3, v7
	v_mul_f32_e32 v8, v2, v1
	v_fma_f32 v9, -v0, v8, v2
	v_fmac_f32_e32 v8, v9, v1
	v_fma_f32 v0, -v0, v8, v2
	v_div_fmas_f32 v0, v0, v1, v8
	v_div_fixup_f32 v7, v0, v3, v7
	v_div_scale_f32 v0, s[38:39], v3, v3, v6
	v_rcp_f32_e32 v1, v0
	s_nop 0
	v_fma_f32 v2, -v0, v1, 1.0
	v_fmac_f32_e32 v1, v2, v1
	v_div_scale_f32 v2, vcc, v6, v3, v6
	v_mul_f32_e32 v8, v2, v1
	v_fma_f32 v9, -v0, v8, v2
	v_fmac_f32_e32 v8, v9, v1
	v_fma_f32 v0, -v0, v8, v2
	v_div_fmas_f32 v0, v0, v1, v8
	v_div_fixup_f32 v6, v0, v3, v6
	v_mov_b32_e32 v1, 0
	global_store_dwordx2 v[4:5], v[6:7], off offset:512
.LBB30_262:                             ;   in Loop: Header=BB30_14 Depth=1
	s_or_b64 exec, exec, s[36:37]
	s_movk_i32 s36, 0x47
	v_cmp_gt_i32_e32 vcc, s36, v1
	s_mov_b64 s[36:37], -1
	s_and_saveexec_b64 s[38:39], vcc
; %bb.263:                              ;   in Loop: Header=BB30_14 Depth=1
	v_cmp_eq_u32_e32 vcc, 0, v1
	s_orn2_b64 s[36:37], vcc, exec
; %bb.264:                              ;   in Loop: Header=BB30_14 Depth=1
	s_or_b64 exec, exec, s[38:39]
	s_and_b64 exec, exec, s[36:37]
	s_cbranch_execz .LBB30_12
; %bb.265:                              ;   in Loop: Header=BB30_14 Depth=1
	v_accvgpr_read_b32 v0, a12
	v_add_u32_e32 v2, v0, v194
	v_cmp_gt_i32_e32 vcc, s76, v2
	v_mov_b32_e32 v1, 0x47
	s_and_saveexec_b64 s[36:37], vcc
	s_cbranch_execz .LBB30_267
; %bb.266:                              ;   in Loop: Header=BB30_14 Depth=1
	v_readlane_b32 s38, v255, 40
	v_accvgpr_read_b32 v0, a27
	s_nop 0
	v_mul_lo_u32 v4, s38, v2
	ds_read2_b32 v[2:3], v0 offset0:128 offset1:129
	ds_read2st64_b32 v[6:7], v0 offset0:35 offset1:68
	ds_read_b32 v8, v0 offset:25856
	ds_read2st64_b32 v[10:11], v228 offset1:1
	ds_read2st64_b32 v[12:13], v228 offset0:33 offset1:34
	ds_read2st64_b32 v[14:15], v228 offset0:66 offset1:67
	;; [unrolled: 1-line block ×3, first 2 shown]
	v_add_u32_e32 v18, v44, v4
	s_waitcnt lgkmcnt(3)
	v_cvt_f32_f16_sdwa v21, v10 dst_sel:DWORD dst_unused:UNUSED_PAD src0_sel:WORD_1
	v_cvt_f32_f16_e32 v20, v10
	s_waitcnt lgkmcnt(2)
	v_cvt_f32_f16_sdwa v23, v12 dst_sel:DWORD dst_unused:UNUSED_PAD src0_sel:WORD_1
	v_cvt_f32_f16_e32 v22, v12
	v_mov_b32_e32 v10, v7
	v_pk_fma_f32 v[20:21], v[2:3], v[20:21], 0 op_sel_hi:[0,1,0]
	v_ashrrev_i32_e32 v19, 31, v18
	v_pk_fma_f32 v[20:21], v[6:7], v[22:23], v[20:21] op_sel_hi:[0,1,1]
	s_waitcnt lgkmcnt(1)
	v_cvt_f32_f16_sdwa v23, v14 dst_sel:DWORD dst_unused:UNUSED_PAD src0_sel:WORD_1
	v_cvt_f32_f16_e32 v22, v14
	v_lshl_add_u64 v[18:19], v[18:19], 3, v[120:121]
	v_cvt_f32_f16_e32 v12, v15
	v_pk_fma_f32 v[20:21], v[10:11], v[22:23], v[20:21] op_sel_hi:[0,1,1]
	s_waitcnt lgkmcnt(0)
	v_cvt_f32_f16_sdwa v23, v16 dst_sel:DWORD dst_unused:UNUSED_PAD src0_sel:WORD_1
	v_cvt_f32_f16_e32 v22, v16
	v_pk_fma_f32 v[20:21], v[8:9], v[22:23], v[20:21] op_sel_hi:[0,1,1]
	v_div_scale_f32 v0, s[38:39], v3, v3, v21
	v_rcp_f32_e32 v1, v0
	s_nop 0
	v_fma_f32 v5, -v0, v1, 1.0
	v_fmac_f32_e32 v1, v5, v1
	v_div_scale_f32 v5, vcc, v21, v3, v21
	v_mul_f32_e32 v7, v5, v1
	v_fma_f32 v9, -v0, v7, v5
	v_fmac_f32_e32 v7, v9, v1
	v_fma_f32 v0, -v0, v7, v5
	v_div_fmas_f32 v0, v0, v1, v7
	v_div_fixup_f32 v21, v0, v3, v21
	v_div_scale_f32 v0, s[38:39], v3, v3, v20
	v_rcp_f32_e32 v1, v0
	s_nop 0
	v_fma_f32 v5, -v0, v1, 1.0
	v_fmac_f32_e32 v1, v5, v1
	v_div_scale_f32 v5, vcc, v20, v3, v20
	v_mul_f32_e32 v7, v5, v1
	v_fma_f32 v9, -v0, v7, v5
	v_fmac_f32_e32 v7, v9, v1
	v_fma_f32 v0, -v0, v7, v5
	v_div_fmas_f32 v0, v0, v1, v7
	v_div_fixup_f32 v20, v0, v3, v20
	global_store_dwordx2 v[18:19], v[20:21], off
	v_cvt_f32_f16_sdwa v19, v11 dst_sel:DWORD dst_unused:UNUSED_PAD src0_sel:WORD_1
	v_cvt_f32_f16_e32 v18, v11
	v_cvt_f32_f16_sdwa v21, v13 dst_sel:DWORD dst_unused:UNUSED_PAD src0_sel:WORD_1
	v_cvt_f32_f16_e32 v20, v13
	v_cvt_f32_f16_sdwa v13, v15 dst_sel:DWORD dst_unused:UNUSED_PAD src0_sel:WORD_1
	v_pk_fma_f32 v[18:19], v[2:3], v[18:19], 0 op_sel_hi:[0,1,0]
	v_ashrrev_i32_e32 v5, 31, v4
	v_pk_fma_f32 v[6:7], v[6:7], v[20:21], v[18:19] op_sel_hi:[0,1,1]
	v_pk_fma_f32 v[6:7], v[10:11], v[12:13], v[6:7] op_sel_hi:[0,1,1]
	v_cvt_f32_f16_sdwa v11, v17 dst_sel:DWORD dst_unused:UNUSED_PAD src0_sel:WORD_1
	v_cvt_f32_f16_e32 v10, v17
	v_lshl_add_u64 v[4:5], v[44:45], 0, v[4:5]
	v_lshl_add_u64 v[4:5], v[4:5], 3, v[120:121]
	v_pk_fma_f32 v[6:7], v[8:9], v[10:11], v[6:7] op_sel_hi:[0,1,1]
	v_div_scale_f32 v0, s[38:39], v3, v3, v7
	v_rcp_f32_e32 v1, v0
	s_nop 0
	v_fma_f32 v2, -v0, v1, 1.0
	v_fmac_f32_e32 v1, v2, v1
	v_div_scale_f32 v2, vcc, v7, v3, v7
	v_mul_f32_e32 v8, v2, v1
	v_fma_f32 v9, -v0, v8, v2
	v_fmac_f32_e32 v8, v9, v1
	v_fma_f32 v0, -v0, v8, v2
	v_div_fmas_f32 v0, v0, v1, v8
	v_div_fixup_f32 v7, v0, v3, v7
	v_div_scale_f32 v0, s[38:39], v3, v3, v6
	v_rcp_f32_e32 v1, v0
	s_nop 0
	v_fma_f32 v2, -v0, v1, 1.0
	v_fmac_f32_e32 v1, v2, v1
	v_div_scale_f32 v2, vcc, v6, v3, v6
	v_mul_f32_e32 v8, v2, v1
	v_fma_f32 v9, -v0, v8, v2
	v_fmac_f32_e32 v8, v9, v1
	v_fma_f32 v0, -v0, v8, v2
	v_div_fmas_f32 v0, v0, v1, v8
	v_div_fixup_f32 v6, v0, v3, v6
	v_mov_b32_e32 v1, 0
	global_store_dwordx2 v[4:5], v[6:7], off offset:512
.LBB30_267:                             ;   in Loop: Header=BB30_14 Depth=1
	s_or_b64 exec, exec, s[36:37]
	s_movk_i32 s36, 0x47
	v_cmp_gt_i32_e32 vcc, s36, v1
	s_mov_b64 s[36:37], -1
	s_and_saveexec_b64 s[38:39], vcc
; %bb.268:                              ;   in Loop: Header=BB30_14 Depth=1
	v_cmp_eq_u32_e32 vcc, 0, v1
	s_orn2_b64 s[36:37], vcc, exec
; %bb.269:                              ;   in Loop: Header=BB30_14 Depth=1
	s_or_b64 exec, exec, s[38:39]
	s_and_b64 exec, exec, s[36:37]
	s_cbranch_execz .LBB30_12
; %bb.270:                              ;   in Loop: Header=BB30_14 Depth=1
	v_accvgpr_read_b32 v0, a13
	v_add_u32_e32 v2, v0, v194
	v_cmp_gt_i32_e32 vcc, s76, v2
	v_mov_b32_e32 v1, 0x47
	s_and_saveexec_b64 s[36:37], vcc
	s_cbranch_execz .LBB30_272
; %bb.271:                              ;   in Loop: Header=BB30_14 Depth=1
	v_readlane_b32 s38, v255, 40
	v_accvgpr_read_b32 v0, a30
	s_nop 0
	v_mul_lo_u32 v4, s38, v2
	ds_read2_b32 v[2:3], v0 offset0:128 offset1:129
	ds_read2st64_b32 v[6:7], v0 offset0:35 offset1:68
	ds_read_b32 v8, v0 offset:25856
	v_accvgpr_read_b32 v0, a44
	ds_read2st64_b32 v[10:11], v0 offset1:1
	ds_read2st64_b32 v[12:13], v0 offset0:33 offset1:34
	ds_read2st64_b32 v[14:15], v0 offset0:66 offset1:67
	;; [unrolled: 1-line block ×3, first 2 shown]
	v_add_u32_e32 v18, v44, v4
	s_waitcnt lgkmcnt(3)
	v_cvt_f32_f16_sdwa v21, v10 dst_sel:DWORD dst_unused:UNUSED_PAD src0_sel:WORD_1
	v_cvt_f32_f16_e32 v20, v10
	s_waitcnt lgkmcnt(2)
	v_cvt_f32_f16_sdwa v23, v12 dst_sel:DWORD dst_unused:UNUSED_PAD src0_sel:WORD_1
	v_cvt_f32_f16_e32 v22, v12
	v_mov_b32_e32 v10, v7
	v_pk_fma_f32 v[20:21], v[2:3], v[20:21], 0 op_sel_hi:[0,1,0]
	v_ashrrev_i32_e32 v19, 31, v18
	v_pk_fma_f32 v[20:21], v[6:7], v[22:23], v[20:21] op_sel_hi:[0,1,1]
	s_waitcnt lgkmcnt(1)
	v_cvt_f32_f16_sdwa v23, v14 dst_sel:DWORD dst_unused:UNUSED_PAD src0_sel:WORD_1
	v_cvt_f32_f16_e32 v22, v14
	v_lshl_add_u64 v[18:19], v[18:19], 3, v[120:121]
	v_cvt_f32_f16_e32 v12, v15
	v_pk_fma_f32 v[20:21], v[10:11], v[22:23], v[20:21] op_sel_hi:[0,1,1]
	s_waitcnt lgkmcnt(0)
	v_cvt_f32_f16_sdwa v23, v16 dst_sel:DWORD dst_unused:UNUSED_PAD src0_sel:WORD_1
	v_cvt_f32_f16_e32 v22, v16
	v_pk_fma_f32 v[20:21], v[8:9], v[22:23], v[20:21] op_sel_hi:[0,1,1]
	v_div_scale_f32 v0, s[38:39], v3, v3, v21
	v_rcp_f32_e32 v1, v0
	s_nop 0
	v_fma_f32 v5, -v0, v1, 1.0
	v_fmac_f32_e32 v1, v5, v1
	v_div_scale_f32 v5, vcc, v21, v3, v21
	v_mul_f32_e32 v7, v5, v1
	v_fma_f32 v9, -v0, v7, v5
	v_fmac_f32_e32 v7, v9, v1
	v_fma_f32 v0, -v0, v7, v5
	v_div_fmas_f32 v0, v0, v1, v7
	v_div_fixup_f32 v21, v0, v3, v21
	v_div_scale_f32 v0, s[38:39], v3, v3, v20
	v_rcp_f32_e32 v1, v0
	s_nop 0
	v_fma_f32 v5, -v0, v1, 1.0
	v_fmac_f32_e32 v1, v5, v1
	v_div_scale_f32 v5, vcc, v20, v3, v20
	v_mul_f32_e32 v7, v5, v1
	v_fma_f32 v9, -v0, v7, v5
	v_fmac_f32_e32 v7, v9, v1
	v_fma_f32 v0, -v0, v7, v5
	v_div_fmas_f32 v0, v0, v1, v7
	v_div_fixup_f32 v20, v0, v3, v20
	global_store_dwordx2 v[18:19], v[20:21], off
	v_cvt_f32_f16_sdwa v19, v11 dst_sel:DWORD dst_unused:UNUSED_PAD src0_sel:WORD_1
	v_cvt_f32_f16_e32 v18, v11
	v_cvt_f32_f16_sdwa v21, v13 dst_sel:DWORD dst_unused:UNUSED_PAD src0_sel:WORD_1
	v_cvt_f32_f16_e32 v20, v13
	v_cvt_f32_f16_sdwa v13, v15 dst_sel:DWORD dst_unused:UNUSED_PAD src0_sel:WORD_1
	v_pk_fma_f32 v[18:19], v[2:3], v[18:19], 0 op_sel_hi:[0,1,0]
	v_ashrrev_i32_e32 v5, 31, v4
	v_pk_fma_f32 v[6:7], v[6:7], v[20:21], v[18:19] op_sel_hi:[0,1,1]
	v_pk_fma_f32 v[6:7], v[10:11], v[12:13], v[6:7] op_sel_hi:[0,1,1]
	v_cvt_f32_f16_sdwa v11, v17 dst_sel:DWORD dst_unused:UNUSED_PAD src0_sel:WORD_1
	v_cvt_f32_f16_e32 v10, v17
	v_lshl_add_u64 v[4:5], v[44:45], 0, v[4:5]
	v_lshl_add_u64 v[4:5], v[4:5], 3, v[120:121]
	v_pk_fma_f32 v[6:7], v[8:9], v[10:11], v[6:7] op_sel_hi:[0,1,1]
	v_div_scale_f32 v0, s[38:39], v3, v3, v7
	v_rcp_f32_e32 v1, v0
	s_nop 0
	v_fma_f32 v2, -v0, v1, 1.0
	v_fmac_f32_e32 v1, v2, v1
	v_div_scale_f32 v2, vcc, v7, v3, v7
	v_mul_f32_e32 v8, v2, v1
	v_fma_f32 v9, -v0, v8, v2
	v_fmac_f32_e32 v8, v9, v1
	v_fma_f32 v0, -v0, v8, v2
	v_div_fmas_f32 v0, v0, v1, v8
	v_div_fixup_f32 v7, v0, v3, v7
	v_div_scale_f32 v0, s[38:39], v3, v3, v6
	v_rcp_f32_e32 v1, v0
	s_nop 0
	v_fma_f32 v2, -v0, v1, 1.0
	v_fmac_f32_e32 v1, v2, v1
	v_div_scale_f32 v2, vcc, v6, v3, v6
	v_mul_f32_e32 v8, v2, v1
	v_fma_f32 v9, -v0, v8, v2
	v_fmac_f32_e32 v8, v9, v1
	v_fma_f32 v0, -v0, v8, v2
	v_div_fmas_f32 v0, v0, v1, v8
	v_div_fixup_f32 v6, v0, v3, v6
	v_mov_b32_e32 v1, 0
	global_store_dwordx2 v[4:5], v[6:7], off offset:512
.LBB30_272:                             ;   in Loop: Header=BB30_14 Depth=1
	s_or_b64 exec, exec, s[36:37]
	s_movk_i32 s36, 0x47
	v_cmp_gt_i32_e32 vcc, s36, v1
	s_mov_b64 s[36:37], -1
	s_and_saveexec_b64 s[38:39], vcc
; %bb.273:                              ;   in Loop: Header=BB30_14 Depth=1
	v_cmp_eq_u32_e32 vcc, 0, v1
	s_orn2_b64 s[36:37], vcc, exec
; %bb.274:                              ;   in Loop: Header=BB30_14 Depth=1
	s_or_b64 exec, exec, s[38:39]
	s_and_b64 exec, exec, s[36:37]
	s_cbranch_execz .LBB30_12
; %bb.275:                              ;   in Loop: Header=BB30_14 Depth=1
	v_accvgpr_read_b32 v0, a14
	v_add_u32_e32 v2, v0, v194
	v_cmp_gt_i32_e32 vcc, s76, v2
	v_mov_b32_e32 v1, 0x47
	s_and_saveexec_b64 s[36:37], vcc
	s_cbranch_execz .LBB30_277
; %bb.276:                              ;   in Loop: Header=BB30_14 Depth=1
	v_readlane_b32 s38, v255, 40
	v_accvgpr_read_b32 v0, a31
	s_nop 0
	v_mul_lo_u32 v4, s38, v2
	ds_read2_b32 v[2:3], v0 offset0:128 offset1:129
	ds_read2st64_b32 v[6:7], v0 offset0:35 offset1:68
	ds_read_b32 v8, v0 offset:25856
	v_accvgpr_read_b32 v0, a45
	ds_read2st64_b32 v[10:11], v0 offset1:1
	ds_read2st64_b32 v[12:13], v0 offset0:33 offset1:34
	ds_read2st64_b32 v[14:15], v0 offset0:66 offset1:67
	;; [unrolled: 1-line block ×3, first 2 shown]
	v_add_u32_e32 v18, v44, v4
	s_waitcnt lgkmcnt(3)
	v_cvt_f32_f16_sdwa v21, v10 dst_sel:DWORD dst_unused:UNUSED_PAD src0_sel:WORD_1
	v_cvt_f32_f16_e32 v20, v10
	s_waitcnt lgkmcnt(2)
	v_cvt_f32_f16_sdwa v23, v12 dst_sel:DWORD dst_unused:UNUSED_PAD src0_sel:WORD_1
	v_cvt_f32_f16_e32 v22, v12
	v_mov_b32_e32 v10, v7
	v_pk_fma_f32 v[20:21], v[2:3], v[20:21], 0 op_sel_hi:[0,1,0]
	v_ashrrev_i32_e32 v19, 31, v18
	v_pk_fma_f32 v[20:21], v[6:7], v[22:23], v[20:21] op_sel_hi:[0,1,1]
	s_waitcnt lgkmcnt(1)
	v_cvt_f32_f16_sdwa v23, v14 dst_sel:DWORD dst_unused:UNUSED_PAD src0_sel:WORD_1
	v_cvt_f32_f16_e32 v22, v14
	v_lshl_add_u64 v[18:19], v[18:19], 3, v[120:121]
	v_cvt_f32_f16_e32 v12, v15
	v_pk_fma_f32 v[20:21], v[10:11], v[22:23], v[20:21] op_sel_hi:[0,1,1]
	s_waitcnt lgkmcnt(0)
	v_cvt_f32_f16_sdwa v23, v16 dst_sel:DWORD dst_unused:UNUSED_PAD src0_sel:WORD_1
	v_cvt_f32_f16_e32 v22, v16
	v_pk_fma_f32 v[20:21], v[8:9], v[22:23], v[20:21] op_sel_hi:[0,1,1]
	v_div_scale_f32 v0, s[38:39], v3, v3, v21
	v_rcp_f32_e32 v1, v0
	s_nop 0
	v_fma_f32 v5, -v0, v1, 1.0
	v_fmac_f32_e32 v1, v5, v1
	v_div_scale_f32 v5, vcc, v21, v3, v21
	v_mul_f32_e32 v7, v5, v1
	v_fma_f32 v9, -v0, v7, v5
	v_fmac_f32_e32 v7, v9, v1
	v_fma_f32 v0, -v0, v7, v5
	v_div_fmas_f32 v0, v0, v1, v7
	v_div_fixup_f32 v21, v0, v3, v21
	v_div_scale_f32 v0, s[38:39], v3, v3, v20
	v_rcp_f32_e32 v1, v0
	s_nop 0
	v_fma_f32 v5, -v0, v1, 1.0
	v_fmac_f32_e32 v1, v5, v1
	v_div_scale_f32 v5, vcc, v20, v3, v20
	v_mul_f32_e32 v7, v5, v1
	v_fma_f32 v9, -v0, v7, v5
	v_fmac_f32_e32 v7, v9, v1
	v_fma_f32 v0, -v0, v7, v5
	v_div_fmas_f32 v0, v0, v1, v7
	v_div_fixup_f32 v20, v0, v3, v20
	global_store_dwordx2 v[18:19], v[20:21], off
	v_cvt_f32_f16_sdwa v19, v11 dst_sel:DWORD dst_unused:UNUSED_PAD src0_sel:WORD_1
	v_cvt_f32_f16_e32 v18, v11
	v_cvt_f32_f16_sdwa v21, v13 dst_sel:DWORD dst_unused:UNUSED_PAD src0_sel:WORD_1
	v_cvt_f32_f16_e32 v20, v13
	v_cvt_f32_f16_sdwa v13, v15 dst_sel:DWORD dst_unused:UNUSED_PAD src0_sel:WORD_1
	v_pk_fma_f32 v[18:19], v[2:3], v[18:19], 0 op_sel_hi:[0,1,0]
	v_ashrrev_i32_e32 v5, 31, v4
	v_pk_fma_f32 v[6:7], v[6:7], v[20:21], v[18:19] op_sel_hi:[0,1,1]
	v_pk_fma_f32 v[6:7], v[10:11], v[12:13], v[6:7] op_sel_hi:[0,1,1]
	v_cvt_f32_f16_sdwa v11, v17 dst_sel:DWORD dst_unused:UNUSED_PAD src0_sel:WORD_1
	v_cvt_f32_f16_e32 v10, v17
	v_lshl_add_u64 v[4:5], v[44:45], 0, v[4:5]
	v_lshl_add_u64 v[4:5], v[4:5], 3, v[120:121]
	v_pk_fma_f32 v[6:7], v[8:9], v[10:11], v[6:7] op_sel_hi:[0,1,1]
	v_div_scale_f32 v0, s[38:39], v3, v3, v7
	v_rcp_f32_e32 v1, v0
	s_nop 0
	v_fma_f32 v2, -v0, v1, 1.0
	v_fmac_f32_e32 v1, v2, v1
	v_div_scale_f32 v2, vcc, v7, v3, v7
	v_mul_f32_e32 v8, v2, v1
	v_fma_f32 v9, -v0, v8, v2
	v_fmac_f32_e32 v8, v9, v1
	v_fma_f32 v0, -v0, v8, v2
	v_div_fmas_f32 v0, v0, v1, v8
	v_div_fixup_f32 v7, v0, v3, v7
	v_div_scale_f32 v0, s[38:39], v3, v3, v6
	v_rcp_f32_e32 v1, v0
	s_nop 0
	v_fma_f32 v2, -v0, v1, 1.0
	v_fmac_f32_e32 v1, v2, v1
	v_div_scale_f32 v2, vcc, v6, v3, v6
	v_mul_f32_e32 v8, v2, v1
	v_fma_f32 v9, -v0, v8, v2
	v_fmac_f32_e32 v8, v9, v1
	v_fma_f32 v0, -v0, v8, v2
	v_div_fmas_f32 v0, v0, v1, v8
	v_div_fixup_f32 v6, v0, v3, v6
	v_mov_b32_e32 v1, 0
	global_store_dwordx2 v[4:5], v[6:7], off offset:512
.LBB30_277:                             ;   in Loop: Header=BB30_14 Depth=1
	s_or_b64 exec, exec, s[36:37]
	s_movk_i32 s36, 0x47
	v_cmp_gt_i32_e32 vcc, s36, v1
	s_mov_b64 s[36:37], -1
	s_and_saveexec_b64 s[38:39], vcc
; %bb.278:                              ;   in Loop: Header=BB30_14 Depth=1
	v_cmp_eq_u32_e32 vcc, 0, v1
	s_orn2_b64 s[36:37], vcc, exec
; %bb.279:                              ;   in Loop: Header=BB30_14 Depth=1
	s_or_b64 exec, exec, s[38:39]
	s_and_b64 exec, exec, s[36:37]
	s_cbranch_execz .LBB30_12
; %bb.280:                              ;   in Loop: Header=BB30_14 Depth=1
	v_accvgpr_read_b32 v0, a15
	v_add_u32_e32 v2, v0, v194
	v_cmp_gt_i32_e32 vcc, s76, v2
	v_mov_b32_e32 v1, 0x47
	s_and_saveexec_b64 s[36:37], vcc
	s_cbranch_execz .LBB30_282
; %bb.281:                              ;   in Loop: Header=BB30_14 Depth=1
	v_readlane_b32 s38, v255, 40
	v_accvgpr_read_b32 v0, a32
	s_nop 0
	v_mul_lo_u32 v4, s38, v2
	ds_read2_b32 v[2:3], v0 offset0:128 offset1:129
	ds_read2st64_b32 v[6:7], v0 offset0:35 offset1:68
	ds_read_b32 v8, v0 offset:25856
	v_accvgpr_read_b32 v0, a46
	ds_read2st64_b32 v[10:11], v0 offset1:1
	ds_read2st64_b32 v[12:13], v0 offset0:33 offset1:34
	ds_read2st64_b32 v[14:15], v0 offset0:66 offset1:67
	;; [unrolled: 1-line block ×3, first 2 shown]
	v_add_u32_e32 v18, v44, v4
	s_waitcnt lgkmcnt(3)
	v_cvt_f32_f16_sdwa v21, v10 dst_sel:DWORD dst_unused:UNUSED_PAD src0_sel:WORD_1
	v_cvt_f32_f16_e32 v20, v10
	s_waitcnt lgkmcnt(2)
	v_cvt_f32_f16_sdwa v23, v12 dst_sel:DWORD dst_unused:UNUSED_PAD src0_sel:WORD_1
	v_cvt_f32_f16_e32 v22, v12
	v_mov_b32_e32 v10, v7
	v_pk_fma_f32 v[20:21], v[2:3], v[20:21], 0 op_sel_hi:[0,1,0]
	v_ashrrev_i32_e32 v19, 31, v18
	v_pk_fma_f32 v[20:21], v[6:7], v[22:23], v[20:21] op_sel_hi:[0,1,1]
	s_waitcnt lgkmcnt(1)
	v_cvt_f32_f16_sdwa v23, v14 dst_sel:DWORD dst_unused:UNUSED_PAD src0_sel:WORD_1
	v_cvt_f32_f16_e32 v22, v14
	v_lshl_add_u64 v[18:19], v[18:19], 3, v[120:121]
	v_cvt_f32_f16_e32 v12, v15
	v_pk_fma_f32 v[20:21], v[10:11], v[22:23], v[20:21] op_sel_hi:[0,1,1]
	s_waitcnt lgkmcnt(0)
	v_cvt_f32_f16_sdwa v23, v16 dst_sel:DWORD dst_unused:UNUSED_PAD src0_sel:WORD_1
	v_cvt_f32_f16_e32 v22, v16
	v_pk_fma_f32 v[20:21], v[8:9], v[22:23], v[20:21] op_sel_hi:[0,1,1]
	v_div_scale_f32 v0, s[38:39], v3, v3, v21
	v_rcp_f32_e32 v1, v0
	s_nop 0
	v_fma_f32 v5, -v0, v1, 1.0
	v_fmac_f32_e32 v1, v5, v1
	v_div_scale_f32 v5, vcc, v21, v3, v21
	v_mul_f32_e32 v7, v5, v1
	v_fma_f32 v9, -v0, v7, v5
	v_fmac_f32_e32 v7, v9, v1
	v_fma_f32 v0, -v0, v7, v5
	v_div_fmas_f32 v0, v0, v1, v7
	v_div_fixup_f32 v21, v0, v3, v21
	v_div_scale_f32 v0, s[38:39], v3, v3, v20
	v_rcp_f32_e32 v1, v0
	s_nop 0
	v_fma_f32 v5, -v0, v1, 1.0
	v_fmac_f32_e32 v1, v5, v1
	v_div_scale_f32 v5, vcc, v20, v3, v20
	v_mul_f32_e32 v7, v5, v1
	v_fma_f32 v9, -v0, v7, v5
	v_fmac_f32_e32 v7, v9, v1
	v_fma_f32 v0, -v0, v7, v5
	v_div_fmas_f32 v0, v0, v1, v7
	v_div_fixup_f32 v20, v0, v3, v20
	global_store_dwordx2 v[18:19], v[20:21], off
	v_cvt_f32_f16_sdwa v19, v11 dst_sel:DWORD dst_unused:UNUSED_PAD src0_sel:WORD_1
	v_cvt_f32_f16_e32 v18, v11
	v_cvt_f32_f16_sdwa v21, v13 dst_sel:DWORD dst_unused:UNUSED_PAD src0_sel:WORD_1
	v_cvt_f32_f16_e32 v20, v13
	v_cvt_f32_f16_sdwa v13, v15 dst_sel:DWORD dst_unused:UNUSED_PAD src0_sel:WORD_1
	v_pk_fma_f32 v[18:19], v[2:3], v[18:19], 0 op_sel_hi:[0,1,0]
	v_ashrrev_i32_e32 v5, 31, v4
	v_pk_fma_f32 v[6:7], v[6:7], v[20:21], v[18:19] op_sel_hi:[0,1,1]
	v_pk_fma_f32 v[6:7], v[10:11], v[12:13], v[6:7] op_sel_hi:[0,1,1]
	v_cvt_f32_f16_sdwa v11, v17 dst_sel:DWORD dst_unused:UNUSED_PAD src0_sel:WORD_1
	v_cvt_f32_f16_e32 v10, v17
	v_lshl_add_u64 v[4:5], v[44:45], 0, v[4:5]
	v_lshl_add_u64 v[4:5], v[4:5], 3, v[120:121]
	v_pk_fma_f32 v[6:7], v[8:9], v[10:11], v[6:7] op_sel_hi:[0,1,1]
	v_div_scale_f32 v0, s[38:39], v3, v3, v7
	v_rcp_f32_e32 v1, v0
	s_nop 0
	v_fma_f32 v2, -v0, v1, 1.0
	v_fmac_f32_e32 v1, v2, v1
	v_div_scale_f32 v2, vcc, v7, v3, v7
	v_mul_f32_e32 v8, v2, v1
	v_fma_f32 v9, -v0, v8, v2
	v_fmac_f32_e32 v8, v9, v1
	v_fma_f32 v0, -v0, v8, v2
	v_div_fmas_f32 v0, v0, v1, v8
	v_div_fixup_f32 v7, v0, v3, v7
	v_div_scale_f32 v0, s[38:39], v3, v3, v6
	v_rcp_f32_e32 v1, v0
	s_nop 0
	v_fma_f32 v2, -v0, v1, 1.0
	v_fmac_f32_e32 v1, v2, v1
	v_div_scale_f32 v2, vcc, v6, v3, v6
	v_mul_f32_e32 v8, v2, v1
	v_fma_f32 v9, -v0, v8, v2
	v_fmac_f32_e32 v8, v9, v1
	v_fma_f32 v0, -v0, v8, v2
	v_div_fmas_f32 v0, v0, v1, v8
	v_div_fixup_f32 v6, v0, v3, v6
	v_mov_b32_e32 v1, 0
	global_store_dwordx2 v[4:5], v[6:7], off offset:512
.LBB30_282:                             ;   in Loop: Header=BB30_14 Depth=1
	s_or_b64 exec, exec, s[36:37]
	s_movk_i32 s36, 0x47
	v_cmp_gt_i32_e32 vcc, s36, v1
	s_mov_b64 s[36:37], -1
	s_and_saveexec_b64 s[38:39], vcc
; %bb.283:                              ;   in Loop: Header=BB30_14 Depth=1
	v_cmp_eq_u32_e32 vcc, 0, v1
	s_orn2_b64 s[36:37], vcc, exec
; %bb.284:                              ;   in Loop: Header=BB30_14 Depth=1
	s_or_b64 exec, exec, s[38:39]
	s_and_b64 exec, exec, s[36:37]
	s_cbranch_execz .LBB30_12
; %bb.285:                              ;   in Loop: Header=BB30_14 Depth=1
	v_accvgpr_read_b32 v0, a16
	v_add_u32_e32 v2, v0, v194
	v_cmp_gt_i32_e32 vcc, s76, v2
	v_mov_b32_e32 v1, 0x47
	s_and_saveexec_b64 s[36:37], vcc
	s_cbranch_execz .LBB30_287
; %bb.286:                              ;   in Loop: Header=BB30_14 Depth=1
	v_readlane_b32 s38, v255, 40
	v_accvgpr_read_b32 v0, a33
	s_nop 0
	v_mul_lo_u32 v4, s38, v2
	ds_read2_b32 v[2:3], v0 offset0:128 offset1:129
	ds_read2st64_b32 v[6:7], v0 offset0:35 offset1:68
	ds_read_b32 v8, v0 offset:25856
	v_accvgpr_read_b32 v0, a47
	ds_read2st64_b32 v[10:11], v0 offset1:1
	ds_read2st64_b32 v[12:13], v0 offset0:33 offset1:34
	ds_read2st64_b32 v[14:15], v0 offset0:66 offset1:67
	;; [unrolled: 1-line block ×3, first 2 shown]
	v_add_u32_e32 v18, v44, v4
	s_waitcnt lgkmcnt(3)
	v_cvt_f32_f16_sdwa v21, v10 dst_sel:DWORD dst_unused:UNUSED_PAD src0_sel:WORD_1
	v_cvt_f32_f16_e32 v20, v10
	s_waitcnt lgkmcnt(2)
	v_cvt_f32_f16_sdwa v23, v12 dst_sel:DWORD dst_unused:UNUSED_PAD src0_sel:WORD_1
	v_cvt_f32_f16_e32 v22, v12
	v_mov_b32_e32 v10, v7
	v_pk_fma_f32 v[20:21], v[2:3], v[20:21], 0 op_sel_hi:[0,1,0]
	v_ashrrev_i32_e32 v19, 31, v18
	v_pk_fma_f32 v[20:21], v[6:7], v[22:23], v[20:21] op_sel_hi:[0,1,1]
	s_waitcnt lgkmcnt(1)
	v_cvt_f32_f16_sdwa v23, v14 dst_sel:DWORD dst_unused:UNUSED_PAD src0_sel:WORD_1
	v_cvt_f32_f16_e32 v22, v14
	v_lshl_add_u64 v[18:19], v[18:19], 3, v[120:121]
	v_cvt_f32_f16_e32 v12, v15
	v_pk_fma_f32 v[20:21], v[10:11], v[22:23], v[20:21] op_sel_hi:[0,1,1]
	s_waitcnt lgkmcnt(0)
	v_cvt_f32_f16_sdwa v23, v16 dst_sel:DWORD dst_unused:UNUSED_PAD src0_sel:WORD_1
	v_cvt_f32_f16_e32 v22, v16
	v_pk_fma_f32 v[20:21], v[8:9], v[22:23], v[20:21] op_sel_hi:[0,1,1]
	v_div_scale_f32 v0, s[38:39], v3, v3, v21
	v_rcp_f32_e32 v1, v0
	s_nop 0
	v_fma_f32 v5, -v0, v1, 1.0
	v_fmac_f32_e32 v1, v5, v1
	v_div_scale_f32 v5, vcc, v21, v3, v21
	v_mul_f32_e32 v7, v5, v1
	v_fma_f32 v9, -v0, v7, v5
	v_fmac_f32_e32 v7, v9, v1
	v_fma_f32 v0, -v0, v7, v5
	v_div_fmas_f32 v0, v0, v1, v7
	v_div_fixup_f32 v21, v0, v3, v21
	v_div_scale_f32 v0, s[38:39], v3, v3, v20
	v_rcp_f32_e32 v1, v0
	s_nop 0
	v_fma_f32 v5, -v0, v1, 1.0
	v_fmac_f32_e32 v1, v5, v1
	v_div_scale_f32 v5, vcc, v20, v3, v20
	v_mul_f32_e32 v7, v5, v1
	v_fma_f32 v9, -v0, v7, v5
	v_fmac_f32_e32 v7, v9, v1
	v_fma_f32 v0, -v0, v7, v5
	v_div_fmas_f32 v0, v0, v1, v7
	v_div_fixup_f32 v20, v0, v3, v20
	global_store_dwordx2 v[18:19], v[20:21], off
	v_cvt_f32_f16_sdwa v19, v11 dst_sel:DWORD dst_unused:UNUSED_PAD src0_sel:WORD_1
	v_cvt_f32_f16_e32 v18, v11
	v_cvt_f32_f16_sdwa v21, v13 dst_sel:DWORD dst_unused:UNUSED_PAD src0_sel:WORD_1
	v_cvt_f32_f16_e32 v20, v13
	v_cvt_f32_f16_sdwa v13, v15 dst_sel:DWORD dst_unused:UNUSED_PAD src0_sel:WORD_1
	v_pk_fma_f32 v[18:19], v[2:3], v[18:19], 0 op_sel_hi:[0,1,0]
	v_ashrrev_i32_e32 v5, 31, v4
	v_pk_fma_f32 v[6:7], v[6:7], v[20:21], v[18:19] op_sel_hi:[0,1,1]
	v_pk_fma_f32 v[6:7], v[10:11], v[12:13], v[6:7] op_sel_hi:[0,1,1]
	v_cvt_f32_f16_sdwa v11, v17 dst_sel:DWORD dst_unused:UNUSED_PAD src0_sel:WORD_1
	v_cvt_f32_f16_e32 v10, v17
	v_lshl_add_u64 v[4:5], v[44:45], 0, v[4:5]
	v_lshl_add_u64 v[4:5], v[4:5], 3, v[120:121]
	v_pk_fma_f32 v[6:7], v[8:9], v[10:11], v[6:7] op_sel_hi:[0,1,1]
	v_div_scale_f32 v0, s[38:39], v3, v3, v7
	v_rcp_f32_e32 v1, v0
	s_nop 0
	v_fma_f32 v2, -v0, v1, 1.0
	v_fmac_f32_e32 v1, v2, v1
	v_div_scale_f32 v2, vcc, v7, v3, v7
	v_mul_f32_e32 v8, v2, v1
	v_fma_f32 v9, -v0, v8, v2
	v_fmac_f32_e32 v8, v9, v1
	v_fma_f32 v0, -v0, v8, v2
	v_div_fmas_f32 v0, v0, v1, v8
	v_div_fixup_f32 v7, v0, v3, v7
	v_div_scale_f32 v0, s[38:39], v3, v3, v6
	v_rcp_f32_e32 v1, v0
	s_nop 0
	v_fma_f32 v2, -v0, v1, 1.0
	v_fmac_f32_e32 v1, v2, v1
	v_div_scale_f32 v2, vcc, v6, v3, v6
	v_mul_f32_e32 v8, v2, v1
	v_fma_f32 v9, -v0, v8, v2
	v_fmac_f32_e32 v8, v9, v1
	v_fma_f32 v0, -v0, v8, v2
	v_div_fmas_f32 v0, v0, v1, v8
	v_div_fixup_f32 v6, v0, v3, v6
	v_mov_b32_e32 v1, 0
	global_store_dwordx2 v[4:5], v[6:7], off offset:512
.LBB30_287:                             ;   in Loop: Header=BB30_14 Depth=1
	s_or_b64 exec, exec, s[36:37]
	s_movk_i32 s36, 0x47
	v_cmp_gt_i32_e32 vcc, s36, v1
	s_mov_b64 s[36:37], -1
	s_and_saveexec_b64 s[38:39], vcc
; %bb.288:                              ;   in Loop: Header=BB30_14 Depth=1
	v_cmp_eq_u32_e32 vcc, 0, v1
	s_orn2_b64 s[36:37], vcc, exec
; %bb.289:                              ;   in Loop: Header=BB30_14 Depth=1
	s_or_b64 exec, exec, s[38:39]
	s_and_b64 exec, exec, s[36:37]
	s_cbranch_execz .LBB30_12
; %bb.290:                              ;   in Loop: Header=BB30_14 Depth=1
	v_accvgpr_read_b32 v0, a17
	v_add_u32_e32 v2, v0, v194
	v_cmp_gt_i32_e32 vcc, s76, v2
	v_mov_b32_e32 v1, 0x47
	s_and_saveexec_b64 s[36:37], vcc
	s_cbranch_execz .LBB30_292
; %bb.291:                              ;   in Loop: Header=BB30_14 Depth=1
	v_readlane_b32 s38, v255, 40
	v_accvgpr_read_b32 v0, a34
	s_nop 0
	v_mul_lo_u32 v4, s38, v2
	ds_read2_b32 v[2:3], v0 offset0:128 offset1:129
	ds_read2st64_b32 v[6:7], v0 offset0:35 offset1:68
	ds_read_b32 v8, v0 offset:25856
	v_accvgpr_read_b32 v0, a48
	ds_read2st64_b32 v[10:11], v0 offset1:1
	ds_read2st64_b32 v[12:13], v0 offset0:33 offset1:34
	ds_read2st64_b32 v[14:15], v0 offset0:66 offset1:67
	;; [unrolled: 1-line block ×3, first 2 shown]
	v_add_u32_e32 v18, v44, v4
	s_waitcnt lgkmcnt(3)
	v_cvt_f32_f16_sdwa v21, v10 dst_sel:DWORD dst_unused:UNUSED_PAD src0_sel:WORD_1
	v_cvt_f32_f16_e32 v20, v10
	s_waitcnt lgkmcnt(2)
	v_cvt_f32_f16_sdwa v23, v12 dst_sel:DWORD dst_unused:UNUSED_PAD src0_sel:WORD_1
	v_cvt_f32_f16_e32 v22, v12
	v_mov_b32_e32 v10, v7
	v_pk_fma_f32 v[20:21], v[2:3], v[20:21], 0 op_sel_hi:[0,1,0]
	v_ashrrev_i32_e32 v19, 31, v18
	v_pk_fma_f32 v[20:21], v[6:7], v[22:23], v[20:21] op_sel_hi:[0,1,1]
	s_waitcnt lgkmcnt(1)
	v_cvt_f32_f16_sdwa v23, v14 dst_sel:DWORD dst_unused:UNUSED_PAD src0_sel:WORD_1
	v_cvt_f32_f16_e32 v22, v14
	v_lshl_add_u64 v[18:19], v[18:19], 3, v[120:121]
	v_cvt_f32_f16_e32 v12, v15
	v_pk_fma_f32 v[20:21], v[10:11], v[22:23], v[20:21] op_sel_hi:[0,1,1]
	s_waitcnt lgkmcnt(0)
	v_cvt_f32_f16_sdwa v23, v16 dst_sel:DWORD dst_unused:UNUSED_PAD src0_sel:WORD_1
	v_cvt_f32_f16_e32 v22, v16
	v_pk_fma_f32 v[20:21], v[8:9], v[22:23], v[20:21] op_sel_hi:[0,1,1]
	v_div_scale_f32 v0, s[38:39], v3, v3, v21
	v_rcp_f32_e32 v1, v0
	s_nop 0
	v_fma_f32 v5, -v0, v1, 1.0
	v_fmac_f32_e32 v1, v5, v1
	v_div_scale_f32 v5, vcc, v21, v3, v21
	v_mul_f32_e32 v7, v5, v1
	v_fma_f32 v9, -v0, v7, v5
	v_fmac_f32_e32 v7, v9, v1
	v_fma_f32 v0, -v0, v7, v5
	v_div_fmas_f32 v0, v0, v1, v7
	v_div_fixup_f32 v21, v0, v3, v21
	v_div_scale_f32 v0, s[38:39], v3, v3, v20
	v_rcp_f32_e32 v1, v0
	s_nop 0
	v_fma_f32 v5, -v0, v1, 1.0
	v_fmac_f32_e32 v1, v5, v1
	v_div_scale_f32 v5, vcc, v20, v3, v20
	v_mul_f32_e32 v7, v5, v1
	v_fma_f32 v9, -v0, v7, v5
	v_fmac_f32_e32 v7, v9, v1
	v_fma_f32 v0, -v0, v7, v5
	v_div_fmas_f32 v0, v0, v1, v7
	v_div_fixup_f32 v20, v0, v3, v20
	global_store_dwordx2 v[18:19], v[20:21], off
	v_cvt_f32_f16_sdwa v19, v11 dst_sel:DWORD dst_unused:UNUSED_PAD src0_sel:WORD_1
	v_cvt_f32_f16_e32 v18, v11
	v_cvt_f32_f16_sdwa v21, v13 dst_sel:DWORD dst_unused:UNUSED_PAD src0_sel:WORD_1
	v_cvt_f32_f16_e32 v20, v13
	v_cvt_f32_f16_sdwa v13, v15 dst_sel:DWORD dst_unused:UNUSED_PAD src0_sel:WORD_1
	v_pk_fma_f32 v[18:19], v[2:3], v[18:19], 0 op_sel_hi:[0,1,0]
	v_ashrrev_i32_e32 v5, 31, v4
	v_pk_fma_f32 v[6:7], v[6:7], v[20:21], v[18:19] op_sel_hi:[0,1,1]
	v_pk_fma_f32 v[6:7], v[10:11], v[12:13], v[6:7] op_sel_hi:[0,1,1]
	v_cvt_f32_f16_sdwa v11, v17 dst_sel:DWORD dst_unused:UNUSED_PAD src0_sel:WORD_1
	v_cvt_f32_f16_e32 v10, v17
	v_lshl_add_u64 v[4:5], v[44:45], 0, v[4:5]
	v_lshl_add_u64 v[4:5], v[4:5], 3, v[120:121]
	v_pk_fma_f32 v[6:7], v[8:9], v[10:11], v[6:7] op_sel_hi:[0,1,1]
	v_div_scale_f32 v0, s[38:39], v3, v3, v7
	v_rcp_f32_e32 v1, v0
	s_nop 0
	v_fma_f32 v2, -v0, v1, 1.0
	v_fmac_f32_e32 v1, v2, v1
	v_div_scale_f32 v2, vcc, v7, v3, v7
	v_mul_f32_e32 v8, v2, v1
	v_fma_f32 v9, -v0, v8, v2
	v_fmac_f32_e32 v8, v9, v1
	v_fma_f32 v0, -v0, v8, v2
	v_div_fmas_f32 v0, v0, v1, v8
	v_div_fixup_f32 v7, v0, v3, v7
	v_div_scale_f32 v0, s[38:39], v3, v3, v6
	v_rcp_f32_e32 v1, v0
	s_nop 0
	v_fma_f32 v2, -v0, v1, 1.0
	v_fmac_f32_e32 v1, v2, v1
	v_div_scale_f32 v2, vcc, v6, v3, v6
	v_mul_f32_e32 v8, v2, v1
	v_fma_f32 v9, -v0, v8, v2
	v_fmac_f32_e32 v8, v9, v1
	v_fma_f32 v0, -v0, v8, v2
	v_div_fmas_f32 v0, v0, v1, v8
	v_div_fixup_f32 v6, v0, v3, v6
	v_mov_b32_e32 v1, 0
	global_store_dwordx2 v[4:5], v[6:7], off offset:512
.LBB30_292:                             ;   in Loop: Header=BB30_14 Depth=1
	s_or_b64 exec, exec, s[36:37]
	s_movk_i32 s36, 0x47
	v_cmp_gt_i32_e32 vcc, s36, v1
	s_mov_b64 s[36:37], -1
	s_and_saveexec_b64 s[38:39], vcc
; %bb.293:                              ;   in Loop: Header=BB30_14 Depth=1
	v_cmp_eq_u32_e32 vcc, 0, v1
	s_orn2_b64 s[36:37], vcc, exec
; %bb.294:                              ;   in Loop: Header=BB30_14 Depth=1
	s_or_b64 exec, exec, s[38:39]
	s_and_b64 exec, exec, s[36:37]
	s_cbranch_execz .LBB30_12
; %bb.295:                              ;   in Loop: Header=BB30_14 Depth=1
	v_accvgpr_read_b32 v0, a18
	v_add_u32_e32 v2, v0, v194
	v_cmp_gt_i32_e32 vcc, s76, v2
	v_mov_b32_e32 v1, 0x47
	s_and_saveexec_b64 s[36:37], vcc
	s_cbranch_execz .LBB30_297
; %bb.296:                              ;   in Loop: Header=BB30_14 Depth=1
	v_readlane_b32 s38, v255, 40
	v_accvgpr_read_b32 v0, a35
	s_nop 0
	v_mul_lo_u32 v4, s38, v2
	ds_read2_b32 v[2:3], v0 offset0:128 offset1:129
	ds_read2st64_b32 v[6:7], v0 offset0:35 offset1:68
	ds_read_b32 v8, v0 offset:25856
	v_accvgpr_read_b32 v0, a49
	ds_read2st64_b32 v[10:11], v0 offset1:1
	ds_read2st64_b32 v[12:13], v0 offset0:33 offset1:34
	ds_read2st64_b32 v[14:15], v0 offset0:66 offset1:67
	;; [unrolled: 1-line block ×3, first 2 shown]
	v_add_u32_e32 v18, v44, v4
	s_waitcnt lgkmcnt(3)
	v_cvt_f32_f16_sdwa v21, v10 dst_sel:DWORD dst_unused:UNUSED_PAD src0_sel:WORD_1
	v_cvt_f32_f16_e32 v20, v10
	s_waitcnt lgkmcnt(2)
	v_cvt_f32_f16_sdwa v23, v12 dst_sel:DWORD dst_unused:UNUSED_PAD src0_sel:WORD_1
	v_cvt_f32_f16_e32 v22, v12
	v_mov_b32_e32 v10, v7
	v_pk_fma_f32 v[20:21], v[2:3], v[20:21], 0 op_sel_hi:[0,1,0]
	v_ashrrev_i32_e32 v19, 31, v18
	v_pk_fma_f32 v[20:21], v[6:7], v[22:23], v[20:21] op_sel_hi:[0,1,1]
	s_waitcnt lgkmcnt(1)
	v_cvt_f32_f16_sdwa v23, v14 dst_sel:DWORD dst_unused:UNUSED_PAD src0_sel:WORD_1
	v_cvt_f32_f16_e32 v22, v14
	v_lshl_add_u64 v[18:19], v[18:19], 3, v[120:121]
	v_cvt_f32_f16_e32 v12, v15
	v_pk_fma_f32 v[20:21], v[10:11], v[22:23], v[20:21] op_sel_hi:[0,1,1]
	s_waitcnt lgkmcnt(0)
	v_cvt_f32_f16_sdwa v23, v16 dst_sel:DWORD dst_unused:UNUSED_PAD src0_sel:WORD_1
	v_cvt_f32_f16_e32 v22, v16
	v_pk_fma_f32 v[20:21], v[8:9], v[22:23], v[20:21] op_sel_hi:[0,1,1]
	v_div_scale_f32 v0, s[38:39], v3, v3, v21
	v_rcp_f32_e32 v1, v0
	s_nop 0
	v_fma_f32 v5, -v0, v1, 1.0
	v_fmac_f32_e32 v1, v5, v1
	v_div_scale_f32 v5, vcc, v21, v3, v21
	v_mul_f32_e32 v7, v5, v1
	v_fma_f32 v9, -v0, v7, v5
	v_fmac_f32_e32 v7, v9, v1
	v_fma_f32 v0, -v0, v7, v5
	v_div_fmas_f32 v0, v0, v1, v7
	v_div_fixup_f32 v21, v0, v3, v21
	v_div_scale_f32 v0, s[38:39], v3, v3, v20
	v_rcp_f32_e32 v1, v0
	s_nop 0
	v_fma_f32 v5, -v0, v1, 1.0
	v_fmac_f32_e32 v1, v5, v1
	v_div_scale_f32 v5, vcc, v20, v3, v20
	v_mul_f32_e32 v7, v5, v1
	v_fma_f32 v9, -v0, v7, v5
	v_fmac_f32_e32 v7, v9, v1
	v_fma_f32 v0, -v0, v7, v5
	v_div_fmas_f32 v0, v0, v1, v7
	v_div_fixup_f32 v20, v0, v3, v20
	global_store_dwordx2 v[18:19], v[20:21], off
	v_cvt_f32_f16_sdwa v19, v11 dst_sel:DWORD dst_unused:UNUSED_PAD src0_sel:WORD_1
	v_cvt_f32_f16_e32 v18, v11
	v_cvt_f32_f16_sdwa v21, v13 dst_sel:DWORD dst_unused:UNUSED_PAD src0_sel:WORD_1
	v_cvt_f32_f16_e32 v20, v13
	v_cvt_f32_f16_sdwa v13, v15 dst_sel:DWORD dst_unused:UNUSED_PAD src0_sel:WORD_1
	v_pk_fma_f32 v[18:19], v[2:3], v[18:19], 0 op_sel_hi:[0,1,0]
	v_ashrrev_i32_e32 v5, 31, v4
	v_pk_fma_f32 v[6:7], v[6:7], v[20:21], v[18:19] op_sel_hi:[0,1,1]
	v_pk_fma_f32 v[6:7], v[10:11], v[12:13], v[6:7] op_sel_hi:[0,1,1]
	v_cvt_f32_f16_sdwa v11, v17 dst_sel:DWORD dst_unused:UNUSED_PAD src0_sel:WORD_1
	v_cvt_f32_f16_e32 v10, v17
	v_lshl_add_u64 v[4:5], v[44:45], 0, v[4:5]
	v_lshl_add_u64 v[4:5], v[4:5], 3, v[120:121]
	v_pk_fma_f32 v[6:7], v[8:9], v[10:11], v[6:7] op_sel_hi:[0,1,1]
	v_div_scale_f32 v0, s[38:39], v3, v3, v7
	v_rcp_f32_e32 v1, v0
	s_nop 0
	v_fma_f32 v2, -v0, v1, 1.0
	v_fmac_f32_e32 v1, v2, v1
	v_div_scale_f32 v2, vcc, v7, v3, v7
	v_mul_f32_e32 v8, v2, v1
	v_fma_f32 v9, -v0, v8, v2
	v_fmac_f32_e32 v8, v9, v1
	v_fma_f32 v0, -v0, v8, v2
	v_div_fmas_f32 v0, v0, v1, v8
	v_div_fixup_f32 v7, v0, v3, v7
	v_div_scale_f32 v0, s[38:39], v3, v3, v6
	v_rcp_f32_e32 v1, v0
	s_nop 0
	v_fma_f32 v2, -v0, v1, 1.0
	v_fmac_f32_e32 v1, v2, v1
	v_div_scale_f32 v2, vcc, v6, v3, v6
	v_mul_f32_e32 v8, v2, v1
	v_fma_f32 v9, -v0, v8, v2
	v_fmac_f32_e32 v8, v9, v1
	v_fma_f32 v0, -v0, v8, v2
	v_div_fmas_f32 v0, v0, v1, v8
	v_div_fixup_f32 v6, v0, v3, v6
	v_mov_b32_e32 v1, 0
	global_store_dwordx2 v[4:5], v[6:7], off offset:512
.LBB30_297:                             ;   in Loop: Header=BB30_14 Depth=1
	s_or_b64 exec, exec, s[36:37]
	s_movk_i32 s36, 0x47
	v_cmp_gt_i32_e32 vcc, s36, v1
	s_mov_b64 s[36:37], -1
	s_and_saveexec_b64 s[38:39], vcc
; %bb.298:                              ;   in Loop: Header=BB30_14 Depth=1
	v_cmp_eq_u32_e32 vcc, 0, v1
	s_orn2_b64 s[36:37], vcc, exec
; %bb.299:                              ;   in Loop: Header=BB30_14 Depth=1
	s_or_b64 exec, exec, s[38:39]
	s_and_b64 exec, exec, s[36:37]
	s_cbranch_execz .LBB30_12
; %bb.300:                              ;   in Loop: Header=BB30_14 Depth=1
	v_accvgpr_read_b32 v0, a19
	v_add_u32_e32 v2, v0, v194
	v_cmp_gt_i32_e32 vcc, s76, v2
	v_mov_b32_e32 v1, 0x47
	s_and_saveexec_b64 s[36:37], vcc
	s_cbranch_execz .LBB30_302
; %bb.301:                              ;   in Loop: Header=BB30_14 Depth=1
	v_readlane_b32 s38, v255, 40
	v_accvgpr_read_b32 v0, a36
	s_nop 0
	v_mul_lo_u32 v4, s38, v2
	ds_read2_b32 v[2:3], v0 offset0:128 offset1:129
	ds_read2st64_b32 v[6:7], v0 offset0:35 offset1:68
	ds_read_b32 v8, v0 offset:25856
	v_accvgpr_read_b32 v0, a50
	ds_read2st64_b32 v[10:11], v0 offset1:1
	ds_read2st64_b32 v[12:13], v0 offset0:33 offset1:34
	ds_read2st64_b32 v[14:15], v0 offset0:66 offset1:67
	;; [unrolled: 1-line block ×3, first 2 shown]
	v_add_u32_e32 v18, v44, v4
	s_waitcnt lgkmcnt(3)
	v_cvt_f32_f16_sdwa v21, v10 dst_sel:DWORD dst_unused:UNUSED_PAD src0_sel:WORD_1
	v_cvt_f32_f16_e32 v20, v10
	s_waitcnt lgkmcnt(2)
	v_cvt_f32_f16_sdwa v23, v12 dst_sel:DWORD dst_unused:UNUSED_PAD src0_sel:WORD_1
	v_cvt_f32_f16_e32 v22, v12
	v_mov_b32_e32 v10, v7
	v_pk_fma_f32 v[20:21], v[2:3], v[20:21], 0 op_sel_hi:[0,1,0]
	v_ashrrev_i32_e32 v19, 31, v18
	v_pk_fma_f32 v[20:21], v[6:7], v[22:23], v[20:21] op_sel_hi:[0,1,1]
	s_waitcnt lgkmcnt(1)
	v_cvt_f32_f16_sdwa v23, v14 dst_sel:DWORD dst_unused:UNUSED_PAD src0_sel:WORD_1
	v_cvt_f32_f16_e32 v22, v14
	v_lshl_add_u64 v[18:19], v[18:19], 3, v[120:121]
	v_cvt_f32_f16_e32 v12, v15
	v_pk_fma_f32 v[20:21], v[10:11], v[22:23], v[20:21] op_sel_hi:[0,1,1]
	s_waitcnt lgkmcnt(0)
	v_cvt_f32_f16_sdwa v23, v16 dst_sel:DWORD dst_unused:UNUSED_PAD src0_sel:WORD_1
	v_cvt_f32_f16_e32 v22, v16
	v_pk_fma_f32 v[20:21], v[8:9], v[22:23], v[20:21] op_sel_hi:[0,1,1]
	v_div_scale_f32 v0, s[38:39], v3, v3, v21
	v_rcp_f32_e32 v1, v0
	s_nop 0
	v_fma_f32 v5, -v0, v1, 1.0
	v_fmac_f32_e32 v1, v5, v1
	v_div_scale_f32 v5, vcc, v21, v3, v21
	v_mul_f32_e32 v7, v5, v1
	v_fma_f32 v9, -v0, v7, v5
	v_fmac_f32_e32 v7, v9, v1
	v_fma_f32 v0, -v0, v7, v5
	v_div_fmas_f32 v0, v0, v1, v7
	v_div_fixup_f32 v21, v0, v3, v21
	v_div_scale_f32 v0, s[38:39], v3, v3, v20
	v_rcp_f32_e32 v1, v0
	s_nop 0
	v_fma_f32 v5, -v0, v1, 1.0
	v_fmac_f32_e32 v1, v5, v1
	v_div_scale_f32 v5, vcc, v20, v3, v20
	v_mul_f32_e32 v7, v5, v1
	v_fma_f32 v9, -v0, v7, v5
	v_fmac_f32_e32 v7, v9, v1
	v_fma_f32 v0, -v0, v7, v5
	v_div_fmas_f32 v0, v0, v1, v7
	v_div_fixup_f32 v20, v0, v3, v20
	global_store_dwordx2 v[18:19], v[20:21], off
	v_cvt_f32_f16_sdwa v19, v11 dst_sel:DWORD dst_unused:UNUSED_PAD src0_sel:WORD_1
	v_cvt_f32_f16_e32 v18, v11
	v_cvt_f32_f16_sdwa v21, v13 dst_sel:DWORD dst_unused:UNUSED_PAD src0_sel:WORD_1
	v_cvt_f32_f16_e32 v20, v13
	v_cvt_f32_f16_sdwa v13, v15 dst_sel:DWORD dst_unused:UNUSED_PAD src0_sel:WORD_1
	v_pk_fma_f32 v[18:19], v[2:3], v[18:19], 0 op_sel_hi:[0,1,0]
	v_ashrrev_i32_e32 v5, 31, v4
	v_pk_fma_f32 v[6:7], v[6:7], v[20:21], v[18:19] op_sel_hi:[0,1,1]
	v_pk_fma_f32 v[6:7], v[10:11], v[12:13], v[6:7] op_sel_hi:[0,1,1]
	v_cvt_f32_f16_sdwa v11, v17 dst_sel:DWORD dst_unused:UNUSED_PAD src0_sel:WORD_1
	v_cvt_f32_f16_e32 v10, v17
	v_lshl_add_u64 v[4:5], v[44:45], 0, v[4:5]
	v_lshl_add_u64 v[4:5], v[4:5], 3, v[120:121]
	v_pk_fma_f32 v[6:7], v[8:9], v[10:11], v[6:7] op_sel_hi:[0,1,1]
	v_div_scale_f32 v0, s[38:39], v3, v3, v7
	v_rcp_f32_e32 v1, v0
	s_nop 0
	v_fma_f32 v2, -v0, v1, 1.0
	v_fmac_f32_e32 v1, v2, v1
	v_div_scale_f32 v2, vcc, v7, v3, v7
	v_mul_f32_e32 v8, v2, v1
	v_fma_f32 v9, -v0, v8, v2
	v_fmac_f32_e32 v8, v9, v1
	v_fma_f32 v0, -v0, v8, v2
	v_div_fmas_f32 v0, v0, v1, v8
	v_div_fixup_f32 v7, v0, v3, v7
	v_div_scale_f32 v0, s[38:39], v3, v3, v6
	v_rcp_f32_e32 v1, v0
	s_nop 0
	v_fma_f32 v2, -v0, v1, 1.0
	v_fmac_f32_e32 v1, v2, v1
	v_div_scale_f32 v2, vcc, v6, v3, v6
	v_mul_f32_e32 v8, v2, v1
	v_fma_f32 v9, -v0, v8, v2
	v_fmac_f32_e32 v8, v9, v1
	v_fma_f32 v0, -v0, v8, v2
	v_div_fmas_f32 v0, v0, v1, v8
	v_div_fixup_f32 v6, v0, v3, v6
	v_mov_b32_e32 v1, 0
	global_store_dwordx2 v[4:5], v[6:7], off offset:512
.LBB30_302:                             ;   in Loop: Header=BB30_14 Depth=1
	s_or_b64 exec, exec, s[36:37]
	s_movk_i32 s36, 0x47
	v_cmp_gt_i32_e32 vcc, s36, v1
	s_mov_b64 s[36:37], -1
	s_and_saveexec_b64 s[38:39], vcc
; %bb.303:                              ;   in Loop: Header=BB30_14 Depth=1
	v_cmp_eq_u32_e32 vcc, 0, v1
	s_orn2_b64 s[36:37], vcc, exec
; %bb.304:                              ;   in Loop: Header=BB30_14 Depth=1
	s_or_b64 exec, exec, s[38:39]
	s_and_b64 exec, exec, s[36:37]
	s_cbranch_execz .LBB30_12
; %bb.305:                              ;   in Loop: Header=BB30_14 Depth=1
	v_accvgpr_read_b32 v0, a20
	v_add_u32_e32 v2, v0, v194
	v_cmp_gt_i32_e32 vcc, s76, v2
	v_mov_b32_e32 v1, 0x47
	s_and_saveexec_b64 s[36:37], vcc
	s_cbranch_execz .LBB30_307
; %bb.306:                              ;   in Loop: Header=BB30_14 Depth=1
	v_readlane_b32 s38, v255, 40
	v_accvgpr_read_b32 v0, a37
	s_nop 0
	v_mul_lo_u32 v4, s38, v2
	ds_read2_b32 v[2:3], v0 offset0:128 offset1:129
	ds_read2st64_b32 v[6:7], v0 offset0:35 offset1:68
	ds_read_b32 v8, v0 offset:25856
	v_accvgpr_read_b32 v0, a51
	ds_read2st64_b32 v[10:11], v0 offset1:1
	ds_read2st64_b32 v[12:13], v0 offset0:33 offset1:34
	ds_read2st64_b32 v[14:15], v0 offset0:66 offset1:67
	;; [unrolled: 1-line block ×3, first 2 shown]
	v_add_u32_e32 v18, v44, v4
	s_waitcnt lgkmcnt(3)
	v_cvt_f32_f16_sdwa v21, v10 dst_sel:DWORD dst_unused:UNUSED_PAD src0_sel:WORD_1
	v_cvt_f32_f16_e32 v20, v10
	s_waitcnt lgkmcnt(2)
	v_cvt_f32_f16_sdwa v23, v12 dst_sel:DWORD dst_unused:UNUSED_PAD src0_sel:WORD_1
	v_cvt_f32_f16_e32 v22, v12
	v_mov_b32_e32 v10, v7
	v_pk_fma_f32 v[20:21], v[2:3], v[20:21], 0 op_sel_hi:[0,1,0]
	v_ashrrev_i32_e32 v19, 31, v18
	v_pk_fma_f32 v[20:21], v[6:7], v[22:23], v[20:21] op_sel_hi:[0,1,1]
	s_waitcnt lgkmcnt(1)
	v_cvt_f32_f16_sdwa v23, v14 dst_sel:DWORD dst_unused:UNUSED_PAD src0_sel:WORD_1
	v_cvt_f32_f16_e32 v22, v14
	v_lshl_add_u64 v[18:19], v[18:19], 3, v[120:121]
	v_cvt_f32_f16_e32 v12, v15
	v_pk_fma_f32 v[20:21], v[10:11], v[22:23], v[20:21] op_sel_hi:[0,1,1]
	s_waitcnt lgkmcnt(0)
	v_cvt_f32_f16_sdwa v23, v16 dst_sel:DWORD dst_unused:UNUSED_PAD src0_sel:WORD_1
	v_cvt_f32_f16_e32 v22, v16
	v_pk_fma_f32 v[20:21], v[8:9], v[22:23], v[20:21] op_sel_hi:[0,1,1]
	v_div_scale_f32 v0, s[38:39], v3, v3, v21
	v_rcp_f32_e32 v1, v0
	s_nop 0
	v_fma_f32 v5, -v0, v1, 1.0
	v_fmac_f32_e32 v1, v5, v1
	v_div_scale_f32 v5, vcc, v21, v3, v21
	v_mul_f32_e32 v7, v5, v1
	v_fma_f32 v9, -v0, v7, v5
	v_fmac_f32_e32 v7, v9, v1
	v_fma_f32 v0, -v0, v7, v5
	v_div_fmas_f32 v0, v0, v1, v7
	v_div_fixup_f32 v21, v0, v3, v21
	v_div_scale_f32 v0, s[38:39], v3, v3, v20
	v_rcp_f32_e32 v1, v0
	s_nop 0
	v_fma_f32 v5, -v0, v1, 1.0
	v_fmac_f32_e32 v1, v5, v1
	v_div_scale_f32 v5, vcc, v20, v3, v20
	v_mul_f32_e32 v7, v5, v1
	v_fma_f32 v9, -v0, v7, v5
	v_fmac_f32_e32 v7, v9, v1
	v_fma_f32 v0, -v0, v7, v5
	v_div_fmas_f32 v0, v0, v1, v7
	v_div_fixup_f32 v20, v0, v3, v20
	global_store_dwordx2 v[18:19], v[20:21], off
	v_cvt_f32_f16_sdwa v19, v11 dst_sel:DWORD dst_unused:UNUSED_PAD src0_sel:WORD_1
	v_cvt_f32_f16_e32 v18, v11
	v_cvt_f32_f16_sdwa v21, v13 dst_sel:DWORD dst_unused:UNUSED_PAD src0_sel:WORD_1
	v_cvt_f32_f16_e32 v20, v13
	v_cvt_f32_f16_sdwa v13, v15 dst_sel:DWORD dst_unused:UNUSED_PAD src0_sel:WORD_1
	v_pk_fma_f32 v[18:19], v[2:3], v[18:19], 0 op_sel_hi:[0,1,0]
	v_ashrrev_i32_e32 v5, 31, v4
	v_pk_fma_f32 v[6:7], v[6:7], v[20:21], v[18:19] op_sel_hi:[0,1,1]
	v_pk_fma_f32 v[6:7], v[10:11], v[12:13], v[6:7] op_sel_hi:[0,1,1]
	v_cvt_f32_f16_sdwa v11, v17 dst_sel:DWORD dst_unused:UNUSED_PAD src0_sel:WORD_1
	v_cvt_f32_f16_e32 v10, v17
	v_lshl_add_u64 v[4:5], v[44:45], 0, v[4:5]
	v_lshl_add_u64 v[4:5], v[4:5], 3, v[120:121]
	v_pk_fma_f32 v[6:7], v[8:9], v[10:11], v[6:7] op_sel_hi:[0,1,1]
	v_div_scale_f32 v0, s[38:39], v3, v3, v7
	v_rcp_f32_e32 v1, v0
	s_nop 0
	v_fma_f32 v2, -v0, v1, 1.0
	v_fmac_f32_e32 v1, v2, v1
	v_div_scale_f32 v2, vcc, v7, v3, v7
	v_mul_f32_e32 v8, v2, v1
	v_fma_f32 v9, -v0, v8, v2
	v_fmac_f32_e32 v8, v9, v1
	v_fma_f32 v0, -v0, v8, v2
	v_div_fmas_f32 v0, v0, v1, v8
	v_div_fixup_f32 v7, v0, v3, v7
	v_div_scale_f32 v0, s[38:39], v3, v3, v6
	v_rcp_f32_e32 v1, v0
	s_nop 0
	v_fma_f32 v2, -v0, v1, 1.0
	v_fmac_f32_e32 v1, v2, v1
	v_div_scale_f32 v2, vcc, v6, v3, v6
	v_mul_f32_e32 v8, v2, v1
	v_fma_f32 v9, -v0, v8, v2
	v_fmac_f32_e32 v8, v9, v1
	v_fma_f32 v0, -v0, v8, v2
	v_div_fmas_f32 v0, v0, v1, v8
	v_div_fixup_f32 v6, v0, v3, v6
	v_mov_b32_e32 v1, 0
	global_store_dwordx2 v[4:5], v[6:7], off offset:512
.LBB30_307:                             ;   in Loop: Header=BB30_14 Depth=1
	s_or_b64 exec, exec, s[36:37]
	s_movk_i32 s36, 0x47
	v_cmp_gt_i32_e32 vcc, s36, v1
	s_mov_b64 s[36:37], -1
	s_and_saveexec_b64 s[38:39], vcc
; %bb.308:                              ;   in Loop: Header=BB30_14 Depth=1
	v_cmp_eq_u32_e32 vcc, 0, v1
	s_orn2_b64 s[36:37], vcc, exec
; %bb.309:                              ;   in Loop: Header=BB30_14 Depth=1
	s_or_b64 exec, exec, s[38:39]
	s_and_b64 exec, exec, s[36:37]
	s_cbranch_execz .LBB30_12
; %bb.310:                              ;   in Loop: Header=BB30_14 Depth=1
	v_accvgpr_read_b32 v0, a21
	v_add_u32_e32 v2, v0, v194
	v_cmp_gt_i32_e32 vcc, s76, v2
	v_mov_b32_e32 v1, 0x47
	s_and_saveexec_b64 s[36:37], vcc
	s_cbranch_execz .LBB30_312
; %bb.311:                              ;   in Loop: Header=BB30_14 Depth=1
	v_readlane_b32 s38, v255, 40
	v_accvgpr_read_b32 v0, a38
	s_nop 0
	v_mul_lo_u32 v4, s38, v2
	ds_read2_b32 v[2:3], v0 offset0:128 offset1:129
	ds_read2st64_b32 v[6:7], v0 offset0:35 offset1:68
	ds_read_b32 v8, v0 offset:25856
	v_accvgpr_read_b32 v0, a52
	ds_read2st64_b32 v[10:11], v0 offset1:1
	ds_read2st64_b32 v[12:13], v0 offset0:33 offset1:34
	ds_read2st64_b32 v[14:15], v0 offset0:66 offset1:67
	;; [unrolled: 1-line block ×3, first 2 shown]
	v_add_u32_e32 v18, v44, v4
	s_waitcnt lgkmcnt(3)
	v_cvt_f32_f16_sdwa v21, v10 dst_sel:DWORD dst_unused:UNUSED_PAD src0_sel:WORD_1
	v_cvt_f32_f16_e32 v20, v10
	s_waitcnt lgkmcnt(2)
	v_cvt_f32_f16_sdwa v23, v12 dst_sel:DWORD dst_unused:UNUSED_PAD src0_sel:WORD_1
	v_cvt_f32_f16_e32 v22, v12
	v_mov_b32_e32 v10, v7
	v_pk_fma_f32 v[20:21], v[2:3], v[20:21], 0 op_sel_hi:[0,1,0]
	v_ashrrev_i32_e32 v19, 31, v18
	v_pk_fma_f32 v[20:21], v[6:7], v[22:23], v[20:21] op_sel_hi:[0,1,1]
	s_waitcnt lgkmcnt(1)
	v_cvt_f32_f16_sdwa v23, v14 dst_sel:DWORD dst_unused:UNUSED_PAD src0_sel:WORD_1
	v_cvt_f32_f16_e32 v22, v14
	v_lshl_add_u64 v[18:19], v[18:19], 3, v[120:121]
	v_cvt_f32_f16_e32 v12, v15
	v_pk_fma_f32 v[20:21], v[10:11], v[22:23], v[20:21] op_sel_hi:[0,1,1]
	s_waitcnt lgkmcnt(0)
	v_cvt_f32_f16_sdwa v23, v16 dst_sel:DWORD dst_unused:UNUSED_PAD src0_sel:WORD_1
	v_cvt_f32_f16_e32 v22, v16
	v_pk_fma_f32 v[20:21], v[8:9], v[22:23], v[20:21] op_sel_hi:[0,1,1]
	v_div_scale_f32 v0, s[38:39], v3, v3, v21
	v_rcp_f32_e32 v1, v0
	s_nop 0
	v_fma_f32 v5, -v0, v1, 1.0
	v_fmac_f32_e32 v1, v5, v1
	v_div_scale_f32 v5, vcc, v21, v3, v21
	v_mul_f32_e32 v7, v5, v1
	v_fma_f32 v9, -v0, v7, v5
	v_fmac_f32_e32 v7, v9, v1
	v_fma_f32 v0, -v0, v7, v5
	v_div_fmas_f32 v0, v0, v1, v7
	v_div_fixup_f32 v21, v0, v3, v21
	v_div_scale_f32 v0, s[38:39], v3, v3, v20
	v_rcp_f32_e32 v1, v0
	s_nop 0
	v_fma_f32 v5, -v0, v1, 1.0
	v_fmac_f32_e32 v1, v5, v1
	v_div_scale_f32 v5, vcc, v20, v3, v20
	v_mul_f32_e32 v7, v5, v1
	v_fma_f32 v9, -v0, v7, v5
	v_fmac_f32_e32 v7, v9, v1
	v_fma_f32 v0, -v0, v7, v5
	v_div_fmas_f32 v0, v0, v1, v7
	v_div_fixup_f32 v20, v0, v3, v20
	global_store_dwordx2 v[18:19], v[20:21], off
	v_cvt_f32_f16_sdwa v19, v11 dst_sel:DWORD dst_unused:UNUSED_PAD src0_sel:WORD_1
	v_cvt_f32_f16_e32 v18, v11
	v_cvt_f32_f16_sdwa v21, v13 dst_sel:DWORD dst_unused:UNUSED_PAD src0_sel:WORD_1
	v_cvt_f32_f16_e32 v20, v13
	v_cvt_f32_f16_sdwa v13, v15 dst_sel:DWORD dst_unused:UNUSED_PAD src0_sel:WORD_1
	v_pk_fma_f32 v[18:19], v[2:3], v[18:19], 0 op_sel_hi:[0,1,0]
	v_ashrrev_i32_e32 v5, 31, v4
	v_pk_fma_f32 v[6:7], v[6:7], v[20:21], v[18:19] op_sel_hi:[0,1,1]
	v_pk_fma_f32 v[6:7], v[10:11], v[12:13], v[6:7] op_sel_hi:[0,1,1]
	v_cvt_f32_f16_sdwa v11, v17 dst_sel:DWORD dst_unused:UNUSED_PAD src0_sel:WORD_1
	v_cvt_f32_f16_e32 v10, v17
	v_lshl_add_u64 v[4:5], v[44:45], 0, v[4:5]
	v_lshl_add_u64 v[4:5], v[4:5], 3, v[120:121]
	v_pk_fma_f32 v[6:7], v[8:9], v[10:11], v[6:7] op_sel_hi:[0,1,1]
	v_div_scale_f32 v0, s[38:39], v3, v3, v7
	v_rcp_f32_e32 v1, v0
	s_nop 0
	v_fma_f32 v2, -v0, v1, 1.0
	v_fmac_f32_e32 v1, v2, v1
	v_div_scale_f32 v2, vcc, v7, v3, v7
	v_mul_f32_e32 v8, v2, v1
	v_fma_f32 v9, -v0, v8, v2
	v_fmac_f32_e32 v8, v9, v1
	v_fma_f32 v0, -v0, v8, v2
	v_div_fmas_f32 v0, v0, v1, v8
	v_div_fixup_f32 v7, v0, v3, v7
	v_div_scale_f32 v0, s[38:39], v3, v3, v6
	v_rcp_f32_e32 v1, v0
	s_nop 0
	v_fma_f32 v2, -v0, v1, 1.0
	v_fmac_f32_e32 v1, v2, v1
	v_div_scale_f32 v2, vcc, v6, v3, v6
	v_mul_f32_e32 v8, v2, v1
	v_fma_f32 v9, -v0, v8, v2
	v_fmac_f32_e32 v8, v9, v1
	v_fma_f32 v0, -v0, v8, v2
	v_div_fmas_f32 v0, v0, v1, v8
	v_div_fixup_f32 v6, v0, v3, v6
	v_mov_b32_e32 v1, 0
	global_store_dwordx2 v[4:5], v[6:7], off offset:512
.LBB30_312:                             ;   in Loop: Header=BB30_14 Depth=1
	s_or_b64 exec, exec, s[36:37]
	s_movk_i32 s36, 0x47
	v_cmp_gt_i32_e32 vcc, s36, v1
	s_mov_b64 s[36:37], -1
	s_and_saveexec_b64 s[38:39], vcc
; %bb.313:                              ;   in Loop: Header=BB30_14 Depth=1
	v_cmp_eq_u32_e32 vcc, 0, v1
	s_orn2_b64 s[36:37], vcc, exec
; %bb.314:                              ;   in Loop: Header=BB30_14 Depth=1
	s_or_b64 exec, exec, s[38:39]
	s_and_b64 exec, exec, s[36:37]
	s_cbranch_execz .LBB30_12
; %bb.315:                              ;   in Loop: Header=BB30_14 Depth=1
	v_accvgpr_read_b32 v0, a22
	v_add_u32_e32 v2, v0, v194
	v_cmp_gt_i32_e32 vcc, s76, v2
	v_mov_b32_e32 v1, 0x47
	s_and_saveexec_b64 s[36:37], vcc
	s_cbranch_execz .LBB30_317
; %bb.316:                              ;   in Loop: Header=BB30_14 Depth=1
	v_readlane_b32 s38, v255, 40
	v_accvgpr_read_b32 v0, a39
	s_nop 0
	v_mul_lo_u32 v4, s38, v2
	ds_read2_b32 v[2:3], v0 offset0:128 offset1:129
	ds_read2st64_b32 v[6:7], v0 offset0:35 offset1:68
	ds_read_b32 v8, v0 offset:25856
	v_accvgpr_read_b32 v0, a53
	ds_read2st64_b32 v[10:11], v0 offset1:1
	ds_read2st64_b32 v[12:13], v0 offset0:33 offset1:34
	ds_read2st64_b32 v[14:15], v0 offset0:66 offset1:67
	;; [unrolled: 1-line block ×3, first 2 shown]
	v_add_u32_e32 v18, v44, v4
	s_waitcnt lgkmcnt(3)
	v_cvt_f32_f16_sdwa v21, v10 dst_sel:DWORD dst_unused:UNUSED_PAD src0_sel:WORD_1
	v_cvt_f32_f16_e32 v20, v10
	s_waitcnt lgkmcnt(2)
	v_cvt_f32_f16_sdwa v23, v12 dst_sel:DWORD dst_unused:UNUSED_PAD src0_sel:WORD_1
	v_cvt_f32_f16_e32 v22, v12
	v_mov_b32_e32 v10, v7
	v_pk_fma_f32 v[20:21], v[2:3], v[20:21], 0 op_sel_hi:[0,1,0]
	v_ashrrev_i32_e32 v19, 31, v18
	v_pk_fma_f32 v[20:21], v[6:7], v[22:23], v[20:21] op_sel_hi:[0,1,1]
	s_waitcnt lgkmcnt(1)
	v_cvt_f32_f16_sdwa v23, v14 dst_sel:DWORD dst_unused:UNUSED_PAD src0_sel:WORD_1
	v_cvt_f32_f16_e32 v22, v14
	v_lshl_add_u64 v[18:19], v[18:19], 3, v[120:121]
	v_cvt_f32_f16_e32 v12, v15
	v_pk_fma_f32 v[20:21], v[10:11], v[22:23], v[20:21] op_sel_hi:[0,1,1]
	s_waitcnt lgkmcnt(0)
	v_cvt_f32_f16_sdwa v23, v16 dst_sel:DWORD dst_unused:UNUSED_PAD src0_sel:WORD_1
	v_cvt_f32_f16_e32 v22, v16
	v_pk_fma_f32 v[20:21], v[8:9], v[22:23], v[20:21] op_sel_hi:[0,1,1]
	v_div_scale_f32 v0, s[38:39], v3, v3, v21
	v_rcp_f32_e32 v1, v0
	s_nop 0
	v_fma_f32 v5, -v0, v1, 1.0
	v_fmac_f32_e32 v1, v5, v1
	v_div_scale_f32 v5, vcc, v21, v3, v21
	v_mul_f32_e32 v7, v5, v1
	v_fma_f32 v9, -v0, v7, v5
	v_fmac_f32_e32 v7, v9, v1
	v_fma_f32 v0, -v0, v7, v5
	v_div_fmas_f32 v0, v0, v1, v7
	v_div_fixup_f32 v21, v0, v3, v21
	v_div_scale_f32 v0, s[38:39], v3, v3, v20
	v_rcp_f32_e32 v1, v0
	s_nop 0
	v_fma_f32 v5, -v0, v1, 1.0
	v_fmac_f32_e32 v1, v5, v1
	v_div_scale_f32 v5, vcc, v20, v3, v20
	v_mul_f32_e32 v7, v5, v1
	v_fma_f32 v9, -v0, v7, v5
	v_fmac_f32_e32 v7, v9, v1
	v_fma_f32 v0, -v0, v7, v5
	v_div_fmas_f32 v0, v0, v1, v7
	v_div_fixup_f32 v20, v0, v3, v20
	global_store_dwordx2 v[18:19], v[20:21], off
	v_cvt_f32_f16_sdwa v19, v11 dst_sel:DWORD dst_unused:UNUSED_PAD src0_sel:WORD_1
	v_cvt_f32_f16_e32 v18, v11
	v_cvt_f32_f16_sdwa v21, v13 dst_sel:DWORD dst_unused:UNUSED_PAD src0_sel:WORD_1
	v_cvt_f32_f16_e32 v20, v13
	v_cvt_f32_f16_sdwa v13, v15 dst_sel:DWORD dst_unused:UNUSED_PAD src0_sel:WORD_1
	v_pk_fma_f32 v[18:19], v[2:3], v[18:19], 0 op_sel_hi:[0,1,0]
	v_ashrrev_i32_e32 v5, 31, v4
	v_pk_fma_f32 v[6:7], v[6:7], v[20:21], v[18:19] op_sel_hi:[0,1,1]
	v_pk_fma_f32 v[6:7], v[10:11], v[12:13], v[6:7] op_sel_hi:[0,1,1]
	v_cvt_f32_f16_sdwa v11, v17 dst_sel:DWORD dst_unused:UNUSED_PAD src0_sel:WORD_1
	v_cvt_f32_f16_e32 v10, v17
	v_lshl_add_u64 v[4:5], v[44:45], 0, v[4:5]
	v_lshl_add_u64 v[4:5], v[4:5], 3, v[120:121]
	v_pk_fma_f32 v[6:7], v[8:9], v[10:11], v[6:7] op_sel_hi:[0,1,1]
	v_div_scale_f32 v0, s[38:39], v3, v3, v7
	v_rcp_f32_e32 v1, v0
	s_nop 0
	v_fma_f32 v2, -v0, v1, 1.0
	v_fmac_f32_e32 v1, v2, v1
	v_div_scale_f32 v2, vcc, v7, v3, v7
	v_mul_f32_e32 v8, v2, v1
	v_fma_f32 v9, -v0, v8, v2
	v_fmac_f32_e32 v8, v9, v1
	v_fma_f32 v0, -v0, v8, v2
	v_div_fmas_f32 v0, v0, v1, v8
	v_div_fixup_f32 v7, v0, v3, v7
	v_div_scale_f32 v0, s[38:39], v3, v3, v6
	v_rcp_f32_e32 v1, v0
	s_nop 0
	v_fma_f32 v2, -v0, v1, 1.0
	v_fmac_f32_e32 v1, v2, v1
	v_div_scale_f32 v2, vcc, v6, v3, v6
	v_mul_f32_e32 v8, v2, v1
	v_fma_f32 v9, -v0, v8, v2
	v_fmac_f32_e32 v8, v9, v1
	v_fma_f32 v0, -v0, v8, v2
	v_div_fmas_f32 v0, v0, v1, v8
	v_div_fixup_f32 v6, v0, v3, v6
	v_mov_b32_e32 v1, 0
	global_store_dwordx2 v[4:5], v[6:7], off offset:512
.LBB30_317:                             ;   in Loop: Header=BB30_14 Depth=1
	s_or_b64 exec, exec, s[36:37]
	s_movk_i32 s36, 0x47
	v_cmp_gt_i32_e32 vcc, s36, v1
	s_mov_b64 s[36:37], -1
	s_and_saveexec_b64 s[38:39], vcc
; %bb.318:                              ;   in Loop: Header=BB30_14 Depth=1
	v_cmp_eq_u32_e32 vcc, 0, v1
	s_orn2_b64 s[36:37], vcc, exec
; %bb.319:                              ;   in Loop: Header=BB30_14 Depth=1
	s_or_b64 exec, exec, s[38:39]
	s_and_b64 exec, exec, s[36:37]
	s_cbranch_execz .LBB30_12
; %bb.320:                              ;   in Loop: Header=BB30_14 Depth=1
	v_accvgpr_read_b32 v0, a23
	v_add_u32_e32 v2, v0, v194
	v_cmp_gt_i32_e32 vcc, s76, v2
	v_mov_b32_e32 v1, 0x47
	s_and_saveexec_b64 s[36:37], vcc
	s_cbranch_execz .LBB30_322
; %bb.321:                              ;   in Loop: Header=BB30_14 Depth=1
	v_readlane_b32 s38, v255, 40
	v_accvgpr_read_b32 v0, a40
	s_nop 0
	v_mul_lo_u32 v4, s38, v2
	ds_read2_b32 v[2:3], v0 offset0:128 offset1:129
	ds_read2st64_b32 v[6:7], v0 offset0:35 offset1:68
	ds_read_b32 v8, v0 offset:25856
	v_accvgpr_read_b32 v0, a54
	ds_read2st64_b32 v[10:11], v0 offset1:1
	ds_read2st64_b32 v[12:13], v0 offset0:33 offset1:34
	ds_read2st64_b32 v[14:15], v0 offset0:66 offset1:67
	;; [unrolled: 1-line block ×3, first 2 shown]
	v_add_u32_e32 v18, v44, v4
	s_waitcnt lgkmcnt(3)
	v_cvt_f32_f16_sdwa v21, v10 dst_sel:DWORD dst_unused:UNUSED_PAD src0_sel:WORD_1
	v_cvt_f32_f16_e32 v20, v10
	s_waitcnt lgkmcnt(2)
	v_cvt_f32_f16_sdwa v23, v12 dst_sel:DWORD dst_unused:UNUSED_PAD src0_sel:WORD_1
	v_cvt_f32_f16_e32 v22, v12
	v_mov_b32_e32 v10, v7
	v_pk_fma_f32 v[20:21], v[2:3], v[20:21], 0 op_sel_hi:[0,1,0]
	v_ashrrev_i32_e32 v19, 31, v18
	v_pk_fma_f32 v[20:21], v[6:7], v[22:23], v[20:21] op_sel_hi:[0,1,1]
	s_waitcnt lgkmcnt(1)
	v_cvt_f32_f16_sdwa v23, v14 dst_sel:DWORD dst_unused:UNUSED_PAD src0_sel:WORD_1
	v_cvt_f32_f16_e32 v22, v14
	v_lshl_add_u64 v[18:19], v[18:19], 3, v[120:121]
	v_cvt_f32_f16_e32 v12, v15
	v_pk_fma_f32 v[20:21], v[10:11], v[22:23], v[20:21] op_sel_hi:[0,1,1]
	s_waitcnt lgkmcnt(0)
	v_cvt_f32_f16_sdwa v23, v16 dst_sel:DWORD dst_unused:UNUSED_PAD src0_sel:WORD_1
	v_cvt_f32_f16_e32 v22, v16
	v_pk_fma_f32 v[20:21], v[8:9], v[22:23], v[20:21] op_sel_hi:[0,1,1]
	v_div_scale_f32 v0, s[38:39], v3, v3, v21
	v_rcp_f32_e32 v1, v0
	s_nop 0
	v_fma_f32 v5, -v0, v1, 1.0
	v_fmac_f32_e32 v1, v5, v1
	v_div_scale_f32 v5, vcc, v21, v3, v21
	v_mul_f32_e32 v7, v5, v1
	v_fma_f32 v9, -v0, v7, v5
	v_fmac_f32_e32 v7, v9, v1
	v_fma_f32 v0, -v0, v7, v5
	v_div_fmas_f32 v0, v0, v1, v7
	v_div_fixup_f32 v21, v0, v3, v21
	v_div_scale_f32 v0, s[38:39], v3, v3, v20
	v_rcp_f32_e32 v1, v0
	s_nop 0
	v_fma_f32 v5, -v0, v1, 1.0
	v_fmac_f32_e32 v1, v5, v1
	v_div_scale_f32 v5, vcc, v20, v3, v20
	v_mul_f32_e32 v7, v5, v1
	v_fma_f32 v9, -v0, v7, v5
	v_fmac_f32_e32 v7, v9, v1
	v_fma_f32 v0, -v0, v7, v5
	v_div_fmas_f32 v0, v0, v1, v7
	v_div_fixup_f32 v20, v0, v3, v20
	global_store_dwordx2 v[18:19], v[20:21], off
	v_cvt_f32_f16_sdwa v19, v11 dst_sel:DWORD dst_unused:UNUSED_PAD src0_sel:WORD_1
	v_cvt_f32_f16_e32 v18, v11
	v_cvt_f32_f16_sdwa v21, v13 dst_sel:DWORD dst_unused:UNUSED_PAD src0_sel:WORD_1
	v_cvt_f32_f16_e32 v20, v13
	v_cvt_f32_f16_sdwa v13, v15 dst_sel:DWORD dst_unused:UNUSED_PAD src0_sel:WORD_1
	v_pk_fma_f32 v[18:19], v[2:3], v[18:19], 0 op_sel_hi:[0,1,0]
	v_ashrrev_i32_e32 v5, 31, v4
	v_pk_fma_f32 v[6:7], v[6:7], v[20:21], v[18:19] op_sel_hi:[0,1,1]
	v_pk_fma_f32 v[6:7], v[10:11], v[12:13], v[6:7] op_sel_hi:[0,1,1]
	v_cvt_f32_f16_sdwa v11, v17 dst_sel:DWORD dst_unused:UNUSED_PAD src0_sel:WORD_1
	v_cvt_f32_f16_e32 v10, v17
	v_lshl_add_u64 v[4:5], v[44:45], 0, v[4:5]
	v_lshl_add_u64 v[4:5], v[4:5], 3, v[120:121]
	v_pk_fma_f32 v[6:7], v[8:9], v[10:11], v[6:7] op_sel_hi:[0,1,1]
	v_div_scale_f32 v0, s[38:39], v3, v3, v7
	v_rcp_f32_e32 v1, v0
	s_nop 0
	v_fma_f32 v2, -v0, v1, 1.0
	v_fmac_f32_e32 v1, v2, v1
	v_div_scale_f32 v2, vcc, v7, v3, v7
	v_mul_f32_e32 v8, v2, v1
	v_fma_f32 v9, -v0, v8, v2
	v_fmac_f32_e32 v8, v9, v1
	v_fma_f32 v0, -v0, v8, v2
	v_div_fmas_f32 v0, v0, v1, v8
	v_div_fixup_f32 v7, v0, v3, v7
	v_div_scale_f32 v0, s[38:39], v3, v3, v6
	v_rcp_f32_e32 v1, v0
	s_nop 0
	v_fma_f32 v2, -v0, v1, 1.0
	v_fmac_f32_e32 v1, v2, v1
	v_div_scale_f32 v2, vcc, v6, v3, v6
	v_mul_f32_e32 v8, v2, v1
	v_fma_f32 v9, -v0, v8, v2
	v_fmac_f32_e32 v8, v9, v1
	v_fma_f32 v0, -v0, v8, v2
	v_div_fmas_f32 v0, v0, v1, v8
	v_div_fixup_f32 v6, v0, v3, v6
	v_mov_b32_e32 v1, 0
	global_store_dwordx2 v[4:5], v[6:7], off offset:512
.LBB30_322:                             ;   in Loop: Header=BB30_14 Depth=1
	s_or_b64 exec, exec, s[36:37]
	s_movk_i32 s36, 0x47
	v_cmp_gt_i32_e32 vcc, s36, v1
	s_mov_b64 s[36:37], -1
	s_and_saveexec_b64 s[38:39], vcc
; %bb.323:                              ;   in Loop: Header=BB30_14 Depth=1
	v_cmp_eq_u32_e32 vcc, 0, v1
	s_orn2_b64 s[36:37], vcc, exec
; %bb.324:                              ;   in Loop: Header=BB30_14 Depth=1
	s_or_b64 exec, exec, s[38:39]
	s_and_b64 exec, exec, s[36:37]
	s_cbranch_execz .LBB30_12
; %bb.325:                              ;   in Loop: Header=BB30_14 Depth=1
	v_accvgpr_read_b32 v0, a24
	v_add_u32_e32 v2, v0, v194
	v_cmp_gt_i32_e32 vcc, s76, v2
	v_mov_b32_e32 v1, 0x47
	s_and_saveexec_b64 s[36:37], vcc
	s_cbranch_execz .LBB30_327
; %bb.326:                              ;   in Loop: Header=BB30_14 Depth=1
	v_readlane_b32 s38, v255, 40
	v_accvgpr_read_b32 v0, a41
	s_nop 0
	v_mul_lo_u32 v4, s38, v2
	ds_read2_b32 v[2:3], v0 offset0:128 offset1:129
	ds_read2st64_b32 v[6:7], v0 offset0:35 offset1:68
	ds_read_b32 v8, v0 offset:25856
	v_accvgpr_read_b32 v0, a55
	ds_read2st64_b32 v[10:11], v0 offset1:1
	ds_read2st64_b32 v[12:13], v0 offset0:33 offset1:34
	ds_read2st64_b32 v[14:15], v0 offset0:66 offset1:67
	;; [unrolled: 1-line block ×3, first 2 shown]
	v_add_u32_e32 v18, v44, v4
	s_waitcnt lgkmcnt(3)
	v_cvt_f32_f16_sdwa v21, v10 dst_sel:DWORD dst_unused:UNUSED_PAD src0_sel:WORD_1
	v_cvt_f32_f16_e32 v20, v10
	s_waitcnt lgkmcnt(2)
	v_cvt_f32_f16_sdwa v23, v12 dst_sel:DWORD dst_unused:UNUSED_PAD src0_sel:WORD_1
	v_cvt_f32_f16_e32 v22, v12
	v_mov_b32_e32 v10, v7
	v_pk_fma_f32 v[20:21], v[2:3], v[20:21], 0 op_sel_hi:[0,1,0]
	v_ashrrev_i32_e32 v19, 31, v18
	v_pk_fma_f32 v[20:21], v[6:7], v[22:23], v[20:21] op_sel_hi:[0,1,1]
	s_waitcnt lgkmcnt(1)
	v_cvt_f32_f16_sdwa v23, v14 dst_sel:DWORD dst_unused:UNUSED_PAD src0_sel:WORD_1
	v_cvt_f32_f16_e32 v22, v14
	v_lshl_add_u64 v[18:19], v[18:19], 3, v[120:121]
	v_cvt_f32_f16_e32 v12, v15
	v_pk_fma_f32 v[20:21], v[10:11], v[22:23], v[20:21] op_sel_hi:[0,1,1]
	s_waitcnt lgkmcnt(0)
	v_cvt_f32_f16_sdwa v23, v16 dst_sel:DWORD dst_unused:UNUSED_PAD src0_sel:WORD_1
	v_cvt_f32_f16_e32 v22, v16
	v_pk_fma_f32 v[20:21], v[8:9], v[22:23], v[20:21] op_sel_hi:[0,1,1]
	v_div_scale_f32 v0, s[38:39], v3, v3, v21
	v_rcp_f32_e32 v1, v0
	s_nop 0
	v_fma_f32 v5, -v0, v1, 1.0
	v_fmac_f32_e32 v1, v5, v1
	v_div_scale_f32 v5, vcc, v21, v3, v21
	v_mul_f32_e32 v7, v5, v1
	v_fma_f32 v9, -v0, v7, v5
	v_fmac_f32_e32 v7, v9, v1
	v_fma_f32 v0, -v0, v7, v5
	v_div_fmas_f32 v0, v0, v1, v7
	v_div_fixup_f32 v21, v0, v3, v21
	v_div_scale_f32 v0, s[38:39], v3, v3, v20
	v_rcp_f32_e32 v1, v0
	s_nop 0
	v_fma_f32 v5, -v0, v1, 1.0
	v_fmac_f32_e32 v1, v5, v1
	v_div_scale_f32 v5, vcc, v20, v3, v20
	v_mul_f32_e32 v7, v5, v1
	v_fma_f32 v9, -v0, v7, v5
	v_fmac_f32_e32 v7, v9, v1
	v_fma_f32 v0, -v0, v7, v5
	v_div_fmas_f32 v0, v0, v1, v7
	v_div_fixup_f32 v20, v0, v3, v20
	global_store_dwordx2 v[18:19], v[20:21], off
	v_cvt_f32_f16_sdwa v19, v11 dst_sel:DWORD dst_unused:UNUSED_PAD src0_sel:WORD_1
	v_cvt_f32_f16_e32 v18, v11
	v_cvt_f32_f16_sdwa v21, v13 dst_sel:DWORD dst_unused:UNUSED_PAD src0_sel:WORD_1
	v_cvt_f32_f16_e32 v20, v13
	v_cvt_f32_f16_sdwa v13, v15 dst_sel:DWORD dst_unused:UNUSED_PAD src0_sel:WORD_1
	v_pk_fma_f32 v[18:19], v[2:3], v[18:19], 0 op_sel_hi:[0,1,0]
	v_ashrrev_i32_e32 v5, 31, v4
	v_pk_fma_f32 v[6:7], v[6:7], v[20:21], v[18:19] op_sel_hi:[0,1,1]
	v_pk_fma_f32 v[6:7], v[10:11], v[12:13], v[6:7] op_sel_hi:[0,1,1]
	v_cvt_f32_f16_sdwa v11, v17 dst_sel:DWORD dst_unused:UNUSED_PAD src0_sel:WORD_1
	v_cvt_f32_f16_e32 v10, v17
	v_lshl_add_u64 v[4:5], v[44:45], 0, v[4:5]
	v_lshl_add_u64 v[4:5], v[4:5], 3, v[120:121]
	v_pk_fma_f32 v[6:7], v[8:9], v[10:11], v[6:7] op_sel_hi:[0,1,1]
	v_div_scale_f32 v0, s[38:39], v3, v3, v7
	v_rcp_f32_e32 v1, v0
	s_nop 0
	v_fma_f32 v2, -v0, v1, 1.0
	v_fmac_f32_e32 v1, v2, v1
	v_div_scale_f32 v2, vcc, v7, v3, v7
	v_mul_f32_e32 v8, v2, v1
	v_fma_f32 v9, -v0, v8, v2
	v_fmac_f32_e32 v8, v9, v1
	v_fma_f32 v0, -v0, v8, v2
	v_div_fmas_f32 v0, v0, v1, v8
	v_div_fixup_f32 v7, v0, v3, v7
	v_div_scale_f32 v0, s[38:39], v3, v3, v6
	v_rcp_f32_e32 v1, v0
	s_nop 0
	v_fma_f32 v2, -v0, v1, 1.0
	v_fmac_f32_e32 v1, v2, v1
	v_div_scale_f32 v2, vcc, v6, v3, v6
	v_mul_f32_e32 v8, v2, v1
	v_fma_f32 v9, -v0, v8, v2
	v_fmac_f32_e32 v8, v9, v1
	v_fma_f32 v0, -v0, v8, v2
	v_div_fmas_f32 v0, v0, v1, v8
	v_div_fixup_f32 v6, v0, v3, v6
	v_mov_b32_e32 v1, 0
	global_store_dwordx2 v[4:5], v[6:7], off offset:512
.LBB30_327:                             ;   in Loop: Header=BB30_14 Depth=1
	s_or_b64 exec, exec, s[36:37]
	s_movk_i32 s36, 0x47
	v_cmp_gt_i32_e32 vcc, s36, v1
	s_mov_b64 s[36:37], -1
	s_and_saveexec_b64 s[38:39], vcc
; %bb.328:                              ;   in Loop: Header=BB30_14 Depth=1
	v_cmp_eq_u32_e32 vcc, 0, v1
	s_orn2_b64 s[36:37], vcc, exec
; %bb.329:                              ;   in Loop: Header=BB30_14 Depth=1
	s_or_b64 exec, exec, s[38:39]
	s_and_b64 exec, exec, s[36:37]
	s_cbranch_execz .LBB30_12
; %bb.330:                              ;   in Loop: Header=BB30_14 Depth=1
	v_accvgpr_read_b32 v0, a25
	v_add_u32_e32 v2, v0, v194
	v_cmp_gt_i32_e32 vcc, s76, v2
	v_mov_b32_e32 v1, 0x47
	s_and_saveexec_b64 s[36:37], vcc
	s_cbranch_execz .LBB30_332
; %bb.331:                              ;   in Loop: Header=BB30_14 Depth=1
	v_readlane_b32 s38, v255, 40
	v_accvgpr_read_b32 v0, a42
	s_nop 0
	v_mul_lo_u32 v4, s38, v2
	ds_read2_b32 v[2:3], v0 offset0:128 offset1:129
	ds_read2st64_b32 v[6:7], v0 offset0:35 offset1:68
	ds_read_b32 v8, v0 offset:25856
	v_accvgpr_read_b32 v0, a56
	ds_read2st64_b32 v[10:11], v0 offset1:1
	ds_read2st64_b32 v[12:13], v0 offset0:33 offset1:34
	ds_read2st64_b32 v[14:15], v0 offset0:66 offset1:67
	;; [unrolled: 1-line block ×3, first 2 shown]
	v_add_u32_e32 v18, v44, v4
	s_waitcnt lgkmcnt(3)
	v_cvt_f32_f16_sdwa v21, v10 dst_sel:DWORD dst_unused:UNUSED_PAD src0_sel:WORD_1
	v_cvt_f32_f16_e32 v20, v10
	s_waitcnt lgkmcnt(2)
	v_cvt_f32_f16_sdwa v23, v12 dst_sel:DWORD dst_unused:UNUSED_PAD src0_sel:WORD_1
	v_cvt_f32_f16_e32 v22, v12
	v_mov_b32_e32 v10, v7
	v_pk_fma_f32 v[20:21], v[2:3], v[20:21], 0 op_sel_hi:[0,1,0]
	v_ashrrev_i32_e32 v19, 31, v18
	v_pk_fma_f32 v[20:21], v[6:7], v[22:23], v[20:21] op_sel_hi:[0,1,1]
	s_waitcnt lgkmcnt(1)
	v_cvt_f32_f16_sdwa v23, v14 dst_sel:DWORD dst_unused:UNUSED_PAD src0_sel:WORD_1
	v_cvt_f32_f16_e32 v22, v14
	v_lshl_add_u64 v[18:19], v[18:19], 3, v[120:121]
	v_cvt_f32_f16_e32 v12, v15
	v_pk_fma_f32 v[20:21], v[10:11], v[22:23], v[20:21] op_sel_hi:[0,1,1]
	s_waitcnt lgkmcnt(0)
	v_cvt_f32_f16_sdwa v23, v16 dst_sel:DWORD dst_unused:UNUSED_PAD src0_sel:WORD_1
	v_cvt_f32_f16_e32 v22, v16
	v_pk_fma_f32 v[20:21], v[8:9], v[22:23], v[20:21] op_sel_hi:[0,1,1]
	v_div_scale_f32 v0, s[38:39], v3, v3, v21
	v_rcp_f32_e32 v1, v0
	s_nop 0
	v_fma_f32 v5, -v0, v1, 1.0
	v_fmac_f32_e32 v1, v5, v1
	v_div_scale_f32 v5, vcc, v21, v3, v21
	v_mul_f32_e32 v7, v5, v1
	v_fma_f32 v9, -v0, v7, v5
	v_fmac_f32_e32 v7, v9, v1
	v_fma_f32 v0, -v0, v7, v5
	v_div_fmas_f32 v0, v0, v1, v7
	v_div_fixup_f32 v21, v0, v3, v21
	v_div_scale_f32 v0, s[38:39], v3, v3, v20
	v_rcp_f32_e32 v1, v0
	s_nop 0
	v_fma_f32 v5, -v0, v1, 1.0
	v_fmac_f32_e32 v1, v5, v1
	v_div_scale_f32 v5, vcc, v20, v3, v20
	v_mul_f32_e32 v7, v5, v1
	v_fma_f32 v9, -v0, v7, v5
	v_fmac_f32_e32 v7, v9, v1
	v_fma_f32 v0, -v0, v7, v5
	v_div_fmas_f32 v0, v0, v1, v7
	v_div_fixup_f32 v20, v0, v3, v20
	global_store_dwordx2 v[18:19], v[20:21], off
	v_cvt_f32_f16_sdwa v19, v11 dst_sel:DWORD dst_unused:UNUSED_PAD src0_sel:WORD_1
	v_cvt_f32_f16_e32 v18, v11
	v_cvt_f32_f16_sdwa v21, v13 dst_sel:DWORD dst_unused:UNUSED_PAD src0_sel:WORD_1
	v_cvt_f32_f16_e32 v20, v13
	v_cvt_f32_f16_sdwa v13, v15 dst_sel:DWORD dst_unused:UNUSED_PAD src0_sel:WORD_1
	v_pk_fma_f32 v[18:19], v[2:3], v[18:19], 0 op_sel_hi:[0,1,0]
	v_ashrrev_i32_e32 v5, 31, v4
	v_pk_fma_f32 v[6:7], v[6:7], v[20:21], v[18:19] op_sel_hi:[0,1,1]
	v_pk_fma_f32 v[6:7], v[10:11], v[12:13], v[6:7] op_sel_hi:[0,1,1]
	v_cvt_f32_f16_sdwa v11, v17 dst_sel:DWORD dst_unused:UNUSED_PAD src0_sel:WORD_1
	v_cvt_f32_f16_e32 v10, v17
	v_lshl_add_u64 v[4:5], v[44:45], 0, v[4:5]
	v_lshl_add_u64 v[4:5], v[4:5], 3, v[120:121]
	v_pk_fma_f32 v[6:7], v[8:9], v[10:11], v[6:7] op_sel_hi:[0,1,1]
	v_div_scale_f32 v0, s[38:39], v3, v3, v7
	v_rcp_f32_e32 v1, v0
	s_nop 0
	v_fma_f32 v2, -v0, v1, 1.0
	v_fmac_f32_e32 v1, v2, v1
	v_div_scale_f32 v2, vcc, v7, v3, v7
	v_mul_f32_e32 v8, v2, v1
	v_fma_f32 v9, -v0, v8, v2
	v_fmac_f32_e32 v8, v9, v1
	v_fma_f32 v0, -v0, v8, v2
	v_div_fmas_f32 v0, v0, v1, v8
	v_div_fixup_f32 v7, v0, v3, v7
	v_div_scale_f32 v0, s[38:39], v3, v3, v6
	v_rcp_f32_e32 v1, v0
	s_nop 0
	v_fma_f32 v2, -v0, v1, 1.0
	v_fmac_f32_e32 v1, v2, v1
	v_div_scale_f32 v2, vcc, v6, v3, v6
	v_mul_f32_e32 v8, v2, v1
	v_fma_f32 v9, -v0, v8, v2
	v_fmac_f32_e32 v8, v9, v1
	v_fma_f32 v0, -v0, v8, v2
	v_div_fmas_f32 v0, v0, v1, v8
	v_div_fixup_f32 v6, v0, v3, v6
	v_mov_b32_e32 v1, 0
	global_store_dwordx2 v[4:5], v[6:7], off offset:512
.LBB30_332:                             ;   in Loop: Header=BB30_14 Depth=1
	s_or_b64 exec, exec, s[36:37]
	s_movk_i32 s36, 0x47
	v_cmp_gt_i32_e32 vcc, s36, v1
	s_mov_b64 s[36:37], -1
	s_and_saveexec_b64 s[38:39], vcc
; %bb.333:                              ;   in Loop: Header=BB30_14 Depth=1
	v_cmp_eq_u32_e32 vcc, 0, v1
	s_orn2_b64 s[36:37], vcc, exec
; %bb.334:                              ;   in Loop: Header=BB30_14 Depth=1
	s_or_b64 exec, exec, s[38:39]
	s_and_b64 exec, exec, s[36:37]
	s_cbranch_execz .LBB30_12
; %bb.335:                              ;   in Loop: Header=BB30_14 Depth=1
	v_accvgpr_read_b32 v0, a26
	v_add_u32_e32 v1, v0, v194
	v_cmp_gt_i32_e32 vcc, s76, v1
	s_and_b64 exec, exec, vcc
	s_cbranch_execz .LBB30_12
; %bb.336:                              ;   in Loop: Header=BB30_14 Depth=1
	v_accvgpr_read_b32 v0, a43
	ds_read2_b32 v[2:3], v0 offset0:128 offset1:129
	ds_read2st64_b32 v[6:7], v0 offset0:35 offset1:68
	ds_read_b32 v8, v0 offset:25856
	v_accvgpr_read_b32 v0, a57
	ds_read2st64_b32 v[10:11], v0 offset1:1
	ds_read2st64_b32 v[12:13], v0 offset0:33 offset1:34
	ds_read2st64_b32 v[14:15], v0 offset0:66 offset1:67
	;; [unrolled: 1-line block ×3, first 2 shown]
	v_readlane_b32 s36, v255, 40
	s_waitcnt lgkmcnt(3)
	v_cvt_f32_f16_sdwa v21, v10 dst_sel:DWORD dst_unused:UNUSED_PAD src0_sel:WORD_1
	v_cvt_f32_f16_e32 v20, v10
	s_waitcnt lgkmcnt(2)
	v_cvt_f32_f16_sdwa v23, v12 dst_sel:DWORD dst_unused:UNUSED_PAD src0_sel:WORD_1
	v_cvt_f32_f16_e32 v22, v12
	v_mov_b32_e32 v10, v7
	v_pk_fma_f32 v[20:21], v[2:3], v[20:21], 0 op_sel_hi:[0,1,0]
	v_mul_lo_u32 v4, s36, v1
	v_pk_fma_f32 v[20:21], v[6:7], v[22:23], v[20:21] op_sel_hi:[0,1,1]
	s_waitcnt lgkmcnt(1)
	v_cvt_f32_f16_sdwa v23, v14 dst_sel:DWORD dst_unused:UNUSED_PAD src0_sel:WORD_1
	v_cvt_f32_f16_e32 v22, v14
	v_add_u32_e32 v18, v44, v4
	v_ashrrev_i32_e32 v19, 31, v18
	v_lshl_add_u64 v[18:19], v[18:19], 3, v[120:121]
	v_pk_fma_f32 v[20:21], v[10:11], v[22:23], v[20:21] op_sel_hi:[0,1,1]
	s_waitcnt lgkmcnt(0)
	v_cvt_f32_f16_sdwa v23, v16 dst_sel:DWORD dst_unused:UNUSED_PAD src0_sel:WORD_1
	v_cvt_f32_f16_e32 v22, v16
	v_cvt_f32_f16_e32 v12, v15
	v_pk_fma_f32 v[20:21], v[8:9], v[22:23], v[20:21] op_sel_hi:[0,1,1]
	v_div_scale_f32 v0, s[36:37], v3, v3, v21
	v_rcp_f32_e32 v1, v0
	s_nop 0
	v_fma_f32 v5, -v0, v1, 1.0
	v_fmac_f32_e32 v1, v5, v1
	v_div_scale_f32 v5, vcc, v21, v3, v21
	v_mul_f32_e32 v7, v5, v1
	v_fma_f32 v9, -v0, v7, v5
	v_fmac_f32_e32 v7, v9, v1
	v_fma_f32 v0, -v0, v7, v5
	v_div_fmas_f32 v0, v0, v1, v7
	v_div_fixup_f32 v21, v0, v3, v21
	v_div_scale_f32 v0, s[36:37], v3, v3, v20
	v_rcp_f32_e32 v1, v0
	s_nop 0
	v_fma_f32 v5, -v0, v1, 1.0
	v_fmac_f32_e32 v1, v5, v1
	v_div_scale_f32 v5, vcc, v20, v3, v20
	v_mul_f32_e32 v7, v5, v1
	v_fma_f32 v9, -v0, v7, v5
	v_fmac_f32_e32 v7, v9, v1
	v_fma_f32 v0, -v0, v7, v5
	v_div_fmas_f32 v0, v0, v1, v7
	v_div_fixup_f32 v20, v0, v3, v20
	global_store_dwordx2 v[18:19], v[20:21], off
	v_cvt_f32_f16_sdwa v19, v11 dst_sel:DWORD dst_unused:UNUSED_PAD src0_sel:WORD_1
	v_cvt_f32_f16_e32 v18, v11
	v_cvt_f32_f16_sdwa v21, v13 dst_sel:DWORD dst_unused:UNUSED_PAD src0_sel:WORD_1
	v_cvt_f32_f16_e32 v20, v13
	v_cvt_f32_f16_sdwa v13, v15 dst_sel:DWORD dst_unused:UNUSED_PAD src0_sel:WORD_1
	v_pk_fma_f32 v[18:19], v[2:3], v[18:19], 0 op_sel_hi:[0,1,0]
	v_ashrrev_i32_e32 v5, 31, v4
	v_pk_fma_f32 v[6:7], v[6:7], v[20:21], v[18:19] op_sel_hi:[0,1,1]
	v_pk_fma_f32 v[6:7], v[10:11], v[12:13], v[6:7] op_sel_hi:[0,1,1]
	v_cvt_f32_f16_sdwa v11, v17 dst_sel:DWORD dst_unused:UNUSED_PAD src0_sel:WORD_1
	v_cvt_f32_f16_e32 v10, v17
	v_lshl_add_u64 v[4:5], v[44:45], 0, v[4:5]
	v_lshl_add_u64 v[4:5], v[4:5], 3, v[120:121]
	v_pk_fma_f32 v[6:7], v[8:9], v[10:11], v[6:7] op_sel_hi:[0,1,1]
	v_div_scale_f32 v0, s[36:37], v3, v3, v7
	v_rcp_f32_e32 v1, v0
	s_nop 0
	v_fma_f32 v2, -v0, v1, 1.0
	v_fmac_f32_e32 v1, v2, v1
	v_div_scale_f32 v2, vcc, v7, v3, v7
	v_mul_f32_e32 v8, v2, v1
	v_fma_f32 v9, -v0, v8, v2
	v_fmac_f32_e32 v8, v9, v1
	v_fma_f32 v0, -v0, v8, v2
	v_div_fmas_f32 v0, v0, v1, v8
	v_div_fixup_f32 v7, v0, v3, v7
	v_div_scale_f32 v0, s[36:37], v3, v3, v6
	v_rcp_f32_e32 v1, v0
	s_nop 0
	v_fma_f32 v2, -v0, v1, 1.0
	v_fmac_f32_e32 v1, v2, v1
	v_div_scale_f32 v2, vcc, v6, v3, v6
	v_mul_f32_e32 v8, v2, v1
	v_fma_f32 v9, -v0, v8, v2
	v_fmac_f32_e32 v8, v9, v1
	v_fma_f32 v0, -v0, v8, v2
	v_div_fmas_f32 v0, v0, v1, v8
	v_div_fixup_f32 v6, v0, v3, v6
	global_store_dwordx2 v[4:5], v[6:7], off offset:512
	s_branch .LBB30_12
.LBB30_337:                             ;   in Loop: Header=BB30_14 Depth=1
                                        ; implicit-def: $vgpr2_vgpr3_vgpr4_vgpr5
	s_branch .LBB30_91
.LBB30_338:                             ;   in Loop: Header=BB30_14 Depth=1
                                        ; implicit-def: $vgpr2_vgpr3_vgpr4_vgpr5
	s_branch .LBB30_250
.LBB30_339:
	v_readlane_b32 s12, v255, 23
	v_readlane_b32 s49, v255, 35
	;; [unrolled: 1-line block ×8, first 2 shown]
	v_accvgpr_read_b32 v193, a8
	v_accvgpr_read_b32 v194, a9
	;; [unrolled: 1-line block ×4, first 2 shown]
	v_readlane_b32 s57, v255, 49
	v_readlane_b32 s11, v255, 39
	s_andn2_b64 vcc, exec, s[34:35]
	s_cbranch_vccnz .LBB30_10
.LBB30_340:
	v_readlane_b32 s7, v255, 7
	s_abs_i32 s0, s7
	v_cvt_f32_u32_e32 v0, s0
	s_sub_i32 s3, 0, s0
	s_abs_i32 s2, s4
	s_xor_b32 s1, s4, s7
	v_rcp_iflag_f32_e32 v0, v0
	s_ashr_i32 s1, s1, 31
	v_readlane_b32 s8, v255, 6
	v_readlane_b32 s9, v255, 3
	v_mul_f32_e32 v0, 0x4f7ffffe, v0
	v_cvt_u32_f32_e32 v0, v0
	s_mov_b64 s[30:31], 0
	v_readfirstlane_b32 s5, v0
	s_mul_i32 s3, s3, s5
	s_mul_hi_u32 s3, s5, s3
	s_add_i32 s5, s5, s3
	s_mul_hi_u32 s3, s2, s5
	s_mul_i32 s5, s3, s0
	s_sub_i32 s2, s2, s5
	s_add_i32 s6, s3, 1
	s_sub_i32 s5, s2, s0
	s_cmp_ge_u32 s2, s0
	s_cselect_b32 s3, s6, s3
	s_cselect_b32 s2, s5, s2
	s_add_i32 s5, s3, 1
	s_cmp_ge_u32 s2, s0
	s_cselect_b32 s0, s5, s3
	s_abs_i32 s3, s8
	v_cvt_f32_u32_e32 v0, s3
	s_xor_b32 s0, s0, s1
	s_sub_i32 s5, 0, s3
	s_sub_i32 s2, s0, s1
	v_rcp_iflag_f32_e32 v0, v0
	s_mul_i32 s0, s2, s7
	s_sub_i32 s0, s4, s0
	s_abs_i32 s4, s0
	v_mul_f32_e32 v0, 0x4f7ffffe, v0
	v_cvt_u32_f32_e32 v0, v0
	s_xor_b32 s1, s0, s8
	s_ashr_i32 s1, s1, 31
	v_readfirstlane_b32 s6, v0
	s_mul_i32 s5, s5, s6
	s_mul_hi_u32 s5, s6, s5
	s_add_i32 s6, s6, s5
	s_mul_hi_u32 s5, s4, s6
	s_mul_i32 s6, s5, s3
	s_sub_i32 s4, s4, s6
	s_add_i32 s7, s5, 1
	s_sub_i32 s6, s4, s3
	s_cmp_ge_u32 s4, s3
	s_cselect_b32 s5, s7, s5
	s_cselect_b32 s4, s6, s4
	s_add_i32 s6, s5, 1
	s_cmp_ge_u32 s4, s3
	s_cselect_b32 s3, s6, s5
	s_abs_i32 s4, s9
	v_cvt_f32_u32_e32 v0, s4
	s_xor_b32 s3, s3, s1
	s_sub_i32 s5, 0, s4
	s_sub_i32 s3, s3, s1
	v_rcp_iflag_f32_e32 v0, v0
	s_mul_i32 s1, s3, s8
	s_sub_i32 s1, s0, s1
	s_abs_i32 s6, s1
	v_mul_f32_e32 v0, 0x4f7ffffe, v0
	v_cvt_u32_f32_e32 v0, v0
	s_xor_b32 s0, s1, s9
	s_ashr_i32 s0, s0, 31
	v_readfirstlane_b32 s7, v0
	s_mul_i32 s5, s5, s7
	s_mul_hi_u32 s5, s7, s5
	s_add_i32 s7, s7, s5
	s_mul_hi_u32 s5, s6, s7
	s_mul_i32 s7, s5, s4
	s_sub_i32 s6, s6, s7
	s_add_i32 s8, s5, 1
	s_sub_i32 s7, s6, s4
	s_cmp_ge_u32 s6, s4
	s_cselect_b32 s5, s8, s5
	s_cselect_b32 s6, s7, s6
	s_add_i32 s7, s5, 1
	s_cmp_ge_u32 s6, s4
	s_cselect_b32 s4, s7, s5
	s_xor_b32 s4, s4, s0
	s_sub_i32 s0, s4, s0
	s_mul_i32 s4, s0, s9
	s_sub_i32 s1, s1, s4
	s_abs_i32 s8, s1
	s_ashr_i32 s6, s2, 31
	s_mul_hi_u32 s7, s8, s85
	s_cmp_eq_u64 s[66:67], 0
	s_cbranch_scc1 .LBB30_342
; %bb.341:
	s_abs_i32 s4, s10
	v_cvt_f32_u32_e32 v0, s4
	s_sub_i32 s9, 0, s4
	s_abs_i32 s5, s2
	v_readlane_b32 s16, v255, 12
	v_rcp_iflag_f32_e32 v0, v0
	v_readlane_b32 s17, v255, 13
	v_mul_f32_e32 v0, 0x4f7ffffe, v0
	v_cvt_u32_f32_e32 v0, v0
	s_nop 0
	v_readfirstlane_b32 s10, v0
	s_mul_i32 s9, s9, s10
	s_mul_hi_u32 s9, s10, s9
	s_add_i32 s10, s10, s9
	s_mul_hi_u32 s9, s5, s10
	s_mul_i32 s9, s9, s4
	s_sub_i32 s5, s5, s9
	s_sub_i32 s9, s5, s4
	s_cmp_ge_u32 s5, s4
	s_cselect_b32 s5, s9, s5
	s_sub_i32 s9, s5, s4
	s_cmp_ge_u32 s5, s4
	s_cselect_b32 s4, s9, s5
	s_xor_b32 s4, s4, s6
	s_sub_i32 s4, s4, s6
	s_ashr_i32 s5, s4, 31
	s_mul_hi_u32 s9, s16, s4
	s_mul_i32 s5, s16, s5
	s_mul_i32 s10, s17, s4
	s_add_i32 s5, s9, s5
	s_add_i32 s5, s5, s10
	s_mul_i32 s4, s16, s4
	s_add_u32 s30, s66, s4
	s_addc_u32 s31, s67, s5
.LBB30_342:
	s_ashr_i32 s10, s1, 31
	v_readlane_b32 s1, v255, 2
	s_mul_i32 s9, s3, s1
	s_add_i32 s9, s9, s0
	v_cmp_le_f32_e64 s[0:1], s13, 0
	s_and_b64 vcc, exec, s[0:1]
	v_mov_b32_e32 v44, 1.0
	s_cbranch_vccnz .LBB30_344
; %bb.343:
	v_mov_b32_e32 v0, s88
	v_sub_co_u32_e32 v0, vcc, s9, v0
	v_mov_b32_e32 v1, s15
	v_mov_b32_e32 v2, s14
	s_add_i32 s0, s9, 1
	v_lshlrev_b32_e32 v0, 1, v0
	v_cndmask_b32_e32 v1, v1, v2, vcc
	v_or_b32_e32 v0, 1, v0
	v_mov_b32_e32 v2, s0
	v_cndmask_b32_e32 v0, v0, v2, vcc
	v_cvt_f32_i32_e32 v0, v0
	v_cmp_neq_f32_e32 vcc, 1.0, v1
	s_mov_b32 s0, 0x3f2aaaab
	s_movk_i32 s4, 0x204
	v_cndmask_b32_e32 v0, 1.0, v0, vcc
	v_cmp_neq_f32_e32 vcc, 0, v0
	s_mov_b32 s1, 0x42b17218
	s_mov_b32 s5, 0x3fb8aa3b
	v_cndmask_b32_e32 v1, 1.0, v1, vcc
	v_frexp_mant_f32_e64 v2, |v1|
	v_cmp_gt_f32_e32 vcc, s0, v2
	s_mov_b32 s0, 0x3f317218
	s_brev_b32 s11, -2
	v_cndmask_b32_e64 v3, 1.0, 2.0, vcc
	v_mul_f32_e32 v2, v2, v3
	v_add_f32_e32 v5, 1.0, v2
	v_rcp_f32_e32 v10, v5
	v_add_f32_e32 v3, -1.0, v5
	v_sub_f32_e32 v7, v2, v3
	v_add_f32_e32 v3, -1.0, v2
	v_mul_f32_e32 v11, v3, v10
	v_mul_f32_e32 v4, v5, v11
	v_fma_f32 v6, v11, v5, -v4
	v_fmac_f32_e32 v6, v11, v7
	v_add_f32_e32 v2, v4, v6
	v_sub_f32_e32 v5, v3, v2
	v_pk_add_f32 v[8:9], v[2:3], v[4:5] neg_lo:[0,1] neg_hi:[0,1]
	v_mov_b32_e32 v7, v2
	v_pk_add_f32 v[2:3], v[8:9], v[6:7] neg_lo:[0,1] neg_hi:[0,1]
	v_mov_b32_e32 v6, 0x3e91f4c4
	v_add_f32_e32 v2, v2, v3
	v_add_f32_e32 v2, v5, v2
	v_mul_f32_e32 v3, v10, v2
	v_add_f32_e32 v2, v11, v3
	v_sub_f32_e32 v4, v2, v11
	v_sub_f32_e32 v12, v3, v4
	v_mul_f32_e32 v3, v2, v2
	v_fma_f32 v5, v2, v2, -v3
	v_add_f32_e32 v4, v12, v12
	v_fmac_f32_e32 v5, v2, v4
	v_add_f32_e32 v4, v3, v5
	v_fmac_f32_e32 v6, 0x3e76c4e1, v4
	v_fmaak_f32 v6, v4, v6, 0x3ecccdef
	v_sub_f32_e32 v3, v4, v3
	v_sub_f32_e32 v13, v5, v3
	v_mul_f32_e32 v3, v4, v6
	v_fma_f32 v5, v4, v6, -v3
	v_fmac_f32_e32 v5, v13, v6
	v_add_f32_e32 v6, v3, v5
	v_add_f32_e32 v7, 0x3f2aaaaa, v6
	v_sub_f32_e32 v3, v6, v3
	v_sub_f32_e32 v3, v5, v3
	v_add_f32_e32 v5, 0xbf2aaaaa, v7
	v_add_f32_e32 v3, 0x31739010, v3
	v_sub_f32_e32 v5, v6, v5
	v_pk_mul_f32 v[8:9], v[2:3], v[4:5]
	v_pk_add_f32 v[10:11], v[2:3], v[4:5]
	v_fma_f32 v6, v4, v2, -v8
	v_fmac_f32_e32 v6, v4, v12
	v_mov_b32_e32 v9, v11
	v_fmac_f32_e32 v6, v13, v2
	v_pk_add_f32 v[4:5], v[8:9], v[6:7]
	v_ldexp_f32 v14, v12, 1
	v_sub_f32_e32 v3, v4, v8
	v_sub_f32_e32 v3, v6, v3
	;; [unrolled: 1-line block ×3, first 2 shown]
	v_add_f32_e32 v9, v11, v6
	v_pk_mul_f32 v[6:7], v[4:5], v[4:5] op_sel:[0,1] op_sel_hi:[1,0]
	v_cvt_f64_f32_e64 v[10:11], |v1|
	v_frexp_exp_i32_f64_e32 v7, v[10:11]
	v_subbrev_co_u32_e32 v7, vcc, 0, v7, vcc
	v_cvt_f32_i32_e32 v7, v7
	v_fma_f32 v8, v4, v5, -v6
	v_fmac_f32_e32 v8, v4, v9
	v_fmac_f32_e32 v8, v3, v5
	v_mul_f32_e32 v4, 0x3f317218, v7
	v_fma_f32 v3, v7, s0, -v4
	v_fmamk_f32 v10, v7, 0xb102e308, v3
	v_ldexp_f32 v11, v2, 1
	v_add_f32_e32 v5, v6, v8
	v_pk_add_f32 v[2:3], v[4:5], v[10:11]
	v_mov_b32_e32 v12, v5
	v_mov_b32_e32 v13, v3
	;; [unrolled: 1-line block ×3, first 2 shown]
	v_pk_add_f32 v[6:7], v[12:13], v[6:7] neg_lo:[0,1] neg_hi:[0,1]
	v_mov_b32_e32 v9, v5
	v_pk_add_f32 v[6:7], v[8:9], v[6:7] neg_lo:[0,1] neg_hi:[0,1]
	v_mov_b32_e32 v11, v2
	v_add_f32_e32 v5, v14, v6
	v_add_f32_e32 v5, v5, v7
	v_pk_add_f32 v[6:7], v[2:3], v[4:5] neg_lo:[0,1] neg_hi:[0,1]
	v_pk_add_f32 v[8:9], v[2:3], v[4:5]
	v_mov_b32_e32 v16, v3
	v_mov_b32_e32 v7, v9
	v_pk_add_f32 v[12:13], v[10:11], v[6:7] neg_lo:[0,1] neg_hi:[0,1]
	v_pk_add_f32 v[6:7], v[10:11], v[6:7]
	v_mov_b32_e32 v4, v5
	v_pk_add_f32 v[10:11], v[6:7], v[2:3] op_sel:[1,0] op_sel_hi:[0,1] neg_lo:[0,1] neg_hi:[0,1]
	v_pk_add_f32 v[14:15], v[8:9], v[10:11] op_sel_hi:[1,0] neg_lo:[0,1] neg_hi:[0,1]
	v_mov_b32_e32 v8, v9
	v_mov_b32_e32 v9, v7
	;; [unrolled: 1-line block ×3, first 2 shown]
	v_pk_add_f32 v[8:9], v[8:9], v[16:17] neg_lo:[0,1] neg_hi:[0,1]
	v_mov_b32_e32 v5, v2
	v_pk_add_f32 v[2:3], v[4:5], v[8:9] neg_lo:[0,1] neg_hi:[0,1]
	v_mov_b32_e32 v14, v12
	v_pk_add_f32 v[4:5], v[14:15], v[2:3]
	v_mov_b32_e32 v13, v7
	v_pk_add_f32 v[8:9], v[4:5], v[4:5] op_sel:[0,1] op_sel_hi:[1,0]
	s_mov_b32 s0, 0x7f800000
	v_pk_add_f32 v[6:7], v[6:7], v[8:9] op_sel:[1,0] op_sel_hi:[0,1]
	v_mov_b32_e32 v5, v6
	v_pk_add_f32 v[10:11], v[4:5], v[12:13] neg_lo:[0,1] neg_hi:[0,1]
	v_mov_b32_e32 v3, v8
	v_sub_f32_e32 v4, v4, v10
	v_pk_add_f32 v[2:3], v[2:3], v[10:11] neg_lo:[0,1] neg_hi:[0,1]
	v_sub_f32_e32 v4, v12, v4
	v_add_f32_e32 v2, v2, v4
	v_add_f32_e32 v2, v2, v3
	;; [unrolled: 1-line block ×3, first 2 shown]
	v_sub_f32_e32 v4, v3, v6
	v_sub_f32_e32 v2, v2, v4
	v_mul_f32_e32 v4, v0, v3
	v_fma_f32 v3, v0, v3, -v4
	v_fmac_f32_e32 v3, v0, v2
	v_add_f32_e32 v2, v4, v3
	v_cmp_class_f32_e64 vcc, v4, s4
	v_sub_f32_e32 v5, v2, v4
	v_sub_f32_e32 v3, v3, v5
	v_cndmask_b32_e32 v2, v2, v4, vcc
	v_mov_b32_e32 v4, 0x37000000
	v_cmp_eq_f32_e32 vcc, s1, v2
	v_cmp_class_f32_e64 s[12:13], v1, s4
	s_nop 0
	v_cndmask_b32_e32 v4, 0, v4, vcc
	v_sub_f32_e32 v5, v2, v4
	v_mul_f32_e32 v6, 0x3fb8aa3b, v5
	v_fma_f32 v7, v5, s5, -v6
	v_rndne_f32_e32 v8, v6
	v_fmamk_f32 v7, v5, 0x32a5705f, v7
	v_sub_f32_e32 v6, v6, v8
	v_add_f32_e32 v6, v6, v7
	v_exp_f32_e32 v6, v6
	v_cvt_i32_f32_e32 v7, v8
	v_cmp_neq_f32_e64 vcc, |v2|, s0
	s_mov_b32 s0, 0xc2ce8ed0
	s_nop 0
	v_cndmask_b32_e32 v2, 0, v3, vcc
	v_ldexp_f32 v3, v6, v7
	v_cmp_ngt_f32_e32 vcc, s0, v5
	v_add_f32_e32 v2, v4, v2
	v_mov_b32_e32 v4, 0x7f800000
	v_cndmask_b32_e32 v3, 0, v3, vcc
	v_cmp_nlt_f32_e32 vcc, s1, v5
	v_mov_b32_e32 v5, 0x7fc00000
	s_nop 0
	v_cndmask_b32_e32 v3, v4, v3, vcc
	v_fma_f32 v2, v3, v2, v3
	v_cmp_class_f32_e64 vcc, v3, s4
	v_cmp_gt_f32_e64 s[4:5], 0, v0
	s_nop 0
	v_cndmask_b32_e32 v2, v2, v3, vcc
	v_trunc_f32_e32 v3, v0
	v_cmp_eq_f32_e32 vcc, v3, v0
	v_mul_f32_e32 v3, 0.5, v0
	v_trunc_f32_e32 v6, v3
	v_cmp_neq_f32_e64 s[0:1], v6, v3
	s_and_b64 s[0:1], vcc, s[0:1]
	s_nop 0
	v_cndmask_b32_e64 v3, 1.0, v1, s[0:1]
	v_bfi_b32 v2, s11, v2, v3
	v_cndmask_b32_e32 v3, v5, v2, vcc
	v_cmp_gt_f32_e32 vcc, 0, v1
	s_nop 1
	v_cndmask_b32_e32 v2, v2, v3, vcc
	v_cmp_eq_f32_e32 vcc, 0, v1
	s_xor_b64 s[4:5], s[4:5], vcc
	v_cndmask_b32_e64 v0, v4, 0, s[4:5]
	v_cndmask_b32_e64 v3, 0, v1, s[0:1]
	v_bfi_b32 v0, s11, v0, v3
	s_or_b64 vcc, vcc, s[12:13]
	v_cndmask_b32_e32 v0, v2, v0, vcc
	v_cmp_o_f32_e32 vcc, v1, v1
	s_nop 1
	v_cndmask_b32_e32 v44, v5, v0, vcc
.LBB30_344:
	s_mul_i32 s1, s7, s33
	v_readlane_b32 s0, v255, 16
	s_sub_i32 s1, s8, s1
	s_xor_b32 s0, s10, s0
	s_add_i32 s4, s7, 1
	s_sub_i32 s5, s1, s33
	s_cmp_ge_u32 s1, s33
	s_cselect_b32 s4, s4, s7
	s_cselect_b32 s1, s5, s1
	s_add_i32 s5, s4, 1
	s_cmp_ge_u32 s1, s33
	s_cselect_b32 s1, s5, s4
	s_xor_b32 s1, s1, s0
	s_sub_i32 s4, s1, s0
	s_cmp_eq_u64 s[70:71], 0
	s_cbranch_scc1 .LBB30_346
; %bb.345:
	v_readlane_b32 s0, v255, 0
	s_mul_i32 s0, s2, s0
	s_add_i32 s0, s4, s0
	s_ashr_i32 s1, s0, 31
	s_lshl_b64 s[0:1], s[0:1], 2
	s_add_u32 s0, s70, s0
	s_addc_u32 s1, s71, s1
	v_mov_b32_e32 v0, 0
	global_load_dword v0, v0, s[0:1]
	s_waitcnt vmcnt(0)
	v_ashrrev_i32_e32 v1, 31, v0
	v_lshrrev_b32_e32 v1, 26, v1
	v_add_u32_e32 v0, v0, v1
	v_ashrrev_i32_e32 v0, 6, v0
	v_min_i32_e32 v154, v154, v0
.LBB30_346:
	v_readlane_b32 s10, v255, 8
	v_readlane_b32 s11, v255, 9
	s_mul_i32 s0, s2, s11
	s_ashr_i32 s1, s0, 31
	s_add_u32 s0, s60, s0
	s_mul_i32 s9, s9, s10
	s_addc_u32 s1, s61, s1
	s_ashr_i32 s5, s9, 31
	s_add_u32 s0, s0, s9
	s_addc_u32 s1, s1, s5
	s_lshl_b32 s7, s4, 4
	v_and_b32_e32 v64, 0x3ff, v24
	v_add_u32_e32 v135, s7, v174
	s_mov_b32 s8, 0x10001
	v_lshl_add_u32 v1, v64, 2, 0
	v_cmp_le_i32_e32 vcc, s76, v135
	s_and_saveexec_b64 s[4:5], vcc
	s_xor_b64 s[4:5], exec, s[4:5]
; %bb.347:
	s_movk_i32 s9, 0x210
	v_mad_u32_u24 v0, v174, s9, v1
	v_mov_b32_e32 v2, 0
	ds_write2st64_b32 v0, v2, v2 offset1:1
; %bb.348:
	s_or_saveexec_b64 s[4:5], s[4:5]
	v_mul_lo_u32 v0, v25, s8
	v_lshlrev_b32_e32 v65, 2, v64
	s_xor_b64 exec, exec, s[4:5]
	s_cbranch_execz .LBB30_350
; %bb.349:
	v_mad_u64_u32 v[2:3], s[8:9], v135, s97, v[64:65]
	v_ashrrev_i32_e32 v3, 31, v2
	v_lshl_add_u64 v[2:3], v[2:3], 3, s[0:1]
	global_load_dwordx2 v[4:5], v[2:3], off
	global_load_dwordx2 v[6:7], v[2:3], off offset:512
	v_mul_u32_u24_e32 v2, 0x210, v174
	v_add3_u32 v2, 0, v2, v65
	s_waitcnt vmcnt(1)
	v_cvt_pk_f16_f32 v3, v4, v5
	s_waitcnt vmcnt(0)
	v_cvt_pk_f16_f32 v4, v6, v7
	v_pk_mul_f16 v3, v3, v0
	v_pk_mul_f16 v4, v4, v0
	ds_write2st64_b32 v2, v3, v4 offset1:1
.LBB30_350:
	s_or_b64 exec, exec, s[4:5]
	v_add_u32_e32 v136, s7, v177
	v_cmp_le_i32_e32 vcc, s76, v136
	s_and_saveexec_b64 s[4:5], vcc
	s_xor_b64 s[4:5], exec, s[4:5]
; %bb.351:
	s_movk_i32 s8, 0x210
	v_mad_u32_u24 v2, v177, s8, v1
	v_mov_b32_e32 v3, 0
	ds_write2st64_b32 v2, v3, v3 offset1:1
                                        ; implicit-def: $vgpr177
; %bb.352:
	s_andn2_saveexec_b64 s[4:5], s[4:5]
	s_cbranch_execz .LBB30_354
; %bb.353:
	v_mad_u64_u32 v[2:3], s[8:9], v136, s97, v[64:65]
	v_ashrrev_i32_e32 v3, 31, v2
	v_lshl_add_u64 v[2:3], v[2:3], 3, s[0:1]
	global_load_dwordx2 v[4:5], v[2:3], off
	global_load_dwordx2 v[6:7], v[2:3], off offset:512
	v_mul_u32_u24_e32 v2, 0x210, v177
	v_add3_u32 v2, 0, v2, v65
	s_waitcnt vmcnt(1)
	v_cvt_pk_f16_f32 v3, v4, v5
	s_waitcnt vmcnt(0)
	v_cvt_pk_f16_f32 v4, v6, v7
	v_pk_mul_f16 v3, v3, v0
	v_pk_mul_f16 v4, v4, v0
	ds_write2st64_b32 v2, v3, v4 offset1:1
.LBB30_354:
	s_or_b64 exec, exec, s[4:5]
	v_add_u32_e32 v137, s7, v49
	v_cmp_le_i32_e32 vcc, s76, v137
	s_and_saveexec_b64 s[4:5], vcc
	s_xor_b64 s[4:5], exec, s[4:5]
; %bb.355:
	s_movk_i32 s8, 0x210
	v_mad_u32_u24 v2, v49, s8, v1
	v_mov_b32_e32 v3, 0
	ds_write2st64_b32 v2, v3, v3 offset1:1
                                        ; implicit-def: $vgpr49
; %bb.356:
	s_andn2_saveexec_b64 s[4:5], s[4:5]
	s_cbranch_execz .LBB30_358
; %bb.357:
	v_mad_u64_u32 v[2:3], s[8:9], v137, s97, v[64:65]
	v_ashrrev_i32_e32 v3, 31, v2
	v_lshl_add_u64 v[2:3], v[2:3], 3, s[0:1]
	global_load_dwordx2 v[4:5], v[2:3], off
	global_load_dwordx2 v[6:7], v[2:3], off offset:512
	v_mul_u32_u24_e32 v2, 0x210, v49
	v_add3_u32 v2, 0, v2, v65
	s_waitcnt vmcnt(1)
	v_cvt_pk_f16_f32 v3, v4, v5
	s_waitcnt vmcnt(0)
	v_cvt_pk_f16_f32 v4, v6, v7
	v_pk_mul_f16 v3, v3, v0
	v_pk_mul_f16 v4, v4, v0
	ds_write2st64_b32 v2, v3, v4 offset1:1
.LBB30_358:
	s_or_b64 exec, exec, s[4:5]
	v_add_u32_e32 v138, s7, v43
	v_cmp_le_i32_e32 vcc, s76, v138
	s_and_saveexec_b64 s[4:5], vcc
	s_xor_b64 s[4:5], exec, s[4:5]
; %bb.359:
	s_movk_i32 s7, 0x210
	v_mad_u32_u24 v0, v43, s7, v1
	v_mov_b32_e32 v1, 0
	ds_write2st64_b32 v0, v1, v1 offset1:1
                                        ; implicit-def: $vgpr43
                                        ; implicit-def: $vgpr0
; %bb.360:
	s_andn2_saveexec_b64 s[4:5], s[4:5]
	s_cbranch_execz .LBB30_362
; %bb.361:
	v_mad_u64_u32 v[2:3], s[8:9], v138, s97, v[64:65]
	v_ashrrev_i32_e32 v3, 31, v2
	v_lshl_add_u64 v[2:3], v[2:3], 3, s[0:1]
	global_load_dwordx2 v[4:5], v[2:3], off
	global_load_dwordx2 v[6:7], v[2:3], off offset:512
	v_mul_u32_u24_e32 v1, 0x210, v43
	v_add3_u32 v1, 0, v1, v65
	s_waitcnt vmcnt(1)
	v_cvt_pk_f16_f32 v2, v4, v5
	s_waitcnt vmcnt(0)
	v_cvt_pk_f16_f32 v3, v6, v7
	v_pk_mul_f16 v2, v2, v0
	v_pk_mul_f16 v0, v3, v0
	ds_write2st64_b32 v1, v2, v0 offset1:1
.LBB30_362:
	s_or_b64 exec, exec, s[4:5]
	v_readlane_b32 s4, v255, 10
	v_readlane_b32 s5, v255, 11
	s_mul_i32 s0, s4, s6
	s_mul_hi_u32 s1, s4, s2
	s_add_i32 s0, s1, s0
	s_mul_i32 s1, s5, s2
	s_add_i32 s0, s0, s1
	s_mul_i32 s1, s4, s2
	s_add_u32 s1, s64, s1
	s_mul_i32 s4, s3, s83
	s_addc_u32 s0, s65, s0
	s_ashr_i32 s5, s4, 31
	s_add_u32 s33, s1, s4
	s_addc_u32 s38, s0, s5
	v_readlane_b32 s4, v255, 14
	v_lshrrev_b32_e32 v1, 3, v64
	v_and_b32_e32 v33, 0xff0, v194
	s_movk_i32 s4, 0x210
	v_and_b32_e32 v96, 15, v64
	v_and_b32_e32 v32, 0x7e, v1
	v_mad_u32_u24 v0, v33, s4, 0
	v_mul_u32_u24_e32 v134, 0x210, v96
	v_lshlrev_b32_e32 v97, 2, v32
	v_add3_u32 v0, v0, v134, v97
	s_waitcnt lgkmcnt(0)
	s_barrier
	ds_read2_b64 v[28:31], v0 offset1:4
	ds_read2_b64 v[24:27], v0 offset0:8 offset1:12
	ds_read2_b64 v[20:23], v0 offset0:16 offset1:20
	;; [unrolled: 1-line block ×7, first 2 shown]
	s_mul_i32 s0, s80, s6
	s_mul_hi_u32 s1, s80, s2
	s_add_i32 s0, s1, s0
	s_mul_i32 s1, s81, s2
	s_add_i32 s0, s0, s1
	s_mul_i32 s1, s80, s2
	v_readlane_b32 s5, v255, 15
	s_add_u32 s1, s62, s1
	s_mul_i32 s3, s3, s5
	s_addc_u32 s0, s63, s0
	s_ashr_i32 s2, s3, 31
	v_add_u32_e32 v140, -1, v154
	s_add_u32 s39, s1, s3
	v_cmp_ge_i32_e32 vcc, s40, v140
	s_addc_u32 s41, s0, s2
	s_mov_b32 s42, 0
	s_and_b64 vcc, exec, vcc
	v_or_b32_e32 v115, v33, v96
	v_lshlrev_b32_e32 v46, 1, v64
	v_mbcnt_lo_u32_b32 v99, -1, 0
	v_lshrrev_b32_e32 v139, 5, v64
	v_lshrrev_b32_e32 v100, 2, v64
	v_lshlrev_b32_e32 v98, 1, v96
	s_waitcnt lgkmcnt(0)
	s_barrier
	s_cbranch_vccnz .LBB30_390
; %bb.363:
	v_mov_b32_e32 v49, 0
	v_mov_b32_e32 v47, v49
	v_mul_u32_u24_e32 v33, 0x90, v174
	v_lshl_add_u64 v[50:51], s[30:31], 0, v[46:47]
	v_add3_u32 v47, 0, v33, v46
	v_mul_hi_u32 v33, s94, v135
	v_add_u32_e32 v33, v135, v33
	v_lshrrev_b32_e32 v33, s95, v33
	v_mul_lo_u32 v33, v33, s76
	v_sub_u32_e32 v33, v135, v33
	v_mad_i64_i32 v[52:53], s[6:7], v33, s56, 0
	v_mul_hi_u32 v33, s94, v136
	v_add_u32_e32 v33, v136, v33
	v_mbcnt_hi_u32_b32 v34, -1, v99
	v_lshrrev_b32_e32 v33, s95, v33
	v_and_b32_e32 v36, 64, v34
	v_mul_lo_u32 v33, v33, s76
	v_add_u32_e32 v36, 64, v36
	v_xor_b32_e32 v37, 32, v34
	v_sub_u32_e32 v33, v136, v33
	v_cmp_lt_i32_e32 vcc, v37, v36
	v_mad_i64_i32 v[54:55], s[6:7], v33, s56, 0
	v_mul_hi_u32 v33, s94, v137
	v_cndmask_b32_e32 v37, v34, v37, vcc
	v_add_u32_e32 v33, v137, v33
	v_lshlrev_b32_e32 v144, 2, v37
	v_xor_b32_e32 v37, 16, v34
	s_mov_b64 s[2:3], src_private_base
	s_cmp_lg_u64 s[30:31], 0
	v_lshrrev_b32_e32 v33, s95, v33
	v_cmp_lt_i32_e32 vcc, v37, v36
	v_lshl_add_u32 v36, v174, 1, v139
	s_cselect_b64 s[34:35], -1, 0
	v_mul_lo_u32 v33, v33, s76
	v_mul_lo_u32 v60, s92, v36
	s_lshl_b32 s2, s92, 3
	v_sub_u32_e32 v33, v137, v33
	v_add_u32_e32 v62, s2, v60
	v_mad_i64_i32 v[56:57], s[6:7], v33, s56, 0
	v_mul_hi_u32 v33, s94, v138
	v_add_u32_e32 v66, s2, v62
	v_add_u32_e32 v33, v138, v33
	;; [unrolled: 1-line block ×3, first 2 shown]
	v_lshrrev_b32_e32 v33, s95, v33
	v_add_u32_e32 v70, s2, v68
	v_mul_lo_u32 v33, v33, s76
	v_add_u32_e32 v72, s2, v70
	v_sub_u32_e32 v33, v138, v33
	v_cndmask_b32_e32 v34, v34, v37, vcc
	v_add_u32_e32 v74, s2, v72
	v_mad_i64_i32 v[58:59], s[6:7], v33, s56, 0
	v_and_b32_e32 v33, 48, v193
	v_lshlrev_b32_e32 v145, 2, v34
	v_and_b32_e32 v34, 0x7c, v65
	v_add_u32_e32 v76, s2, v74
	v_mul_lo_u32 v78, s78, v36
	s_lshl_b32 s2, s78, 3
	v_mad_u32_u24 v35, v33, s4, 0
	v_mul_u32_u24_e32 v37, 0x210, v36
	v_lshlrev_b32_e32 v38, 2, v34
	v_add_u32_e32 v80, s2, v78
	v_add3_u32 v146, 0, v37, v38
	v_add_u32_e32 v37, v35, v134
	v_add_u32_e32 v82, s2, v80
	v_lshl_add_u32 v154, v32, 2, v37
	v_lshrrev_b32_e32 v32, 2, v64
	v_add_u32_e32 v84, s2, v82
	v_and_b32_e32 v38, 0xfc, v32
	v_add_u32_e32 v86, s2, v84
	v_add_u32_e32 v39, v38, v33
	v_add_u16_e32 v33, v38, v33
	v_add_u32_e32 v88, s2, v86
	v_lshrrev_b16_e32 v33, 1, v33
	v_add_u32_e32 v90, s2, v88
	v_mul_u32_u24_e32 v40, 0x90, v115
	v_lshlrev_b32_e32 v33, 2, v33
	v_add_u32_e32 v92, s2, v90
	s_movk_i32 s2, 0xfdf2
	v_or_b32_e32 v32, 3, v32
	v_cmp_gt_u32_e64 s[26:27], 64, v36
	v_cmp_gt_u32_e64 s[4:5], 56, v36
	;; [unrolled: 1-line block ×8, first 2 shown]
	v_add3_u32 v33, 0, v40, v33
	v_mad_i32_i24 v36, v96, s2, v37
	v_mul_u32_u24_e32 v37, 0x210, v38
	v_mul_u32_u24_e32 v32, 0x210, v32
	v_cmp_gt_u32_e64 s[0:1], 64, v64
	v_add_u32_e32 v141, 0x240, v47
	v_add_u32_e32 v142, 0x480, v47
	;; [unrolled: 1-line block ×3, first 2 shown]
	v_ashrrev_i32_e32 v61, 31, v60
	v_add_u32_e32 v147, 0x1080, v146
	v_ashrrev_i32_e32 v63, 31, v62
	v_add_u32_e32 v148, 0x2100, v146
	;; [unrolled: 2-line block ×7, first 2 shown]
	v_ashrrev_i32_e32 v77, 31, v76
	v_ashrrev_i32_e32 v79, 31, v78
	;; [unrolled: 1-line block ×9, first 2 shown]
	v_cmp_gt_u32_e64 s[18:19], 64, v39
	v_cmp_gt_u32_e64 s[20:21], 63, v39
	;; [unrolled: 1-line block ×4, first 2 shown]
	v_add3_u32 v155, v35, v37, v98
	v_mov_b32_e32 v94, v44
	v_mov_b32_e32 v95, v44
	s_lshl_b32 s36, s40, 6
	v_mov_b32_e32 v162, 0xfeffffff
	v_lshlrev_b32_e32 v48, 2, v34
	s_mov_b32 s2, 0x3f200000
	s_mov_b32 s43, 0x3fb8aa3b
	;; [unrolled: 1-line block ×4, first 2 shown]
	v_mov_b32_e32 v156, 0x3ca908c9
	s_brev_b32 s46, -2
	v_add_u32_e32 v157, 0x8400, v33
	s_mov_b32 s47, 0xc1a00000
	v_add_u32_e32 v158, v36, v32
	s_mov_b32 s48, 0x5040100
	v_mov_b32_e32 v159, 0
	v_mov_b32_e32 v164, v49
	v_mov_b32_e32 v165, v49
	v_mov_b32_e32 v166, v49
	v_mov_b32_e32 v167, v49
	v_mov_b32_e32 v160, 0x7f800000
	v_mov_b32_e32 v161, v49
	v_mov_b32_e32 v102, v49
	v_mov_b32_e32 v101, v49
	v_mov_b32_e32 v104, v49
	v_mov_b32_e32 v103, v49
	v_mov_b32_e32 v106, v49
	v_mov_b32_e32 v105, v49
	v_mov_b32_e32 v108, v49
	v_mov_b32_e32 v107, v49
	v_mov_b32_e32 v110, v49
	v_mov_b32_e32 v109, v49
	v_mov_b32_e32 v112, v49
	v_mov_b32_e32 v111, v49
	v_mov_b32_e32 v114, v49
	v_mov_b32_e32 v113, v49
	v_mov_b32_e32 v117, v49
	v_mov_b32_e32 v116, v49
	v_mov_b32_e32 v119, v49
	v_mov_b32_e32 v118, v49
	v_mov_b32_e32 v121, v49
	v_mov_b32_e32 v120, v49
	v_mov_b32_e32 v123, v49
	v_mov_b32_e32 v122, v49
	v_mov_b32_e32 v125, v49
	v_mov_b32_e32 v124, v49
	v_mov_b32_e32 v127, v49
	v_mov_b32_e32 v126, v49
	v_mov_b32_e32 v129, v49
	v_mov_b32_e32 v128, v49
	v_mov_b32_e32 v131, v49
	v_mov_b32_e32 v130, v49
	v_mov_b32_e32 v133, v49
	v_mov_b32_e32 v132, v49
                                        ; implicit-def: $vgpr34
                                        ; implicit-def: $vgpr34
	;; [unrolled: 1-line block ×3, first 2 shown]
	s_andn2_b64 vcc, exec, s[34:35]
	s_ashr_i32 s37, s36, 31
	s_cbranch_vccnz .LBB30_367
.LBB30_364:
	v_mov_b32_e32 v32, 0
	v_mov_b32_e32 v33, 0
	;; [unrolled: 1-line block ×4, first 2 shown]
	s_and_saveexec_b64 s[28:29], s[0:1]
	s_cbranch_execz .LBB30_366
; %bb.365:
	v_lshl_add_u64 v[32:33], s[36:37], 1, v[50:51]
	v_lshl_add_u64 v[34:35], v[52:53], 1, v[32:33]
	;; [unrolled: 1-line block ×5, first 2 shown]
	global_load_ushort v32, v[34:35], off
	global_load_ushort v33, v[36:37], off
	s_nop 0
	global_load_ushort v34, v[38:39], off
	global_load_ushort v35, v[40:41], off
.LBB30_366:
	s_or_b64 exec, exec, s[28:29]
	s_waitcnt vmcnt(3)
	ds_write_b16 v47, v32 offset:33792
	s_waitcnt vmcnt(2)
	ds_write_b16 v141, v33 offset:33792
	;; [unrolled: 2-line block ×4, first 2 shown]
.LBB30_367:                             ; =>This Inner Loop Header: Depth=1
	s_mul_hi_i32 s29, s36, s92
	s_mul_i32 s28, s36, s92
	s_lshl_b64 s[28:29], s[28:29], 2
	s_add_u32 s28, s39, s28
	s_addc_u32 s29, s41, s29
	v_lshl_add_u64 v[32:33], v[60:61], 2, s[28:29]
	v_lshl_add_u64 v[32:33], v[32:33], 0, v[48:49]
	v_mov_b32_e32 v38, s3
	v_cndmask_b32_e64 v33, v38, v33, s[26:27]
	v_cndmask_b32_e64 v32, v159, v32, s[26:27]
	scratch_store_dwordx4 off, v[164:167], off
	flat_load_dwordx4 v[32:35], v[32:33]
	v_lshl_add_u64 v[36:37], v[62:63], 2, s[28:29]
	v_lshl_add_u64 v[36:37], v[36:37], 0, v[48:49]
	v_cndmask_b32_e64 v37, v38, v37, s[4:5]
	v_cndmask_b32_e64 v36, v159, v36, s[4:5]
	s_waitcnt vmcnt(0) lgkmcnt(0)
	ds_write_b128 v146, v[32:35]
	flat_load_dwordx4 v[32:35], v[36:37]
	v_lshl_add_u64 v[36:37], v[66:67], 2, s[28:29]
	v_lshl_add_u64 v[36:37], v[36:37], 0, v[48:49]
	v_cndmask_b32_e64 v37, v38, v37, s[6:7]
	v_cndmask_b32_e64 v36, v159, v36, s[6:7]
	s_waitcnt vmcnt(0) lgkmcnt(0)
	ds_write_b128 v147, v[32:35]
	;; [unrolled: 7-line block ×7, first 2 shown]
	flat_load_dwordx4 v[32:35], v[36:37]
                                        ; implicit-def: $vgpr37
	s_waitcnt vmcnt(0) lgkmcnt(0)
	ds_write_b128 v153, v[32:35]
	s_waitcnt lgkmcnt(0)
	s_barrier
	ds_read2_b64 v[32:35], v154 offset1:4
	s_waitcnt lgkmcnt(0)
	v_mfma_f32_16x16x16_f16 a[0:3], v[32:33], v[28:29], 0
	v_mfma_f32_16x16x16_f16 a[0:3], v[34:35], v[30:31], a[0:3]
	ds_read2_b64 v[32:35], v154 offset0:8 offset1:12
	s_waitcnt lgkmcnt(0)
	v_mfma_f32_16x16x16_f16 a[0:3], v[32:33], v[24:25], a[0:3]
	v_mfma_f32_16x16x16_f16 a[0:3], v[34:35], v[26:27], a[0:3]
	ds_read2_b64 v[32:35], v154 offset0:16 offset1:20
	;; [unrolled: 4-line block ×7, first 2 shown]
	s_waitcnt lgkmcnt(0)
	s_barrier
	v_mfma_f32_16x16x16_f16 a[0:3], v[32:33], v[0:1], a[0:3]
	v_mfma_f32_16x16x16_f16 a[0:3], v[34:35], v[2:3], a[0:3]
	s_nop 7
	v_accvgpr_read_b32 v36, a0
	v_cmp_nlt_f32_e64 s[28:29], |v36|, s2
	s_and_saveexec_b64 s[50:51], s[28:29]
	s_xor_b64 s[28:29], exec, s[50:51]
	s_cbranch_execz .LBB30_369
; %bb.368:                              ;   in Loop: Header=BB30_367 Depth=1
	v_add_f32_e64 v32, |v36|, |v36|
	v_mul_f32_e32 v33, 0x3fb8aa3b, v32
	v_rndne_f32_e32 v34, v33
	v_sub_f32_e32 v35, v33, v34
	v_fma_f32 v33, v32, s43, -v33
	v_fmac_f32_e32 v33, 0x32a5705f, v32
	v_add_f32_e32 v33, v35, v33
	v_cvt_i32_f32_e32 v34, v34
	v_exp_f32_e32 v33, v33
	v_cmp_ngt_f32_e32 vcc, s44, v32
	v_ldexp_f32 v33, v33, v34
	s_nop 0
	v_cndmask_b32_e32 v33, 0, v33, vcc
	v_cmp_nlt_f32_e32 vcc, s45, v32
	s_nop 1
	v_cndmask_b32_e32 v32, v160, v33, vcc
	v_add_f32_e32 v32, 1.0, v32
	v_rcp_f32_e32 v32, v32
	s_nop 0
	v_fma_f32 v37, v32, -2.0, 1.0
.LBB30_369:                             ;   in Loop: Header=BB30_367 Depth=1
	s_andn2_saveexec_b64 s[28:29], s[28:29]
; %bb.370:                              ;   in Loop: Header=BB30_367 Depth=1
	v_mul_f32_e32 v32, v36, v36
	v_fmamk_f32 v33, v32, 0xbbbac73d, v156
	v_fmaak_f32 v33, v32, v33, 0xbd5c1c4e
	v_fmaak_f32 v33, v32, v33, 0x3e088382
	;; [unrolled: 1-line block ×3, first 2 shown]
	v_mul_f32_e64 v33, |v36|, v33
	v_fma_f32 v37, v32, v33, |v36|
; %bb.371:                              ;   in Loop: Header=BB30_367 Depth=1
	s_or_b64 exec, exec, s[28:29]
	v_accvgpr_read_b32 v35, a3
	v_accvgpr_read_b32 v33, a1
	;; [unrolled: 1-line block ×4, first 2 shown]
	v_cmp_nlt_f32_e64 s[28:29], |v33|, s2
                                        ; implicit-def: $vgpr32
	s_and_saveexec_b64 s[50:51], s[28:29]
	s_xor_b64 s[28:29], exec, s[50:51]
	s_cbranch_execz .LBB30_373
; %bb.372:                              ;   in Loop: Header=BB30_367 Depth=1
	v_add_f32_e64 v32, |v33|, |v33|
	v_mul_f32_e32 v38, 0x3fb8aa3b, v32
	v_rndne_f32_e32 v39, v38
	v_sub_f32_e32 v40, v38, v39
	v_fma_f32 v38, v32, s43, -v38
	v_fmac_f32_e32 v38, 0x32a5705f, v32
	v_add_f32_e32 v38, v40, v38
	v_cvt_i32_f32_e32 v39, v39
	v_exp_f32_e32 v38, v38
	v_cmp_ngt_f32_e32 vcc, s44, v32
	v_ldexp_f32 v38, v38, v39
	s_nop 0
	v_cndmask_b32_e32 v38, 0, v38, vcc
	v_cmp_nlt_f32_e32 vcc, s45, v32
	s_nop 1
	v_cndmask_b32_e32 v32, v160, v38, vcc
	v_add_f32_e32 v32, 1.0, v32
	v_rcp_f32_e32 v32, v32
	s_nop 0
	v_fma_f32 v32, v32, -2.0, 1.0
.LBB30_373:                             ;   in Loop: Header=BB30_367 Depth=1
	s_andn2_saveexec_b64 s[28:29], s[28:29]
; %bb.374:                              ;   in Loop: Header=BB30_367 Depth=1
	v_mul_f32_e32 v32, v33, v33
	v_fmamk_f32 v38, v32, 0xbbbac73d, v156
	v_fmaak_f32 v38, v32, v38, 0xbd5c1c4e
	v_fmaak_f32 v38, v32, v38, 0x3e088382
	;; [unrolled: 1-line block ×3, first 2 shown]
	v_mul_f32_e64 v38, |v33|, v38
	v_fma_f32 v32, v32, v38, |v33|
; %bb.375:                              ;   in Loop: Header=BB30_367 Depth=1
	s_or_b64 exec, exec, s[28:29]
	v_cmp_nlt_f32_e64 s[28:29], |v34|, s2
                                        ; implicit-def: $vgpr38
	s_and_saveexec_b64 s[50:51], s[28:29]
	s_xor_b64 s[28:29], exec, s[50:51]
	s_cbranch_execz .LBB30_377
; %bb.376:                              ;   in Loop: Header=BB30_367 Depth=1
	v_add_f32_e64 v38, |v34|, |v34|
	v_mul_f32_e32 v39, 0x3fb8aa3b, v38
	v_rndne_f32_e32 v40, v39
	v_sub_f32_e32 v41, v39, v40
	v_fma_f32 v39, v38, s43, -v39
	v_fmac_f32_e32 v39, 0x32a5705f, v38
	v_add_f32_e32 v39, v41, v39
	v_cvt_i32_f32_e32 v40, v40
	v_exp_f32_e32 v39, v39
	v_cmp_ngt_f32_e32 vcc, s44, v38
	v_ldexp_f32 v39, v39, v40
	s_nop 0
	v_cndmask_b32_e32 v39, 0, v39, vcc
	v_cmp_nlt_f32_e32 vcc, s45, v38
	s_nop 1
	v_cndmask_b32_e32 v38, v160, v39, vcc
	v_add_f32_e32 v38, 1.0, v38
	v_rcp_f32_e32 v38, v38
	s_nop 0
	v_fma_f32 v38, v38, -2.0, 1.0
.LBB30_377:                             ;   in Loop: Header=BB30_367 Depth=1
	s_andn2_saveexec_b64 s[28:29], s[28:29]
; %bb.378:                              ;   in Loop: Header=BB30_367 Depth=1
	v_mul_f32_e32 v38, v34, v34
	v_fmamk_f32 v39, v38, 0xbbbac73d, v156
	v_fmaak_f32 v39, v38, v39, 0xbd5c1c4e
	v_fmaak_f32 v39, v38, v39, 0x3e088382
	;; [unrolled: 1-line block ×3, first 2 shown]
	v_mul_f32_e64 v39, |v34|, v39
	v_fma_f32 v38, v38, v39, |v34|
; %bb.379:                              ;   in Loop: Header=BB30_367 Depth=1
	s_or_b64 exec, exec, s[28:29]
	v_cmp_nlt_f32_e64 s[28:29], |v35|, s2
                                        ; implicit-def: $vgpr39
	s_and_saveexec_b64 s[50:51], s[28:29]
	s_xor_b64 s[28:29], exec, s[50:51]
	s_cbranch_execz .LBB30_381
; %bb.380:                              ;   in Loop: Header=BB30_367 Depth=1
	v_add_f32_e64 v39, |v35|, |v35|
	v_mul_f32_e32 v40, 0x3fb8aa3b, v39
	v_rndne_f32_e32 v41, v40
	v_sub_f32_e32 v42, v40, v41
	v_fma_f32 v40, v39, s43, -v40
	v_fmac_f32_e32 v40, 0x32a5705f, v39
	v_add_f32_e32 v40, v42, v40
	v_cvt_i32_f32_e32 v41, v41
	v_exp_f32_e32 v40, v40
	v_cmp_ngt_f32_e32 vcc, s44, v39
	v_ldexp_f32 v40, v40, v41
	s_nop 0
	v_cndmask_b32_e32 v40, 0, v40, vcc
	v_cmp_nlt_f32_e32 vcc, s45, v39
	s_nop 1
	v_cndmask_b32_e32 v39, v160, v40, vcc
	v_add_f32_e32 v39, 1.0, v39
	v_rcp_f32_e32 v39, v39
	s_nop 0
	v_fma_f32 v39, v39, -2.0, 1.0
.LBB30_381:                             ;   in Loop: Header=BB30_367 Depth=1
	s_andn2_saveexec_b64 s[28:29], s[28:29]
; %bb.382:                              ;   in Loop: Header=BB30_367 Depth=1
	v_mul_f32_e32 v39, v35, v35
	v_fmamk_f32 v40, v39, 0xbbbac73d, v156
	v_fmaak_f32 v40, v39, v40, 0xbd5c1c4e
	v_fmaak_f32 v40, v39, v40, 0x3e088382
	;; [unrolled: 1-line block ×3, first 2 shown]
	v_mul_f32_e64 v40, |v35|, v40
	v_fma_f32 v39, v39, v40, |v35|
; %bb.383:                              ;   in Loop: Header=BB30_367 Depth=1
	s_or_b64 exec, exec, s[28:29]
	v_bfi_b32 v32, s46, v32, v33
	v_bfi_b32 v36, s46, v37, v36
	v_mul_f32_e32 v37, s89, v32
	v_bfi_b32 v32, s46, v38, v34
	v_mul_f32_e32 v38, s89, v32
	;; [unrolled: 2-line block ×3, first 2 shown]
	v_mul_f32_e32 v39, s89, v32
	s_and_b64 vcc, exec, s[34:35]
	s_cbranch_vccz .LBB30_388
; %bb.384:                              ;   in Loop: Header=BB30_367 Depth=1
	ds_read2_b32 v[32:33], v157 offset1:1
	v_mov_b32_e32 v45, v44
	s_waitcnt lgkmcnt(0)
	v_cvt_f32_f16_e32 v40, v32
	v_cvt_f32_f16_e32 v34, v33
	v_cvt_f32_f16_sdwa v35, v33 dst_sel:DWORD dst_unused:UNUSED_PAD src0_sel:WORD_1
	v_cvt_f32_f16_sdwa v41, v32 dst_sel:DWORD dst_unused:UNUSED_PAD src0_sel:WORD_1
	v_pk_fma_f32 v[34:35], v[44:45], v[34:35], v[38:39]
	v_pk_fma_f32 v[32:33], v[94:95], v[40:41], v[36:37]
	s_cbranch_execnz .LBB30_386
.LBB30_385:                             ;   in Loop: Header=BB30_367 Depth=1
	v_mov_b64_e32 v[32:33], v[36:37]
	v_mov_b64_e32 v[34:35], v[38:39]
.LBB30_386:                             ;   in Loop: Header=BB30_367 Depth=1
	s_mul_hi_i32 s29, s36, s78
	s_mul_i32 s28, s36, s78
	s_lshl_b64 s[28:29], s[28:29], 2
	s_add_u32 s28, s33, s28
	s_addc_u32 s29, s38, s29
	v_lshl_add_u64 v[36:37], v[78:79], 2, s[28:29]
	v_lshl_add_u64 v[36:37], v[36:37], 0, v[48:49]
	v_mov_b32_e32 v45, s3
	v_cndmask_b32_e64 v37, v45, v37, s[26:27]
	v_cndmask_b32_e64 v36, v159, v36, s[26:27]
	scratch_store_dwordx4 off, v[164:167], off
	flat_load_dwordx4 v[36:39], v[36:37]
	v_lshl_add_u64 v[40:41], v[80:81], 2, s[28:29]
	v_lshl_add_u64 v[40:41], v[40:41], 0, v[48:49]
	v_cndmask_b32_e64 v41, v45, v41, s[4:5]
	v_cndmask_b32_e64 v40, v159, v40, s[4:5]
	v_max_f32_e32 v163, v162, v162
	v_add_f32_e32 v168, 0x40051340, v33
	v_lshl_add_u64 v[170:171], v[90:91], 2, s[28:29]
	v_lshl_add_u64 v[170:171], v[170:171], 0, v[48:49]
	v_cndmask_b32_e64 v171, v45, v171, s[14:15]
	v_cndmask_b32_e64 v170, v159, v170, s[14:15]
	v_lshl_add_u64 v[172:173], v[92:93], 2, s[28:29]
	v_lshl_add_u64 v[172:173], v[172:173], 0, v[48:49]
	v_cndmask_b32_e64 v173, v45, v173, s[16:17]
	v_cndmask_b32_e64 v172, v159, v172, s[16:17]
	v_add_f32_e32 v175, 0x40051340, v34
	v_add_f32_e32 v176, 0x40051340, v35
	s_add_i32 s40, s40, 1
	v_cmp_lt_i32_e32 vcc, s40, v140
	s_and_b64 vcc, exec, vcc
	s_add_i32 s36, s36, 64
	s_waitcnt vmcnt(0) lgkmcnt(0)
	ds_write_b128 v146, v[36:39]
	flat_load_dwordx4 v[36:39], v[40:41]
	v_lshl_add_u64 v[40:41], v[82:83], 2, s[28:29]
	v_lshl_add_u64 v[40:41], v[40:41], 0, v[48:49]
	v_cndmask_b32_e64 v41, v45, v41, s[6:7]
	v_cndmask_b32_e64 v40, v159, v40, s[6:7]
	s_waitcnt vmcnt(0) lgkmcnt(0)
	ds_write_b128 v147, v[36:39]
	flat_load_dwordx4 v[36:39], v[40:41]
	v_lshl_add_u64 v[40:41], v[84:85], 2, s[28:29]
	v_lshl_add_u64 v[40:41], v[40:41], 0, v[48:49]
	v_cndmask_b32_e64 v41, v45, v41, s[8:9]
	v_cndmask_b32_e64 v40, v159, v40, s[8:9]
	;; [unrolled: 7-line block ×3, first 2 shown]
	s_waitcnt vmcnt(0) lgkmcnt(0)
	ds_write_b128 v149, v[36:39]
	flat_load_dwordx4 v[40:43], v[40:41]
	v_add_f32_e32 v38, 0x40051340, v32
	v_max_f32_e32 v38, v163, v38
	v_cndmask_b32_e64 v38, v162, v38, s[18:19]
	v_max_f32_e32 v163, v38, v38
	v_max_f32_e32 v163, v163, v168
	v_lshl_add_u64 v[168:169], v[88:89], 2, s[28:29]
	v_lshl_add_u64 v[168:169], v[168:169], 0, v[48:49]
	v_cndmask_b32_e64 v169, v45, v169, s[12:13]
	v_cndmask_b32_e64 v168, v159, v168, s[12:13]
	v_cndmask_b32_e64 v38, v38, v163, s[20:21]
	v_max_f32_e32 v163, v38, v38
	v_max_f32_e32 v163, v163, v175
	v_cndmask_b32_e64 v38, v38, v163, s[22:23]
	v_max_f32_e32 v163, v38, v38
	v_max_f32_e32 v163, v163, v176
	v_cndmask_b32_e64 v38, v38, v163, s[24:25]
	ds_bpermute_b32 v163, v144, v38
	v_max_f32_e32 v38, v38, v38
	v_mov_b32_e32 v37, s42
	v_mov_b32_e32 v36, s42
	;; [unrolled: 1-line block ×3, first 2 shown]
	s_waitcnt lgkmcnt(0)
	v_max_f32_e32 v163, v163, v163
	v_max_f32_e32 v38, v38, v163
	ds_bpermute_b32 v163, v145, v38
	s_waitcnt lgkmcnt(0)
	v_max_f32_e32 v45, v163, v163
	v_max_f32_e32 v38, v38, v45
	v_sub_f32_e32 v32, v32, v38
	v_sub_f32_e32 v33, v33, v38
	;; [unrolled: 1-line block ×3, first 2 shown]
	v_mul_f32_e32 v162, 0x3fb8aa3b, v32
	v_sub_f32_e32 v34, v34, v38
	v_mul_f32_e32 v163, 0x3fb8aa3b, v33
	v_fma_f32 v176, v32, s43, -v162
	v_rndne_f32_e32 v177, v162
	v_sub_f32_e32 v35, v35, v38
	v_fma_f32 v178, v33, s43, -v163
	v_rndne_f32_e32 v179, v163
	v_fmac_f32_e32 v176, 0x32a5705f, v32
	v_sub_f32_e32 v162, v162, v177
	v_fmac_f32_e32 v178, 0x32a5705f, v33
	v_sub_f32_e32 v163, v163, v179
	v_add_f32_e32 v162, v162, v176
	v_mul_f32_e32 v175, 0x3fb8aa3b, v45
	v_cvt_i32_f32_e32 v177, v177
	v_add_f32_e32 v163, v163, v178
	v_exp_f32_e32 v162, v162
	v_fma_f32 v184, v45, s43, -v175
	v_rndne_f32_e32 v185, v175
	v_cvt_i32_f32_e32 v179, v179
	v_exp_f32_e32 v163, v163
	v_fmac_f32_e32 v184, 0x32a5705f, v45
	v_sub_f32_e32 v175, v175, v185
	v_add_f32_e32 v175, v175, v184
	v_cvt_i32_f32_e32 v185, v185
	v_exp_f32_e32 v175, v175
	v_ldexp_f32 v162, v162, v177
	v_cmp_ngt_f32_e64 s[28:29], s44, v32
	v_ldexp_f32 v163, v163, v179
	v_ldexp_f32 v175, v175, v185
	v_cndmask_b32_e64 v162, 0, v162, s[28:29]
	v_cmp_ngt_f32_e64 s[28:29], s44, v33
	s_waitcnt vmcnt(0)
	ds_write_b128 v150, v[40:43]
	flat_load_dwordx4 v[40:43], v[168:169]
	v_mul_f32_e32 v168, 0x3fb8aa3b, v34
	v_mul_f32_e32 v169, 0x3fb8aa3b, v35
	v_fma_f32 v180, v34, s43, -v168
	v_rndne_f32_e32 v181, v168
	v_fma_f32 v182, v35, s43, -v169
	v_rndne_f32_e32 v183, v169
	v_fmac_f32_e32 v180, 0x32a5705f, v34
	v_sub_f32_e32 v168, v168, v181
	v_fmac_f32_e32 v182, 0x32a5705f, v35
	v_sub_f32_e32 v169, v169, v183
	v_add_f32_e32 v168, v168, v180
	v_cvt_i32_f32_e32 v181, v181
	v_add_f32_e32 v169, v169, v182
	v_exp_f32_e32 v168, v168
	v_cvt_i32_f32_e32 v183, v183
	v_exp_f32_e32 v169, v169
	v_cndmask_b32_e64 v163, 0, v163, s[28:29]
	v_ldexp_f32 v168, v168, v181
	v_cmp_ngt_f32_e64 s[28:29], s44, v34
	v_ldexp_f32 v169, v169, v183
	s_waitcnt vmcnt(0) lgkmcnt(0)
	ds_write_b128 v151, v[40:43]
	flat_load_dwordx4 v[40:43], v[170:171]
	v_cndmask_b32_e64 v168, 0, v168, s[28:29]
	v_cmp_ngt_f32_e64 s[28:29], s44, v35
	s_waitcnt vmcnt(0) lgkmcnt(0)
	ds_write_b128 v152, v[40:43]
	flat_load_dwordx4 v[40:43], v[172:173]
	v_cndmask_b32_e64 v169, 0, v169, s[28:29]
	v_cmp_ngt_f32_e64 s[28:29], s44, v45
	s_waitcnt vmcnt(0) lgkmcnt(0)
	ds_write_b128 v153, v[40:43]
	v_cndmask_b32_e64 v175, 0, v175, s[28:29]
	v_cmp_nlt_f32_e64 s[28:29], s45, v32
	s_waitcnt lgkmcnt(0)
	s_barrier
	v_cndmask_b32_e64 v32, v160, v162, s[28:29]
	v_cmp_nlt_f32_e64 s[28:29], s45, v33
	s_nop 1
	v_cndmask_b32_e64 v33, v160, v163, s[28:29]
	v_cmp_nlt_f32_e64 s[28:29], s45, v34
	v_cndmask_b32_e64 v34, 0, v32, s[18:19]
	s_nop 0
	v_cndmask_b32_e64 v162, v160, v168, s[28:29]
	v_cmp_nlt_f32_e64 s[28:29], s45, v35
	v_cndmask_b32_e64 v35, v37, v33, s[20:21]
	v_cndmask_b32_e64 v32, v36, v162, s[22:23]
	;; [unrolled: 1-line block ×3, first 2 shown]
	v_cmp_nlt_f32_e64 s[28:29], s45, v45
	v_cndmask_b32_e64 v36, v39, v163, s[24:25]
	v_add_f32_e32 v39, v33, v34
	v_cndmask_b32_e64 v168, v160, v175, s[28:29]
	v_cmp_le_f32_e64 s[28:29], s47, v45
	v_cvt_pk_f16_f32 v33, v32, v36
	v_cvt_pk_f16_f32 v32, v34, v35
	v_cndmask_b32_e64 v37, 0, v168, s[28:29]
	v_cvt_f16_f32_e32 v45, v37
	v_cndmask_b32_e64 v34, v34, v39, s[20:21]
	v_add_f32_e32 v35, v34, v162
	v_cndmask_b32_e64 v34, v34, v35, s[22:23]
	v_add_f32_e32 v35, v34, v163
	v_mul_u32_u24_e32 v39, 0x10001, v45
	v_cndmask_b32_e64 v36, v34, v35, s[24:25]
	v_pk_mul_f16 v34, v133, v39
	v_pk_mul_f16 v35, v132, v39
	;; [unrolled: 1-line block ×32, first 2 shown]
	v_fmac_f32_e32 v36, v161, v37
	v_cvt_f32_f16_e32 v37, v34
	v_cvt_f32_f16_sdwa v34, v34 dst_sel:DWORD dst_unused:UNUSED_PAD src0_sel:WORD_1
	v_cvt_f32_f16_e32 v101, v35
	v_cvt_f32_f16_sdwa v35, v35 dst_sel:DWORD dst_unused:UNUSED_PAD src0_sel:WORD_1
	;; [unrolled: 2-line block ×26, first 2 shown]
	v_accvgpr_write_b32 a0, v37
	v_accvgpr_write_b32 a1, v34
	;; [unrolled: 1-line block ×28, first 2 shown]
	ds_read_u16 v34, v155
	ds_read_u16 v37, v155 offset:32
	ds_read_u16 v42, v155 offset:64
	ds_read_u16 v43, v155 offset:96
	ds_read_u16 v45, v155 offset:128
	ds_read_u16 v101, v155 offset:160
	ds_read_u16 v107, v155 offset:192
	ds_read_u16 v108, v155 offset:224
	ds_read_u16 v35, v155 offset:528
	ds_read_u16 v40, v155 offset:560
	ds_read_u16 v109, v155 offset:592
	ds_read_u16 v110, v155 offset:624
	ds_read_u16 v111, v155 offset:656
	ds_read_u16 v112, v155 offset:688
	ds_read_u16 v113, v155 offset:720
	ds_read_u16 v114, v155 offset:752
	ds_read_u16 v41, v155 offset:1056
	ds_read_u16 v116, v155 offset:1088
	ds_read_u16 v117, v155 offset:1120
	ds_read_u16 v118, v155 offset:1152
	ds_read_u16 v119, v155 offset:1184
	ds_read_u16 v120, v155 offset:1216
	ds_read_u16 v121, v155 offset:1248
	ds_read_u16 v122, v155 offset:1280
	ds_read_u16 v123, v158
	ds_read_u16 v124, v158 offset:32
	ds_read_u16 v125, v158 offset:64
	;; [unrolled: 1-line block ×7, first 2 shown]
	s_waitcnt lgkmcnt(14)
	v_perm_b32 v34, v35, v34, s48
	s_waitcnt lgkmcnt(7)
	v_perm_b32 v35, v123, v41, s48
	v_perm_b32 v40, v40, v37, s48
	s_waitcnt lgkmcnt(6)
	v_perm_b32 v41, v124, v116, s48
	v_accvgpr_write_b32 a4, v131
	v_accvgpr_write_b32 a6, v132
	v_mfma_f32_16x16x16_f16 a[0:3], v[34:35], v[32:33], a[0:3]
	v_perm_b32 v34, v109, v42, s48
	s_waitcnt lgkmcnt(5)
	v_perm_b32 v35, v125, v117, s48
	v_accvgpr_write_b32 a8, v133
	v_mfma_f32_16x16x16_f16 a[4:7], v[40:41], v[32:33], a[4:7]
	v_perm_b32 v40, v110, v43, s48
	s_waitcnt lgkmcnt(4)
	v_perm_b32 v41, v126, v118, s48
	v_accvgpr_write_b32 a10, v161
	v_accvgpr_write_b32 a12, v162
	;; [unrolled: 1-line block ×3, first 2 shown]
	v_mfma_f32_16x16x16_f16 a[8:11], v[34:35], v[32:33], a[8:11]
	v_perm_b32 v34, v111, v45, s48
	s_waitcnt lgkmcnt(3)
	v_perm_b32 v35, v127, v119, s48
	v_accvgpr_write_b32 a16, v168
	v_mfma_f32_16x16x16_f16 a[12:15], v[40:41], v[32:33], a[12:15]
	v_perm_b32 v40, v112, v101, s48
	s_waitcnt lgkmcnt(2)
	v_perm_b32 v41, v128, v120, s48
	v_accvgpr_write_b32 a18, v169
	v_accvgpr_write_b32 a20, v170
	;; [unrolled: 1-line block ×3, first 2 shown]
	v_mfma_f32_16x16x16_f16 a[16:19], v[34:35], v[32:33], a[16:19]
	v_perm_b32 v34, v113, v107, s48
	s_waitcnt lgkmcnt(1)
	v_perm_b32 v35, v129, v121, s48
	v_cvt_f32_f16_e32 v187, v106
	v_cvt_f32_f16_sdwa v106, v106 dst_sel:DWORD dst_unused:UNUSED_PAD src0_sel:WORD_1
	v_cvt_f32_f16_e32 v188, v105
	v_cvt_f32_f16_sdwa v105, v105 dst_sel:DWORD dst_unused:UNUSED_PAD src0_sel:WORD_1
	v_mfma_f32_16x16x16_f16 a[20:23], v[40:41], v[32:33], a[20:23]
	v_perm_b32 v40, v114, v108, s48
	s_waitcnt lgkmcnt(0)
	v_perm_b32 v41, v130, v122, s48
	v_accvgpr_write_b32 a24, v175
	v_accvgpr_write_b32 a26, v176
	;; [unrolled: 1-line block ×6, first 2 shown]
	ds_read_u16 v37, v155 offset:256
	ds_read_u16 v42, v155 offset:288
	;; [unrolled: 1-line block ×24, first 2 shown]
	v_mfma_f32_16x16x16_f16 a[24:27], v[34:35], v[32:33], a[24:27]
	ds_read_u16 v35, v158 offset:256
	ds_read_u16 v108, v158 offset:288
	;; [unrolled: 1-line block ×8, first 2 shown]
	s_waitcnt lgkmcnt(14)
	v_perm_b32 v34, v101, v37, s48
	s_waitcnt lgkmcnt(7)
	v_perm_b32 v35, v35, v107, s48
	v_mfma_f32_16x16x16_f16 a[28:31], v[40:41], v[32:33], a[28:31]
	v_perm_b32 v40, v111, v42, s48
	s_waitcnt lgkmcnt(6)
	v_perm_b32 v41, v108, v113, s48
	v_accvgpr_write_b32 a32, v179
	v_accvgpr_write_b32 a34, v180
	;; [unrolled: 1-line block ×4, first 2 shown]
	v_mfma_f32_16x16x16_f16 a[32:35], v[34:35], v[32:33], a[32:35]
	v_perm_b32 v34, v112, v43, s48
	s_waitcnt lgkmcnt(5)
	v_perm_b32 v35, v114, v121, s48
	v_accvgpr_write_b32 a40, v173
	v_mfma_f32_16x16x16_f16 a[36:39], v[40:41], v[32:33], a[36:39]
	v_perm_b32 v40, v116, v45, s48
	s_waitcnt lgkmcnt(4)
	v_perm_b32 v41, v122, v123, s48
	v_accvgpr_write_b32 a42, v182
	v_accvgpr_write_b32 a44, v183
	;; [unrolled: 1-line block ×3, first 2 shown]
	v_mfma_f32_16x16x16_f16 a[40:43], v[34:35], v[32:33], a[40:43]
	v_perm_b32 v34, v117, v105, s48
	s_waitcnt lgkmcnt(3)
	v_perm_b32 v35, v128, v124, s48
	v_accvgpr_write_b32 a48, v185
	v_mfma_f32_16x16x16_f16 a[44:47], v[40:41], v[32:33], a[44:47]
	v_perm_b32 v40, v118, v106, s48
	s_waitcnt lgkmcnt(2)
	v_perm_b32 v41, v129, v125, s48
	v_accvgpr_write_b32 a50, v186
	v_accvgpr_write_b32 a52, v187
	;; [unrolled: 1-line block ×3, first 2 shown]
	v_cvt_f32_f16_e32 v189, v104
	v_cvt_f32_f16_sdwa v104, v104 dst_sel:DWORD dst_unused:UNUSED_PAD src0_sel:WORD_1
	v_cvt_f32_f16_e32 v190, v103
	v_cvt_f32_f16_sdwa v103, v103 dst_sel:DWORD dst_unused:UNUSED_PAD src0_sel:WORD_1
	;; [unrolled: 2-line block ×4, first 2 shown]
	v_mfma_f32_16x16x16_f16 a[48:51], v[34:35], v[32:33], a[48:51]
	v_perm_b32 v34, v119, v109, s48
	s_waitcnt lgkmcnt(1)
	v_perm_b32 v35, v130, v126, s48
	v_accvgpr_write_b32 a56, v189
	v_mfma_f32_16x16x16_f16 a[52:55], v[40:41], v[32:33], a[52:55]
	v_perm_b32 v40, v120, v110, s48
	s_waitcnt lgkmcnt(0)
	v_perm_b32 v41, v131, v127, s48
	v_accvgpr_write_b32 a57, v104
	v_accvgpr_write_b32 a58, v190
	;; [unrolled: 1-line block ×7, first 2 shown]
	v_mfma_f32_16x16x16_f16 a[56:59], v[34:35], v[32:33], a[56:59]
	v_accvgpr_read_b32 v34, a2
	v_accvgpr_read_b32 v35, a3
	;; [unrolled: 1-line block ×3, first 2 shown]
	v_mfma_f32_16x16x16_f16 a[60:63], v[40:41], v[32:33], a[60:63]
	v_accvgpr_read_b32 v32, a0
	v_accvgpr_read_b32 v33, a1
	;; [unrolled: 1-line block ×61, first 2 shown]
	v_cvt_pk_f16_f32 v102, v101, v102
	v_cvt_pk_f16_f32 v101, v185, v186
	;; [unrolled: 1-line block ×32, first 2 shown]
	s_barrier
	s_cbranch_vccz .LBB30_391
; %bb.387:                              ;   in Loop: Header=BB30_367 Depth=1
	v_mov_b32_e32 v161, v36
	v_mov_b32_e32 v162, v38
	s_andn2_b64 vcc, exec, s[34:35]
	s_ashr_i32 s37, s36, 31
	s_cbranch_vccz .LBB30_364
	s_branch .LBB30_367
.LBB30_388:                             ;   in Loop: Header=BB30_367 Depth=1
                                        ; implicit-def: $vgpr32_vgpr33_vgpr34_vgpr35
	s_branch .LBB30_385
.LBB30_389:
                                        ; implicit-def: $sgpr6_sgpr7
	s_load_dwordx2 s[94:95], s[0:1], 0x5c
	v_mov_b64_e32 v[42:43], s[6:7]
	s_branch .LBB30_7
.LBB30_390:
	v_mov_b32_e32 v38, 0xfeffffff
	v_mov_b32_e32 v36, 0
	;; [unrolled: 1-line block ×34, first 2 shown]
.LBB30_391:
	s_lshl_b32 s2, s40, 6
	v_readlane_b32 s0, v255, 4
	s_sub_i32 s22, s0, s2
	s_cmp_lg_u64 s[30:31], 0
	s_cselect_b64 s[18:19], -1, 0
	s_ashr_i32 s3, s2, 31
	s_cmp_eq_u64 s[30:31], 0
	v_readlane_b32 s1, v255, 5
	s_cbranch_scc1 .LBB30_401
; %bb.392:
	s_lshl_b64 s[0:1], s[2:3], 1
	s_add_u32 s0, s30, s0
	s_addc_u32 s1, s31, s1
	v_mov_b32_e32 v47, 0
	v_cmp_gt_i32_e32 vcc, s22, v64
	v_lshl_add_u64 v[32:33], s[0:1], 0, v[46:47]
	v_mov_b32_e32 v35, 0
	s_and_saveexec_b64 s[0:1], vcc
	s_cbranch_execz .LBB30_394
; %bb.393:
	v_mul_hi_u32 v34, s94, v135
	v_add_u32_e32 v34, v135, v34
	v_lshrrev_b32_e32 v34, s95, v34
	v_mul_lo_u32 v34, v34, s76
	v_sub_u32_e32 v34, v135, v34
	v_mad_i64_i32 v[34:35], s[4:5], v34, s56, 0
	v_lshl_add_u64 v[34:35], v[34:35], 1, v[32:33]
	global_load_ushort v35, v[34:35], off
.LBB30_394:
	s_or_b64 exec, exec, s[0:1]
	s_movk_i32 s0, 0x90
	v_mad_u32_u24 v34, v174, s0, 0
	v_lshl_add_u32 v37, v64, 1, v34
	s_waitcnt vmcnt(0)
	ds_write_b16 v37, v35 offset:33792
	s_and_saveexec_b64 s[0:1], vcc
	s_cbranch_execz .LBB30_396
; %bb.395:
	v_mul_hi_u32 v35, s94, v136
	v_add_u32_e32 v35, v136, v35
	v_lshrrev_b32_e32 v35, s95, v35
	v_mul_lo_u32 v35, v35, s76
	v_sub_u32_e32 v35, v136, v35
	v_mad_i64_i32 v[40:41], s[4:5], v35, s56, 0
	v_lshl_add_u64 v[40:41], v[40:41], 1, v[32:33]
	global_load_ushort v47, v[40:41], off
.LBB30_396:
	s_or_b64 exec, exec, s[0:1]
	v_add_u32_e32 v34, 0x240, v34
	v_lshl_add_u32 v35, v64, 1, v34
	s_waitcnt vmcnt(0)
	ds_write_b16 v35, v47 offset:33792
	v_mov_b32_e32 v35, 0
	v_mov_b32_e32 v37, 0
	s_and_saveexec_b64 s[0:1], vcc
	s_cbranch_execz .LBB30_398
; %bb.397:
	v_mul_hi_u32 v37, s94, v137
	v_add_u32_e32 v37, v137, v37
	v_lshrrev_b32_e32 v37, s95, v37
	v_mul_lo_u32 v37, v37, s76
	v_sub_u32_e32 v37, v137, v37
	v_mad_i64_i32 v[40:41], s[4:5], v37, s56, 0
	v_lshl_add_u64 v[40:41], v[40:41], 1, v[32:33]
	global_load_ushort v37, v[40:41], off
.LBB30_398:
	s_or_b64 exec, exec, s[0:1]
	v_add_u32_e32 v34, 0x240, v34
	v_lshl_add_u32 v34, v64, 1, v34
	s_waitcnt vmcnt(0)
	ds_write_b16 v34, v37 offset:33792
	s_and_saveexec_b64 s[0:1], vcc
	s_cbranch_execz .LBB30_400
; %bb.399:
	v_mul_hi_u32 v35, s94, v138
	v_add_u32_e32 v35, v138, v35
	v_lshrrev_b32_e32 v35, s95, v35
	v_mul_lo_u32 v35, v35, s76
	v_sub_u32_e32 v35, v138, v35
	v_mad_i64_i32 v[40:41], s[4:5], v35, s56, 0
	v_lshl_add_u64 v[32:33], v[40:41], 1, v[32:33]
	global_load_ushort v35, v[32:33], off
.LBB30_400:
	s_or_b64 exec, exec, s[0:1]
	s_waitcnt vmcnt(0)
	ds_write_b16 v34, v35 offset:34368
.LBB30_401:
	s_mul_hi_i32 s5, s2, s92
	s_mul_i32 s4, s2, s92
	s_lshl_b64 s[4:5], s[4:5], 2
	v_lshl_add_u32 v34, v174, 1, v139
	s_add_u32 s4, s39, s4
	v_mul_lo_u32 v46, s92, v34
	s_addc_u32 s5, s41, s5
	v_and_b32_e32 v32, 0x7c, v65
	v_ashrrev_i32_e32 v47, 31, v46
	s_mov_b64 s[0:1], src_private_base
	v_mov_b32_e32 v33, 0
	v_lshlrev_b32_e32 v32, 2, v32
	v_lshl_add_u64 v[40:41], v[46:47], 2, s[4:5]
	v_lshl_add_u64 v[40:41], v[40:41], 0, v[32:33]
	v_mov_b32_e32 v35, s1
	v_cmp_gt_i32_e64 s[6:7], s22, v34
	v_mov_b32_e32 v39, 0
	v_mov_b32_e32 v48, v33
	;; [unrolled: 1-line block ×5, first 2 shown]
	v_cndmask_b32_e64 v41, v35, v41, s[6:7]
	v_cndmask_b32_e64 v40, v39, v40, s[6:7]
	scratch_store_dwordx4 off, v[48:51], off
	flat_load_dwordx4 v[40:43], v[40:41]
	s_lshl_b32 s3, s92, 3
	v_add_u32_e32 v46, s3, v46
	v_ashrrev_i32_e32 v47, 31, v46
	v_mul_u32_u24_e32 v37, 0x210, v34
	v_add_u32_e32 v45, 8, v34
	v_lshl_add_u64 v[48:49], v[46:47], 2, s[4:5]
	v_add3_u32 v37, 0, v37, v32
	v_lshl_add_u64 v[48:49], v[48:49], 0, v[32:33]
	v_cmp_gt_i32_e64 s[8:9], s22, v45
	v_add_u32_e32 v46, s3, v46
	v_ashrrev_i32_e32 v47, 31, v46
	v_cndmask_b32_e64 v49, v35, v49, s[8:9]
	v_cndmask_b32_e64 v48, v39, v48, s[8:9]
	v_add_u32_e32 v45, 16, v34
	v_cmp_gt_i32_e64 s[10:11], s22, v45
	v_add_u32_e32 v45, 24, v34
	v_cmp_gt_i32_e64 s[12:13], s22, v45
	;; [unrolled: 2-line block ×5, first 2 shown]
	v_add_u32_e32 v45, 56, v34
	s_waitcnt vmcnt(0) lgkmcnt(0)
	ds_write_b128 v37, v[40:43]
	flat_load_dwordx4 v[40:43], v[48:49]
	v_lshl_add_u64 v[48:49], v[46:47], 2, s[4:5]
	v_lshl_add_u64 v[48:49], v[48:49], 0, v[32:33]
	v_cndmask_b32_e64 v49, v35, v49, s[10:11]
	v_cndmask_b32_e64 v48, v39, v48, s[10:11]
	v_add_u32_e32 v46, s3, v46
	v_ashrrev_i32_e32 v47, 31, v46
	s_waitcnt vmcnt(0) lgkmcnt(0)
	ds_write_b128 v37, v[40:43] offset:4224
	flat_load_dwordx4 v[40:43], v[48:49]
	v_lshl_add_u64 v[48:49], v[46:47], 2, s[4:5]
	v_lshl_add_u64 v[48:49], v[48:49], 0, v[32:33]
	v_cndmask_b32_e64 v49, v35, v49, s[12:13]
	v_cndmask_b32_e64 v48, v39, v48, s[12:13]
	v_add_u32_e32 v46, s3, v46
	v_ashrrev_i32_e32 v47, 31, v46
	s_waitcnt vmcnt(0) lgkmcnt(0)
	ds_write_b128 v37, v[40:43] offset:8448
	;; [unrolled: 9-line block ×4, first 2 shown]
	flat_load_dwordx4 v[40:43], v[48:49]
	v_lshl_add_u64 v[48:49], v[46:47], 2, s[4:5]
	v_lshl_add_u64 v[48:49], v[48:49], 0, v[32:33]
	v_cndmask_b32_e64 v49, v35, v49, s[16:17]
	v_cndmask_b32_e64 v48, v39, v48, s[16:17]
	v_add_u32_e32 v46, s3, v46
	v_ashrrev_i32_e32 v47, 31, v46
	v_lshl_add_u64 v[46:47], v[46:47], 2, s[4:5]
	v_lshl_add_u64 v[46:47], v[46:47], 0, v[32:33]
	v_cmp_gt_i32_e64 s[4:5], s22, v45
	s_movk_i32 s3, 0x210
	v_and_b32_e32 v33, 48, v193
	v_cndmask_b32_e64 v47, v35, v47, s[4:5]
	v_cndmask_b32_e64 v46, v39, v46, s[4:5]
	v_mad_u32_u24 v39, v33, s3, 0
	v_add3_u32 v35, v39, v134, v97
	s_mov_b32 s3, 0x3f200000
	s_waitcnt vmcnt(0) lgkmcnt(0)
	ds_write_b128 v37, v[40:43] offset:21120
	flat_load_dwordx4 v[40:43], v[48:49]
	s_waitcnt vmcnt(0) lgkmcnt(0)
	ds_write_b128 v37, v[40:43] offset:25344
	flat_load_dwordx4 v[40:43], v[46:47]
	s_waitcnt vmcnt(0) lgkmcnt(0)
	ds_write_b128 v37, v[40:43] offset:29568
	s_waitcnt lgkmcnt(0)
	s_barrier
	ds_read2_b64 v[40:43], v35 offset1:4
	s_waitcnt lgkmcnt(0)
	v_mfma_f32_16x16x16_f16 a[0:3], v[40:41], v[28:29], 0
	v_mfma_f32_16x16x16_f16 a[0:3], v[42:43], v[30:31], a[0:3]
	ds_read2_b64 v[28:31], v35 offset0:8 offset1:12
	s_waitcnt lgkmcnt(0)
	v_mfma_f32_16x16x16_f16 a[0:3], v[28:29], v[24:25], a[0:3]
	v_mfma_f32_16x16x16_f16 a[0:3], v[30:31], v[26:27], a[0:3]
	ds_read2_b64 v[24:27], v35 offset0:16 offset1:20
	;; [unrolled: 4-line block ×7, first 2 shown]
	s_waitcnt lgkmcnt(0)
	s_barrier
	v_mfma_f32_16x16x16_f16 a[0:3], v[4:5], v[0:1], a[0:3]
                                        ; implicit-def: $vgpr5
	v_mfma_f32_16x16x16_f16 a[0:3], v[6:7], v[2:3], a[0:3]
	s_nop 7
	v_accvgpr_read_b32 v4, a0
	v_cmp_nlt_f32_e64 s[20:21], |v4|, s3
	s_and_saveexec_b64 s[24:25], s[20:21]
	s_xor_b64 s[20:21], exec, s[24:25]
	s_cbranch_execz .LBB30_403
; %bb.402:
	v_add_f32_e64 v0, |v4|, |v4|
	v_mul_f32_e32 v1, 0x3fb8aa3b, v0
	s_mov_b32 s3, 0x3fb8aa3b
	v_rndne_f32_e32 v2, v1
	v_sub_f32_e32 v3, v1, v2
	v_fma_f32 v1, v0, s3, -v1
	v_fmamk_f32 v1, v0, 0x32a5705f, v1
	v_add_f32_e32 v1, v3, v1
	v_exp_f32_e32 v1, v1
	v_cvt_i32_f32_e32 v2, v2
	s_mov_b32 s3, 0xc2ce8ed0
	v_cmp_ngt_f32_e32 vcc, s3, v0
	s_mov_b32 s3, 0x42b17218
	v_ldexp_f32 v1, v1, v2
	v_cndmask_b32_e32 v1, 0, v1, vcc
	v_mov_b32_e32 v2, 0x7f800000
	v_cmp_nlt_f32_e32 vcc, s3, v0
	s_nop 1
	v_cndmask_b32_e32 v0, v2, v1, vcc
	v_add_f32_e32 v0, 1.0, v0
	v_rcp_f32_e32 v0, v0
	s_nop 0
	v_fma_f32 v5, v0, -2.0, 1.0
.LBB30_403:
	s_or_saveexec_b64 s[20:21], s[20:21]
	v_accvgpr_read_b32 v0, a0
	v_accvgpr_read_b32 v1, a1
	;; [unrolled: 1-line block ×4, first 2 shown]
	s_xor_b64 exec, exec, s[20:21]
; %bb.404:
	v_mul_f32_e32 v0, v4, v4
	v_mov_b32_e32 v5, 0x3ca908c9
	v_fmac_f32_e32 v5, 0xbbbac73d, v0
	v_fmaak_f32 v5, v0, v5, 0xbd5c1c4e
	v_fmaak_f32 v5, v0, v5, 0x3e088382
	;; [unrolled: 1-line block ×3, first 2 shown]
	v_mul_f32_e64 v5, |v4|, v5
	v_fma_f32 v5, v0, v5, |v4|
; %bb.405:
	s_or_b64 exec, exec, s[20:21]
	s_mov_b32 s3, 0x3f200000
	v_cmp_nlt_f32_e64 s[20:21], |v1|, s3
                                        ; implicit-def: $vgpr0
	s_and_saveexec_b64 s[24:25], s[20:21]
	s_xor_b64 s[20:21], exec, s[24:25]
	s_cbranch_execz .LBB30_407
; %bb.406:
	v_add_f32_e64 v0, |v1|, |v1|
	v_mul_f32_e32 v6, 0x3fb8aa3b, v0
	s_mov_b32 s3, 0x3fb8aa3b
	v_rndne_f32_e32 v7, v6
	v_sub_f32_e32 v8, v6, v7
	v_fma_f32 v6, v0, s3, -v6
	v_fmamk_f32 v6, v0, 0x32a5705f, v6
	v_add_f32_e32 v6, v8, v6
	v_exp_f32_e32 v6, v6
	v_cvt_i32_f32_e32 v7, v7
	s_mov_b32 s3, 0xc2ce8ed0
	v_cmp_ngt_f32_e32 vcc, s3, v0
	s_mov_b32 s3, 0x42b17218
	v_ldexp_f32 v6, v6, v7
	v_cndmask_b32_e32 v6, 0, v6, vcc
	v_mov_b32_e32 v7, 0x7f800000
	v_cmp_nlt_f32_e32 vcc, s3, v0
	s_nop 1
	v_cndmask_b32_e32 v0, v7, v6, vcc
	v_add_f32_e32 v0, 1.0, v0
	v_rcp_f32_e32 v0, v0
	s_nop 0
	v_fma_f32 v0, v0, -2.0, 1.0
.LBB30_407:
	s_andn2_saveexec_b64 s[20:21], s[20:21]
; %bb.408:
	v_mul_f32_e32 v0, v1, v1
	v_mov_b32_e32 v6, 0x3ca908c9
	v_fmac_f32_e32 v6, 0xbbbac73d, v0
	v_fmaak_f32 v6, v0, v6, 0xbd5c1c4e
	v_fmaak_f32 v6, v0, v6, 0x3e088382
	;; [unrolled: 1-line block ×3, first 2 shown]
	v_mul_f32_e64 v6, |v1|, v6
	v_fma_f32 v0, v0, v6, |v1|
; %bb.409:
	s_or_b64 exec, exec, s[20:21]
	s_mov_b32 s3, 0x3f200000
	v_cmp_nlt_f32_e64 s[20:21], |v2|, s3
                                        ; implicit-def: $vgpr6
	s_and_saveexec_b64 s[24:25], s[20:21]
	s_xor_b64 s[20:21], exec, s[24:25]
	s_cbranch_execz .LBB30_411
; %bb.410:
	v_add_f32_e64 v6, |v2|, |v2|
	v_mul_f32_e32 v7, 0x3fb8aa3b, v6
	s_mov_b32 s3, 0x3fb8aa3b
	v_rndne_f32_e32 v8, v7
	v_sub_f32_e32 v9, v7, v8
	v_fma_f32 v7, v6, s3, -v7
	v_fmamk_f32 v7, v6, 0x32a5705f, v7
	v_add_f32_e32 v7, v9, v7
	v_exp_f32_e32 v7, v7
	v_cvt_i32_f32_e32 v8, v8
	s_mov_b32 s3, 0xc2ce8ed0
	v_cmp_ngt_f32_e32 vcc, s3, v6
	s_mov_b32 s3, 0x42b17218
	v_ldexp_f32 v7, v7, v8
	v_cndmask_b32_e32 v7, 0, v7, vcc
	v_mov_b32_e32 v8, 0x7f800000
	v_cmp_nlt_f32_e32 vcc, s3, v6
	s_nop 1
	v_cndmask_b32_e32 v6, v8, v7, vcc
	v_add_f32_e32 v6, 1.0, v6
	v_rcp_f32_e32 v6, v6
	s_nop 0
	v_fma_f32 v6, v6, -2.0, 1.0
.LBB30_411:
	s_andn2_saveexec_b64 s[20:21], s[20:21]
; %bb.412:
	v_mul_f32_e32 v6, v2, v2
	v_mov_b32_e32 v7, 0x3ca908c9
	v_fmac_f32_e32 v7, 0xbbbac73d, v6
	v_fmaak_f32 v7, v6, v7, 0xbd5c1c4e
	v_fmaak_f32 v7, v6, v7, 0x3e088382
	;; [unrolled: 1-line block ×3, first 2 shown]
	v_mul_f32_e64 v7, |v2|, v7
	v_fma_f32 v6, v6, v7, |v2|
; %bb.413:
	s_or_b64 exec, exec, s[20:21]
	s_mov_b32 s3, 0x3f200000
	v_cmp_nlt_f32_e64 s[20:21], |v3|, s3
                                        ; implicit-def: $vgpr7
	s_and_saveexec_b64 s[24:25], s[20:21]
	s_xor_b64 s[20:21], exec, s[24:25]
	s_cbranch_execz .LBB30_415
; %bb.414:
	v_add_f32_e64 v7, |v3|, |v3|
	v_mul_f32_e32 v8, 0x3fb8aa3b, v7
	s_mov_b32 s3, 0x3fb8aa3b
	v_rndne_f32_e32 v9, v8
	v_sub_f32_e32 v10, v8, v9
	v_fma_f32 v8, v7, s3, -v8
	v_fmamk_f32 v8, v7, 0x32a5705f, v8
	v_add_f32_e32 v8, v10, v8
	v_exp_f32_e32 v8, v8
	v_cvt_i32_f32_e32 v9, v9
	s_mov_b32 s3, 0xc2ce8ed0
	v_cmp_ngt_f32_e32 vcc, s3, v7
	s_mov_b32 s3, 0x42b17218
	v_ldexp_f32 v8, v8, v9
	v_cndmask_b32_e32 v8, 0, v8, vcc
	v_mov_b32_e32 v9, 0x7f800000
	v_cmp_nlt_f32_e32 vcc, s3, v7
	s_nop 1
	v_cndmask_b32_e32 v7, v9, v8, vcc
	v_add_f32_e32 v7, 1.0, v7
	v_rcp_f32_e32 v7, v7
	s_nop 0
	v_fma_f32 v7, v7, -2.0, 1.0
.LBB30_415:
	s_andn2_saveexec_b64 s[20:21], s[20:21]
; %bb.416:
	v_mul_f32_e32 v7, v3, v3
	v_mov_b32_e32 v8, 0x3ca908c9
	v_fmac_f32_e32 v8, 0xbbbac73d, v7
	v_fmaak_f32 v8, v7, v8, 0xbd5c1c4e
	v_fmaak_f32 v8, v7, v8, 0x3e088382
	;; [unrolled: 1-line block ×3, first 2 shown]
	v_mul_f32_e64 v8, |v3|, v8
	v_fma_f32 v7, v7, v8, |v3|
; %bb.417:
	s_or_b64 exec, exec, s[20:21]
	s_brev_b32 s3, -2
	v_bfi_b32 v0, s3, v0, v1
	v_bfi_b32 v4, s3, v5, v4
	v_mul_f32_e32 v5, s89, v0
	v_bfi_b32 v0, s3, v6, v2
	v_mul_f32_e32 v6, s89, v0
	;; [unrolled: 2-line block ×3, first 2 shown]
	v_mul_f32_e32 v7, s89, v0
	s_and_b64 vcc, exec, s[18:19]
	s_cbranch_vccz .LBB30_419
; %bb.418:
	v_lshrrev_b32_e32 v14, 2, v64
	v_and_b32_e32 v10, 0xfc, v14
	v_add_u16_e32 v1, v10, v33
	s_movk_i32 s3, 0x90
	v_lshrrev_b16_e32 v1, 1, v1
	v_mad_u32_u24 v0, v115, s3, 0
	v_lshlrev_b32_e32 v1, 2, v1
	s_mov_b32 s3, 0x8400
	v_add3_u32 v0, v0, v1, s3
	ds_read2_b32 v[0:1], v0 offset1:1
	v_add_u32_e32 v13, v10, v33
	s_mov_b64 s[18:19], 0
	s_waitcnt lgkmcnt(0)
	v_cvt_f32_f16_e32 v8, v0
	v_cvt_f32_f16_e32 v2, v1
	v_cvt_f32_f16_sdwa v3, v1 dst_sel:DWORD dst_unused:UNUSED_PAD src0_sel:WORD_1
	v_cvt_f32_f16_sdwa v9, v0 dst_sel:DWORD dst_unused:UNUSED_PAD src0_sel:WORD_1
	v_pk_fma_f32 v[2:3], v[44:45], v[2:3], v[6:7] op_sel_hi:[0,1,1]
	v_pk_fma_f32 v[0:1], v[44:45], v[8:9], v[4:5] op_sel_hi:[0,1,1]
	s_branch .LBB30_420
.LBB30_419:
	s_mov_b64 s[18:19], -1
                                        ; implicit-def: $vgpr0_vgpr1_vgpr2_vgpr3
                                        ; implicit-def: $vgpr14
                                        ; implicit-def: $vgpr10
                                        ; implicit-def: $vgpr13
.LBB30_420:
	v_add_u32_e32 v17, 0x1080, v37
	v_add_u32_e32 v16, 0x2100, v37
	;; [unrolled: 1-line block ×6, first 2 shown]
	s_andn2_b64 vcc, exec, s[18:19]
	v_add_u32_e32 v8, 0x7380, v37
	s_cbranch_vccnz .LBB30_422
; %bb.421:
	v_and_b32_e32 v10, 0xfc, v100
	v_mov_b64_e32 v[0:1], v[4:5]
	v_add_u32_e32 v13, v10, v33
	v_mov_b32_e32 v14, v100
	v_mov_b64_e32 v[2:3], v[6:7]
.LBB30_422:
	s_mul_hi_i32 s3, s2, s78
	s_mul_i32 s2, s2, s78
	s_lshl_b64 s[2:3], s[2:3], 2
	s_add_u32 s2, s33, s2
	v_mul_lo_u32 v4, s78, v34
	s_addc_u32 s3, s38, s3
	v_ashrrev_i32_e32 v5, 31, v4
	s_mov_b64 s[18:19], src_private_base
	v_lshl_add_u64 v[6:7], v[4:5], 2, s[2:3]
	v_mov_b32_e32 v33, 0
	v_lshl_add_u64 v[6:7], v[6:7], 0, v[32:33]
	v_mov_b32_e32 v40, s19
	v_mov_b32_e32 v41, 0
	v_cndmask_b32_e64 v7, v40, v7, s[6:7]
	v_cndmask_b32_e64 v6, v41, v6, s[6:7]
	s_lshl_b32 s6, s78, 3
	v_add_u32_e32 v4, s6, v4
	v_ashrrev_i32_e32 v5, 31, v4
	v_lshl_add_u64 v[18:19], v[4:5], 2, s[2:3]
	v_add_u32_e32 v4, s6, v4
	v_ashrrev_i32_e32 v5, 31, v4
	v_lshl_add_u64 v[20:21], v[4:5], 2, s[2:3]
	;; [unrolled: 3-line block ×7, first 2 shown]
	v_lshl_add_u64 v[18:19], v[18:19], 0, v[32:33]
	v_lshl_add_u64 v[20:21], v[20:21], 0, v[32:33]
	;; [unrolled: 1-line block ×7, first 2 shown]
	v_mov_b32_e32 v32, v33
	v_mov_b32_e32 v34, v33
	;; [unrolled: 1-line block ×3, first 2 shown]
	scratch_store_dwordx4 off, v[32:35], off
	flat_load_dwordx4 v[4:7], v[6:7]
	v_cndmask_b32_e64 v19, v40, v19, s[8:9]
	v_cndmask_b32_e64 v18, v41, v18, s[8:9]
	v_mbcnt_hi_u32_b32 v32, -1, v99
	v_xor_b32_e32 v34, 32, v32
	v_cmp_gt_u32_e32 vcc, s22, v13
	v_xor_b32_e32 v35, 16, v32
	v_mov_b32_e32 v33, 0x7f800000
	s_mov_b32 s3, 0
	s_mov_b32 s18, 0xc1a00000
	;; [unrolled: 1-line block ×3, first 2 shown]
	s_waitcnt vmcnt(0) lgkmcnt(0)
	ds_write_b128 v37, v[4:7]
	flat_load_dwordx4 v[4:7], v[18:19]
	v_cndmask_b32_e64 v19, v40, v21, s[10:11]
	v_cndmask_b32_e64 v18, v41, v20, s[10:11]
	v_add_f32_e32 v20, 0x40051340, v1
	v_mov_b32_e32 v21, s3
	s_waitcnt vmcnt(0) lgkmcnt(0)
	ds_write_b128 v17, v[4:7]
	flat_load_dwordx4 v[4:7], v[18:19]
	v_cndmask_b32_e64 v19, v40, v23, s[12:13]
	v_cndmask_b32_e64 v18, v41, v22, s[12:13]
	;; [unrolled: 1-line block ×3, first 2 shown]
	v_add_u32_e32 v22, 2, v13
	v_add_f32_e32 v23, 0x40051340, v2
	v_cmp_gt_u32_e64 s[8:9], s22, v22
	v_cndmask_b32_e64 v22, v41, v26, s[0:1]
	v_add_f32_e32 v25, 0x40051340, v3
	s_mov_b32 s13, 0x3fb8aa3b
	s_movk_i32 s12, 0x210
	s_waitcnt vmcnt(0) lgkmcnt(0)
	ds_write_b128 v16, v[4:7]
	flat_load_dwordx4 v[4:7], v[18:19]
	v_cndmask_b32_e64 v16, v41, v24, s[14:15]
	v_add_u32_e32 v24, 3, v13
	v_cmp_gt_u32_e64 s[10:11], s22, v24
	v_cndmask_b32_e64 v24, v41, v28, s[16:17]
	s_mov_b32 s14, 0xc2ce8ed0
	s_mov_b32 s15, 0x42b17218
	s_waitcnt vmcnt(0) lgkmcnt(0)
	ds_write_b128 v15, v[4:7]
	flat_load_dwordx4 v[16:19], v[16:17]
	v_add_f32_e32 v4, 0x40051340, v0
	v_max_f32_e32 v5, v38, v38
	v_max_f32_e32 v4, v5, v4
	v_and_b32_e32 v5, 64, v32
	v_add_u32_e32 v5, 64, v5
	v_cndmask_b32_e32 v4, v38, v4, vcc
	v_cmp_lt_i32_e64 s[6:7], v34, v5
	v_add_u32_e32 v6, 1, v13
	v_max_f32_e32 v13, v4, v4
	v_cndmask_b32_e64 v34, v32, v34, s[6:7]
	v_cmp_lt_i32_e64 s[6:7], v35, v5
	v_max_f32_e32 v13, v13, v20
	v_lshlrev_b32_e32 v69, 2, v34
	v_cndmask_b32_e64 v5, v32, v35, s[6:7]
	v_cmp_gt_u32_e64 s[6:7], s22, v6
	v_lshlrev_b32_e32 v67, 2, v5
	v_mul_u32_u24_e32 v7, 0x210, v10
	v_cndmask_b32_e64 v4, v4, v13, s[6:7]
	v_max_f32_e32 v5, v4, v4
	v_max_f32_e32 v5, v5, v23
	v_cndmask_b32_e64 v23, v40, v27, s[0:1]
	v_cndmask_b32_e64 v4, v4, v5, s[8:9]
	v_max_f32_e32 v5, v4, v4
	v_max_f32_e32 v5, v5, v25
	v_cndmask_b32_e64 v4, v4, v5, s[10:11]
	ds_bpermute_b32 v5, v69, v4
	v_max_f32_e32 v4, v4, v4
	v_cndmask_b32_e64 v25, v40, v29, s[16:17]
	v_or_b32_e32 v10, 3, v14
	v_mul_i32_i24_e32 v37, 0x210, v10
	s_waitcnt lgkmcnt(0)
	v_max_f32_e32 v5, v5, v5
	v_max_f32_e32 v6, v4, v5
	ds_bpermute_b32 v13, v67, v6
	v_cndmask_b32_e64 v4, v41, v30, s[4:5]
	v_cndmask_b32_e64 v5, v40, v31, s[4:5]
	v_add3_u32 v10, v39, v7, v98
	v_add3_u32 v7, v39, v37, v98
	v_mov_b32_e32 v15, s3
	v_mov_b32_e32 v14, s3
	s_waitcnt vmcnt(0)
	ds_write_b128 v12, v[16:19]
	flat_load_dwordx4 v[16:19], v[22:23]
	s_waitcnt lgkmcnt(0)
	v_max_f32_e32 v12, v13, v13
	v_max_f32_e32 v6, v6, v12
	v_sub_f32_e32 v0, v0, v6
	v_sub_f32_e32 v1, v1, v6
	v_mul_f32_e32 v12, 0x3fb8aa3b, v0
	v_sub_f32_e32 v2, v2, v6
	v_mul_f32_e32 v20, 0x3fb8aa3b, v1
	v_fma_f32 v27, v0, s13, -v12
	v_rndne_f32_e32 v28, v12
	v_sub_f32_e32 v3, v3, v6
	v_mul_f32_e32 v22, 0x3fb8aa3b, v2
	v_fma_f32 v29, v1, s13, -v20
	v_rndne_f32_e32 v30, v20
	v_fmac_f32_e32 v27, 0x32a5705f, v0
	v_sub_f32_e32 v12, v12, v28
	v_sub_f32_e32 v13, v38, v6
	v_mul_f32_e32 v23, 0x3fb8aa3b, v3
	v_fma_f32 v31, v2, s13, -v22
	v_rndne_f32_e32 v32, v22
	v_fmac_f32_e32 v29, 0x32a5705f, v1
	v_sub_f32_e32 v20, v20, v30
	v_add_f32_e32 v12, v12, v27
	v_mul_f32_e32 v26, 0x3fb8aa3b, v13
	v_fma_f32 v34, v3, s13, -v23
	v_rndne_f32_e32 v35, v23
	v_cvt_i32_f32_e32 v28, v28
	v_fmac_f32_e32 v31, 0x32a5705f, v2
	v_sub_f32_e32 v22, v22, v32
	v_add_f32_e32 v20, v20, v29
	v_exp_f32_e32 v12, v12
	v_fma_f32 v37, v13, s13, -v26
	v_rndne_f32_e32 v38, v26
	v_cvt_i32_f32_e32 v30, v30
	v_fmac_f32_e32 v34, 0x32a5705f, v3
	v_sub_f32_e32 v23, v23, v35
	v_add_f32_e32 v22, v22, v31
	v_exp_f32_e32 v20, v20
	v_cvt_i32_f32_e32 v32, v32
	v_fmac_f32_e32 v37, 0x32a5705f, v13
	v_sub_f32_e32 v26, v26, v38
	v_add_f32_e32 v23, v23, v34
	v_exp_f32_e32 v22, v22
	v_cvt_i32_f32_e32 v35, v35
	v_add_f32_e32 v26, v26, v37
	v_exp_f32_e32 v23, v23
	v_cvt_i32_f32_e32 v38, v38
	v_exp_f32_e32 v26, v26
	v_ldexp_f32 v12, v12, v28
	v_cmp_ngt_f32_e64 s[0:1], s14, v0
	v_ldexp_f32 v20, v20, v30
	v_ldexp_f32 v22, v22, v32
	v_cndmask_b32_e64 v12, 0, v12, s[0:1]
	v_cmp_ngt_f32_e64 s[0:1], s14, v1
	v_ldexp_f32 v23, v23, v35
	v_ldexp_f32 v26, v26, v38
	v_cndmask_b32_e64 v20, 0, v20, s[0:1]
	v_cmp_ngt_f32_e64 s[0:1], s14, v2
	s_waitcnt vmcnt(0)
	ds_write_b128 v11, v[16:19]
	v_cndmask_b32_e64 v22, 0, v22, s[0:1]
	v_cmp_ngt_f32_e64 s[0:1], s14, v3
	s_nop 1
	v_cndmask_b32_e64 v23, 0, v23, s[0:1]
	v_cmp_ngt_f32_e64 s[0:1], s14, v13
	s_nop 1
	v_cndmask_b32_e64 v26, 0, v26, s[0:1]
	v_cmp_nlt_f32_e64 s[0:1], s15, v0
	s_nop 1
	v_cndmask_b32_e64 v0, v33, v12, s[0:1]
	v_cmp_nlt_f32_e64 s[0:1], s15, v1
	;; [unrolled: 3-line block ×3, first 2 shown]
	v_cndmask_b32_e32 v2, 0, v0, vcc
	v_cmp_le_f32_e32 vcc, s18, v13
	v_cndmask_b32_e64 v20, v33, v22, s[0:1]
	v_cmp_nlt_f32_e64 s[0:1], s15, v3
	v_cndmask_b32_e64 v3, v15, v1, s[6:7]
	v_cndmask_b32_e64 v12, v14, v20, s[8:9]
	flat_load_dwordx4 v[14:17], v[24:25]
	v_cndmask_b32_e64 v22, v33, v23, s[0:1]
	v_cmp_nlt_f32_e64 s[0:1], s15, v13
	v_cndmask_b32_e64 v0, v21, v22, s[10:11]
	v_add_f32_e32 v21, v1, v2
	v_cndmask_b32_e64 v23, v33, v26, s[0:1]
	v_cndmask_b32_e32 v13, 0, v23, vcc
	v_cvt_f16_f32_e32 v11, v13
	v_cvt_pk_f16_f32 v1, v12, v0
	v_cvt_pk_f16_f32 v0, v2, v3
	v_cndmask_b32_e64 v2, v2, v21, s[6:7]
	v_add_f32_e32 v3, v2, v20
	v_cndmask_b32_e64 v2, v2, v3, s[8:9]
	v_add_f32_e32 v3, v2, v22
	v_mul_u32_u24_e32 v11, 0x10001, v11
	v_cndmask_b32_e64 v12, v2, v3, s[10:11]
	v_pk_mul_f16 v2, v133, v11
	v_pk_mul_f16 v3, v132, v11
	v_fmac_f32_e32 v12, v36, v13
	v_cvt_f32_f16_e32 v13, v2
	v_cvt_f32_f16_sdwa v36, v2 dst_sel:DWORD dst_unused:UNUSED_PAD src0_sel:WORD_1
	v_cvt_f32_f16_e32 v48, v3
	v_cvt_f32_f16_sdwa v49, v3 dst_sel:DWORD dst_unused:UNUSED_PAD src0_sel:WORD_1
	v_pk_mul_f16 v18, v131, v11
	v_pk_mul_f16 v19, v130, v11
	;; [unrolled: 1-line block ×21, first 2 shown]
	v_cvt_f32_f16_e32 v50, v18
	v_cvt_f32_f16_sdwa v18, v18 dst_sel:DWORD dst_unused:UNUSED_PAD src0_sel:WORD_1
	v_cvt_f32_f16_e32 v51, v19
	v_cvt_f32_f16_sdwa v19, v19 dst_sel:DWORD dst_unused:UNUSED_PAD src0_sel:WORD_1
	;; [unrolled: 2-line block ×16, first 2 shown]
	v_cvt_f32_f16_e32 v70, v34
	v_accvgpr_write_b32 a0, v13
	v_accvgpr_write_b32 a1, v36
	;; [unrolled: 1-line block ×3, first 2 shown]
	s_waitcnt vmcnt(0) lgkmcnt(0)
	ds_write_b128 v9, v[14:17]
	flat_load_dwordx4 v[2:5], v[4:5]
	v_cvt_f32_f16_sdwa v9, v34 dst_sel:DWORD dst_unused:UNUSED_PAD src0_sel:WORD_1
	v_cvt_f32_f16_e32 v14, v35
	v_cvt_f32_f16_sdwa v15, v35 dst_sel:DWORD dst_unused:UNUSED_PAD src0_sel:WORD_1
	v_cvt_f32_f16_e32 v16, v37
	;; [unrolled: 2-line block ×4, first 2 shown]
	v_cvt_f32_f16_sdwa v38, v39 dst_sel:DWORD dst_unused:UNUSED_PAD src0_sel:WORD_1
	v_accvgpr_write_b32 a7, v19
	v_accvgpr_write_b32 a9, v20
	;; [unrolled: 1-line block ×34, first 2 shown]
	v_pk_mul_f16 v40, v109, v11
	v_accvgpr_write_b32 a20, v58
	v_cvt_f32_f16_e32 v39, v40
	v_accvgpr_write_b32 a22, v59
	v_accvgpr_write_b32 a24, v60
	;; [unrolled: 1-line block ×9, first 2 shown]
	v_cvt_f32_f16_sdwa v40, v40 dst_sel:DWORD dst_unused:UNUSED_PAD src0_sel:WORD_1
	v_pk_mul_f16 v41, v108, v11
	v_pk_mul_f16 v42, v107, v11
	v_cvt_f32_f16_e32 v71, v41
	v_cvt_f32_f16_sdwa v41, v41 dst_sel:DWORD dst_unused:UNUSED_PAD src0_sel:WORD_1
	v_cvt_f32_f16_e32 v72, v42
	v_cvt_f32_f16_sdwa v42, v42 dst_sel:DWORD dst_unused:UNUSED_PAD src0_sel:WORD_1
	v_pk_mul_f16 v43, v106, v11
	v_pk_mul_f16 v44, v105, v11
	v_accvgpr_write_b32 a47, v40
	v_cvt_f32_f16_e32 v73, v43
	v_cvt_f32_f16_sdwa v43, v43 dst_sel:DWORD dst_unused:UNUSED_PAD src0_sel:WORD_1
	v_cvt_f32_f16_e32 v74, v44
	v_cvt_f32_f16_sdwa v44, v44 dst_sel:DWORD dst_unused:UNUSED_PAD src0_sel:WORD_1
	v_pk_mul_f16 v45, v104, v11
	v_pk_mul_f16 v46, v103, v11
	v_accvgpr_write_b32 a48, v71
	v_accvgpr_write_b32 a49, v41
	;; [unrolled: 1-line block ×4, first 2 shown]
	v_cvt_f32_f16_e32 v75, v45
	v_cvt_f32_f16_sdwa v45, v45 dst_sel:DWORD dst_unused:UNUSED_PAD src0_sel:WORD_1
	v_cvt_f32_f16_e32 v76, v46
	v_cvt_f32_f16_sdwa v46, v46 dst_sel:DWORD dst_unused:UNUSED_PAD src0_sel:WORD_1
	s_waitcnt vmcnt(0) lgkmcnt(0)
	ds_write_b128 v8, v[2:5]
	s_waitcnt lgkmcnt(0)
	s_barrier
	ds_read_u16 v2, v10
	ds_read_u16 v4, v10 offset:32
	ds_read_u16 v8, v10 offset:64
	;; [unrolled: 1-line block ×23, first 2 shown]
	ds_read_u16 v31, v7
	ds_read_u16 v32, v7 offset:32
	ds_read_u16 v33, v7 offset:64
	;; [unrolled: 1-line block ×7, first 2 shown]
	s_waitcnt lgkmcnt(7)
	v_perm_b32 v3, v31, v3, s2
	v_perm_b32 v2, v5, v2, s2
	s_waitcnt lgkmcnt(6)
	v_perm_b32 v5, v32, v24, s2
	v_perm_b32 v4, v17, v4, s2
	v_mfma_f32_16x16x16_f16 a[0:3], v[2:3], v[0:1], a[0:3]
	s_waitcnt lgkmcnt(5)
	v_perm_b32 v3, v33, v25, s2
	v_perm_b32 v2, v18, v8, s2
	ds_bpermute_b32 v79, v69, v12
	v_mfma_f32_16x16x16_f16 a[4:7], v[4:5], v[0:1], a[4:7]
	s_waitcnt lgkmcnt(5)
	v_perm_b32 v5, v34, v26, s2
	v_perm_b32 v4, v19, v9, s2
	v_pk_mul_f16 v47, v102, v11
	v_mfma_f32_16x16x16_f16 a[8:11], v[2:3], v[0:1], a[8:11]
	s_waitcnt lgkmcnt(4)
	v_perm_b32 v3, v35, v27, s2
	v_perm_b32 v2, v20, v13, s2
	ds_read_u16 v8, v10 offset:256
	ds_read_u16 v9, v10 offset:288
	ds_read_u16 v13, v10 offset:320
	ds_read_u16 v17, v10 offset:352
	ds_read_u16 v18, v10 offset:384
	ds_read_u16 v19, v10 offset:416
	ds_read_u16 v20, v10 offset:448
	ds_read_u16 v24, v10 offset:480
	v_mfma_f32_16x16x16_f16 a[12:15], v[4:5], v[0:1], a[12:15]
	s_waitcnt lgkmcnt(11)
	v_perm_b32 v5, v36, v28, s2
	v_perm_b32 v4, v21, v14, s2
	ds_read_u16 v14, v10 offset:784
	ds_read_u16 v21, v10 offset:816
	ds_read_u16 v25, v10 offset:848
	ds_read_u16 v26, v10 offset:880
	ds_read_u16 v27, v10 offset:912
	ds_read_u16 v28, v10 offset:944
	ds_read_u16 v31, v10 offset:976
	ds_read_u16 v32, v10 offset:1008
	;; [unrolled: 12-line block ×3, first 2 shown]
	v_mfma_f32_16x16x16_f16 a[20:23], v[4:5], v[0:1], a[20:23]
	v_perm_b32 v5, v38, v30, s2
	v_perm_b32 v4, v23, v16, s2
	v_pk_mul_f16 v11, v101, v11
	v_mfma_f32_16x16x16_f16 a[24:27], v[2:3], v[0:1], a[24:27]
	ds_read_u16 v2, v7 offset:256
	ds_read_u16 v16, v7 offset:288
	;; [unrolled: 1-line block ×8, first 2 shown]
	s_waitcnt lgkmcnt(7)
	v_perm_b32 v3, v2, v15, s2
	v_perm_b32 v2, v14, v8, s2
	v_mfma_f32_16x16x16_f16 a[28:31], v[4:5], v[0:1], a[28:31]
	s_waitcnt lgkmcnt(6)
	v_perm_b32 v5, v16, v22, s2
	v_perm_b32 v4, v21, v9, s2
	v_accvgpr_write_b32 a52, v73
	v_mfma_f32_16x16x16_f16 a[32:35], v[2:3], v[0:1], a[32:35]
	s_waitcnt lgkmcnt(5)
	v_perm_b32 v3, v23, v29, s2
	v_perm_b32 v2, v25, v13, s2
	v_accvgpr_write_b32 a53, v43
	v_mfma_f32_16x16x16_f16 a[36:39], v[4:5], v[0:1], a[36:39]
	s_waitcnt lgkmcnt(4)
	v_perm_b32 v5, v30, v33, s2
	v_perm_b32 v4, v26, v17, s2
	v_accvgpr_write_b32 a54, v74
	v_mfma_f32_16x16x16_f16 a[40:43], v[2:3], v[0:1], a[40:43]
	s_waitcnt lgkmcnt(3)
	v_perm_b32 v3, v37, v34, s2
	v_perm_b32 v2, v27, v18, s2
	v_accvgpr_write_b32 a55, v44
	v_mfma_f32_16x16x16_f16 a[44:47], v[4:5], v[0:1], a[44:47]
	s_waitcnt lgkmcnt(2)
	v_perm_b32 v5, v38, v35, s2
	v_perm_b32 v4, v28, v19, s2
	v_cvt_f32_f16_e32 v77, v47
	v_mfma_f32_16x16x16_f16 a[48:51], v[2:3], v[0:1], a[48:51]
	s_waitcnt lgkmcnt(1)
	v_perm_b32 v3, v39, v36, s2
	v_perm_b32 v2, v31, v20, s2
	v_cvt_f32_f16_sdwa v47, v47 dst_sel:DWORD dst_unused:UNUSED_PAD src0_sel:WORD_1
	v_cvt_f32_f16_e32 v78, v11
	v_cvt_f32_f16_sdwa v11, v11 dst_sel:DWORD dst_unused:UNUSED_PAD src0_sel:WORD_1
	v_mfma_f32_16x16x16_f16 a[52:55], v[4:5], v[0:1], a[52:55]
	s_waitcnt lgkmcnt(0)
	v_perm_b32 v5, v7, v10, s2
	v_perm_b32 v4, v32, v24, s2
	v_accvgpr_write_b32 a56, v75
	v_accvgpr_write_b32 a57, v45
	;; [unrolled: 1-line block ×6, first 2 shown]
	v_mfma_f32_16x16x16_f16 a[56:59], v[2:3], v[0:1], a[56:59]
	v_add_f32_e32 v2, v12, v79
	v_accvgpr_write_b32 a62, v78
	v_accvgpr_write_b32 a63, v11
	ds_bpermute_b32 v3, v67, v2
	v_cmp_gt_u32_e64 s[0:1], 16, v64
	v_mfma_f32_16x16x16_f16 a[60:63], v[4:5], v[0:1], a[60:63]
	s_waitcnt lgkmcnt(0)
	s_barrier
	s_and_saveexec_b64 s[2:3], s[0:1]
; %bb.423:
	v_or_b32_e32 v1, v193, v64
	v_add_f32_e32 v0, v2, v3
	v_mad_u32_u24 v1, v1, s12, 0
	ds_write2_b32 v1, v6, v0 offset0:128 offset1:129
; %bb.424:
	s_or_b64 exec, exec, s[2:3]
	v_and_b32_e32 v0, 3, v174
	v_cmp_eq_u32_e32 vcc, 0, v0
	v_cmp_ne_u32_e64 s[4:5], 0, v0
	s_waitcnt lgkmcnt(0)
	s_barrier
	s_and_saveexec_b64 s[2:3], s[4:5]
	s_xor_b64 s[2:3], exec, s[2:3]
	s_cbranch_execz .LBB30_426
; %bb.425:
	s_barrier
                                        ; implicit-def: $vgpr69
                                        ; implicit-def: $vgpr67
                                        ; implicit-def: $vgpr194
.LBB30_426:
	s_or_saveexec_b64 s[2:3], s[2:3]
	v_accvgpr_read_b32 v63, a3
	v_accvgpr_read_b32 v59, a7
	v_accvgpr_read_b32 v55, a11
	v_accvgpr_read_b32 v51, a15
	v_accvgpr_read_b32 v47, a19
	v_accvgpr_read_b32 v43, a23
	v_accvgpr_read_b32 v39, a27
	v_accvgpr_read_b32 v35, a31
	v_accvgpr_read_b32 v28, a32
	v_accvgpr_read_b32 v24, a36
	v_accvgpr_read_b32 v20, a40
	v_accvgpr_read_b32 v16, a44
	v_accvgpr_read_b32 v12, a48
	v_accvgpr_read_b32 v4, a52
	v_accvgpr_read_b32 v0, a56
	v_accvgpr_read_b32 v8, a60
	v_accvgpr_read_b32 v62, a2
	v_accvgpr_read_b32 v61, a1
	v_accvgpr_read_b32 v60, a0
	v_accvgpr_read_b32 v58, a6
	v_accvgpr_read_b32 v57, a5
	v_accvgpr_read_b32 v56, a4
	v_accvgpr_read_b32 v54, a10
	v_accvgpr_read_b32 v53, a9
	v_accvgpr_read_b32 v52, a8
	v_accvgpr_read_b32 v50, a14
	v_accvgpr_read_b32 v49, a13
	v_accvgpr_read_b32 v48, a12
	v_accvgpr_read_b32 v46, a18
	v_accvgpr_read_b32 v45, a17
	v_accvgpr_read_b32 v44, a16
	v_accvgpr_read_b32 v42, a22
	v_accvgpr_read_b32 v41, a21
	v_accvgpr_read_b32 v40, a20
	v_accvgpr_read_b32 v38, a26
	v_accvgpr_read_b32 v37, a25
	v_accvgpr_read_b32 v36, a24
	v_accvgpr_read_b32 v34, a30
	v_accvgpr_read_b32 v33, a29
	v_accvgpr_read_b32 v32, a28
	v_accvgpr_read_b32 v29, a33
	v_accvgpr_read_b32 v30, a34
	v_accvgpr_read_b32 v31, a35
	v_accvgpr_read_b32 v25, a37
	v_accvgpr_read_b32 v26, a38
	v_accvgpr_read_b32 v27, a39
	v_accvgpr_read_b32 v21, a41
	v_accvgpr_read_b32 v22, a42
	v_accvgpr_read_b32 v23, a43
	v_accvgpr_read_b32 v17, a45
	v_accvgpr_read_b32 v18, a46
	v_accvgpr_read_b32 v19, a47
	v_accvgpr_read_b32 v13, a49
	v_accvgpr_read_b32 v14, a50
	v_accvgpr_read_b32 v15, a51
	v_accvgpr_read_b32 v5, a53
	v_accvgpr_read_b32 v6, a54
	v_accvgpr_read_b32 v7, a55
	v_accvgpr_read_b32 v1, a57
	v_accvgpr_read_b32 v2, a58
	v_accvgpr_read_b32 v3, a59
	v_accvgpr_read_b32 v9, a61
	v_accvgpr_read_b32 v10, a62
	v_accvgpr_read_b32 v11, a63
	s_xor_b64 exec, exec, s[2:3]
	s_cbranch_execz .LBB30_430
; %bb.427:
	v_add_u32_e32 v66, v193, v64
	s_movk_i32 s4, 0x210
	v_mad_u32_u24 v72, v66, s4, 0
	ds_read_b64 v[70:71], v72 offset:512
	s_mov_b32 s4, 0x3fb8aa3b
	s_mov_b32 s6, 0x42b17218
	;; [unrolled: 1-line block ×3, first 2 shown]
	s_waitcnt lgkmcnt(0)
	ds_bpermute_b32 v66, v69, v70
	v_max_f32_e32 v68, v70, v70
	s_barrier
	s_waitcnt lgkmcnt(0)
	v_max_f32_e32 v66, v66, v66
	v_max_f32_e32 v66, v68, v66
	ds_bpermute_b32 v68, v67, v66
	s_waitcnt lgkmcnt(0)
	v_max_f32_e32 v68, v68, v68
	v_max_f32_e32 v66, v66, v68
	v_sub_f32_e32 v68, v70, v66
	v_mul_f32_e32 v70, 0x3fb8aa3b, v68
	v_fma_f32 v73, v68, s4, -v70
	v_rndne_f32_e32 v74, v70
	v_fmamk_f32 v73, v68, 0x32a5705f, v73
	v_sub_f32_e32 v70, v70, v74
	v_add_f32_e32 v70, v70, v73
	v_cvt_i32_f32_e32 v74, v74
	v_exp_f32_e32 v70, v70
	s_mov_b32 s4, 0xc2ce8ed0
	v_cmp_ngt_f32_e64 s[4:5], s4, v68
	v_mov_b32_e32 v73, 0x7f800000
	v_ldexp_f32 v70, v70, v74
	v_cndmask_b32_e64 v70, 0, v70, s[4:5]
	v_cmp_nlt_f32_e64 s[4:5], s6, v68
	s_nop 1
	v_cndmask_b32_e64 v68, v73, v70, s[4:5]
	v_mul_f32_e32 v70, v71, v68
	ds_bpermute_b32 v69, v69, v70
	s_waitcnt lgkmcnt(0)
	v_fmac_f32_e32 v69, v71, v68
	ds_bpermute_b32 v67, v67, v69
	s_waitcnt lgkmcnt(0)
	v_add_f32_e32 v69, v69, v67
	ds_write_b64 v72, v[68:69] offset:512
	s_and_saveexec_b64 s[4:5], s[0:1]
	s_cbranch_execz .LBB30_429
; %bb.428:
	s_add_i32 s0, s54, s49
	s_lshl_b32 s6, s0, 4
	s_lshl_b64 s[0:1], s[6:7], 3
	s_add_u32 s0, s74, s0
	v_or_b32_e32 v67, v194, v64
	s_addc_u32 s1, s75, s1
	v_lshlrev_b32_e32 v68, 3, v67
	v_mov_b32_e32 v67, v69
	global_store_dwordx2 v68, v[66:67], s[0:1]
.LBB30_429:
	s_or_b64 exec, exec, s[4:5]
.LBB30_430:
	s_or_b64 exec, exec, s[2:3]
	v_cvt_pk_f16_f32 v4, v4, v5
	v_or_b32_e32 v5, v193, v96
	v_mul_u32_u24_e32 v5, 0x210, v5
	v_cvt_pk_f16_f32 v62, v62, v63
	v_cvt_pk_f16_f32 v60, v60, v61
	s_movk_i32 s4, 0x210
	s_mov_b32 s3, 0
	v_add3_u32 v5, 0, v5, v97
	v_cvt_pk_f16_f32 v58, v58, v59
	v_cvt_pk_f16_f32 v56, v56, v57
	;; [unrolled: 1-line block ×29, first 2 shown]
	ds_write2_b32 v5, v60, v62 offset1:1
	ds_write2_b32 v5, v56, v58 offset0:8 offset1:9
	ds_write2_b32 v5, v52, v54 offset0:16 offset1:17
	;; [unrolled: 1-line block ×15, first 2 shown]
	s_waitcnt lgkmcnt(0)
	s_barrier
	s_and_saveexec_b64 s[0:1], vcc
	s_cbranch_execz .LBB30_432
; %bb.431:
	s_lshl_b32 s2, s49, 11
	s_lshl_b64 s[6:7], s[2:3], 3
	s_add_u32 s5, s74, s6
	s_addc_u32 s6, s75, s7
	s_lshl_b32 s2, s54, 5
	s_lshl_b64 s[2:3], s[2:3], 3
	s_add_u32 s2, s5, s2
	v_bfe_u32 v1, v174, 2, 4
	s_movk_i32 s5, 0x3c0
	v_and_or_b32 v1, v174, s5, v1
	v_mad_u32_u24 v1, v1, s4, 0
	v_add_u32_e32 v10, v1, v65
	ds_read2st64_b32 v[2:3], v10 offset1:1
	ds_read2st64_b32 v[4:5], v1 offset0:2 offset1:35
	ds_read2st64_b32 v[6:7], v10 offset0:33 offset1:34
	;; [unrolled: 1-line block ×4, first 2 shown]
	s_waitcnt lgkmcnt(4)
	v_cvt_f32_f16_e32 v12, v2
	v_cvt_f32_f16_sdwa v13, v2 dst_sel:DWORD dst_unused:UNUSED_PAD src0_sel:WORD_1
	ds_read2st64_b32 v[14:15], v1 offset0:68 offset1:101
	s_waitcnt lgkmcnt(3)
	v_cvt_f32_f16_e32 v16, v6
	v_cvt_f32_f16_sdwa v17, v6 dst_sel:DWORD dst_unused:UNUSED_PAD src0_sel:WORD_1
	s_waitcnt lgkmcnt(2)
	v_cvt_f32_f16_e32 v18, v8
	v_cvt_f32_f16_sdwa v19, v8 dst_sel:DWORD dst_unused:UNUSED_PAD src0_sel:WORD_1
	v_lshlrev_b32_e32 v2, 5, v174
	s_waitcnt lgkmcnt(1)
	v_cvt_f32_f16_e32 v20, v10
	v_cvt_f32_f16_sdwa v21, v10 dst_sel:DWORD dst_unused:UNUSED_PAD src0_sel:WORD_1
	v_add_lshl_u32 v1, v64, v2, 3
	v_pk_fma_f32 v[12:13], v[4:5], v[12:13], 0 op_sel_hi:[0,1,0]
	v_mov_b32_e32 v2, v5
	v_pk_fma_f32 v[12:13], v[2:3], v[16:17], v[12:13] op_sel_hi:[0,1,1]
	s_waitcnt lgkmcnt(0)
	v_pk_fma_f32 v[12:13], v[14:15], v[18:19], v[12:13] op_sel_hi:[0,1,1]
	v_mov_b32_e32 v6, v15
	s_addc_u32 s3, s6, s3
	v_pk_fma_f32 v[12:13], v[6:7], v[20:21], v[12:13] op_sel_hi:[0,1,1]
	global_store_dwordx2 v1, v[12:13], s[2:3]
	v_cvt_f32_f16_e32 v12, v3
	v_cvt_f32_f16_sdwa v13, v3 dst_sel:DWORD dst_unused:UNUSED_PAD src0_sel:WORD_1
	v_cvt_f32_f16_e32 v16, v7
	v_cvt_f32_f16_sdwa v17, v7 dst_sel:DWORD dst_unused:UNUSED_PAD src0_sel:WORD_1
	;; [unrolled: 2-line block ×4, first 2 shown]
	v_pk_fma_f32 v[4:5], v[4:5], v[12:13], 0 op_sel_hi:[0,1,0]
	v_pk_fma_f32 v[2:3], v[2:3], v[16:17], v[4:5] op_sel_hi:[0,1,1]
	;; [unrolled: 1-line block ×3, first 2 shown]
	v_lshrrev_b32_e32 v0, 2, v174
	v_pk_fma_f32 v[2:3], v[6:7], v[10:11], v[2:3] op_sel_hi:[0,1,1]
	global_store_dwordx2 v1, v[2:3], s[2:3] offset:512
	v_add_u32_e32 v1, 1, v0
	v_lshlrev_b32_e32 v2, 2, v1
	v_and_b32_e32 v3, 15, v1
	s_movk_i32 s5, 0x7c0
	v_and_or_b32 v2, v2, s5, v3
	v_mad_u32_u24 v14, v2, s4, 0
	v_add_u32_e32 v10, v14, v65
	ds_read2st64_b32 v[2:3], v10 offset1:1
	ds_read2st64_b32 v[4:5], v14 offset0:2 offset1:35
	ds_read2st64_b32 v[6:7], v10 offset0:33 offset1:34
	ds_read2st64_b32 v[8:9], v10 offset0:66 offset1:67
	ds_read2st64_b32 v[10:11], v10 offset0:99 offset1:100
	s_waitcnt lgkmcnt(4)
	v_cvt_f32_f16_e32 v12, v2
	v_cvt_f32_f16_sdwa v13, v2 dst_sel:DWORD dst_unused:UNUSED_PAD src0_sel:WORD_1
	ds_read2st64_b32 v[14:15], v14 offset0:68 offset1:101
	s_waitcnt lgkmcnt(3)
	v_cvt_f32_f16_e32 v16, v6
	v_cvt_f32_f16_sdwa v17, v6 dst_sel:DWORD dst_unused:UNUSED_PAD src0_sel:WORD_1
	s_waitcnt lgkmcnt(2)
	v_cvt_f32_f16_e32 v18, v8
	v_cvt_f32_f16_sdwa v19, v8 dst_sel:DWORD dst_unused:UNUSED_PAD src0_sel:WORD_1
	s_waitcnt lgkmcnt(1)
	v_cvt_f32_f16_e32 v20, v10
	v_cvt_f32_f16_sdwa v21, v10 dst_sel:DWORD dst_unused:UNUSED_PAD src0_sel:WORD_1
	v_pk_fma_f32 v[12:13], v[4:5], v[12:13], 0 op_sel_hi:[0,1,0]
	v_mov_b32_e32 v2, v5
	v_pk_fma_f32 v[12:13], v[2:3], v[16:17], v[12:13] op_sel_hi:[0,1,1]
	v_lshlrev_b32_e32 v1, 7, v1
	s_waitcnt lgkmcnt(0)
	v_pk_fma_f32 v[12:13], v[14:15], v[18:19], v[12:13] op_sel_hi:[0,1,1]
	v_mov_b32_e32 v6, v15
	v_add_lshl_u32 v1, v64, v1, 3
	v_pk_fma_f32 v[12:13], v[6:7], v[20:21], v[12:13] op_sel_hi:[0,1,1]
	global_store_dwordx2 v1, v[12:13], s[2:3]
	v_cvt_f32_f16_e32 v12, v3
	v_cvt_f32_f16_sdwa v13, v3 dst_sel:DWORD dst_unused:UNUSED_PAD src0_sel:WORD_1
	v_cvt_f32_f16_e32 v16, v7
	v_cvt_f32_f16_sdwa v17, v7 dst_sel:DWORD dst_unused:UNUSED_PAD src0_sel:WORD_1
	v_cvt_f32_f16_e32 v8, v9
	v_cvt_f32_f16_sdwa v9, v9 dst_sel:DWORD dst_unused:UNUSED_PAD src0_sel:WORD_1
	v_cvt_f32_f16_e32 v10, v11
	v_cvt_f32_f16_sdwa v11, v11 dst_sel:DWORD dst_unused:UNUSED_PAD src0_sel:WORD_1
	v_pk_fma_f32 v[4:5], v[4:5], v[12:13], 0 op_sel_hi:[0,1,0]
	v_pk_fma_f32 v[2:3], v[2:3], v[16:17], v[4:5] op_sel_hi:[0,1,1]
	v_pk_fma_f32 v[2:3], v[14:15], v[8:9], v[2:3] op_sel_hi:[0,1,1]
	v_pk_fma_f32 v[2:3], v[6:7], v[10:11], v[2:3] op_sel_hi:[0,1,1]
	global_store_dwordx2 v1, v[2:3], s[2:3] offset:512
	v_add_u32_e32 v1, 2, v0
	v_lshlrev_b32_e32 v2, 2, v1
	v_and_b32_e32 v3, 15, v1
	v_and_or_b32 v2, v2, s5, v3
	v_mad_u32_u24 v14, v2, s4, 0
	v_add_u32_e32 v10, v14, v65
	ds_read2st64_b32 v[2:3], v10 offset1:1
	ds_read2st64_b32 v[4:5], v14 offset0:2 offset1:35
	ds_read2st64_b32 v[6:7], v10 offset0:33 offset1:34
	ds_read2st64_b32 v[8:9], v10 offset0:66 offset1:67
	ds_read2st64_b32 v[10:11], v10 offset0:99 offset1:100
	s_waitcnt lgkmcnt(4)
	v_cvt_f32_f16_e32 v12, v2
	v_cvt_f32_f16_sdwa v13, v2 dst_sel:DWORD dst_unused:UNUSED_PAD src0_sel:WORD_1
	ds_read2st64_b32 v[14:15], v14 offset0:68 offset1:101
	s_waitcnt lgkmcnt(3)
	v_cvt_f32_f16_e32 v16, v6
	v_cvt_f32_f16_sdwa v17, v6 dst_sel:DWORD dst_unused:UNUSED_PAD src0_sel:WORD_1
	s_waitcnt lgkmcnt(2)
	v_cvt_f32_f16_e32 v18, v8
	v_cvt_f32_f16_sdwa v19, v8 dst_sel:DWORD dst_unused:UNUSED_PAD src0_sel:WORD_1
	s_waitcnt lgkmcnt(1)
	v_cvt_f32_f16_e32 v20, v10
	v_cvt_f32_f16_sdwa v21, v10 dst_sel:DWORD dst_unused:UNUSED_PAD src0_sel:WORD_1
	v_pk_fma_f32 v[12:13], v[4:5], v[12:13], 0 op_sel_hi:[0,1,0]
	v_mov_b32_e32 v2, v5
	v_pk_fma_f32 v[12:13], v[2:3], v[16:17], v[12:13] op_sel_hi:[0,1,1]
	v_lshlrev_b32_e32 v1, 7, v1
	s_waitcnt lgkmcnt(0)
	v_pk_fma_f32 v[12:13], v[14:15], v[18:19], v[12:13] op_sel_hi:[0,1,1]
	v_mov_b32_e32 v6, v15
	v_add_lshl_u32 v1, v64, v1, 3
	v_pk_fma_f32 v[12:13], v[6:7], v[20:21], v[12:13] op_sel_hi:[0,1,1]
	global_store_dwordx2 v1, v[12:13], s[2:3]
	v_cvt_f32_f16_e32 v12, v3
	v_cvt_f32_f16_sdwa v13, v3 dst_sel:DWORD dst_unused:UNUSED_PAD src0_sel:WORD_1
	v_cvt_f32_f16_e32 v16, v7
	v_cvt_f32_f16_sdwa v17, v7 dst_sel:DWORD dst_unused:UNUSED_PAD src0_sel:WORD_1
	v_cvt_f32_f16_e32 v8, v9
	v_cvt_f32_f16_sdwa v9, v9 dst_sel:DWORD dst_unused:UNUSED_PAD src0_sel:WORD_1
	v_cvt_f32_f16_e32 v10, v11
	v_cvt_f32_f16_sdwa v11, v11 dst_sel:DWORD dst_unused:UNUSED_PAD src0_sel:WORD_1
	v_pk_fma_f32 v[4:5], v[4:5], v[12:13], 0 op_sel_hi:[0,1,0]
	v_pk_fma_f32 v[2:3], v[2:3], v[16:17], v[4:5] op_sel_hi:[0,1,1]
	v_pk_fma_f32 v[2:3], v[14:15], v[8:9], v[2:3] op_sel_hi:[0,1,1]
	v_pk_fma_f32 v[2:3], v[6:7], v[10:11], v[2:3] op_sel_hi:[0,1,1]
	global_store_dwordx2 v1, v[2:3], s[2:3] offset:512
	v_add_u32_e32 v1, 3, v0
	v_lshlrev_b32_e32 v2, 2, v1
	v_and_b32_e32 v3, 15, v1
	v_and_or_b32 v2, v2, s5, v3
	v_mad_u32_u24 v14, v2, s4, 0
	v_add_u32_e32 v10, v14, v65
	ds_read2st64_b32 v[2:3], v10 offset1:1
	ds_read2st64_b32 v[4:5], v14 offset0:2 offset1:35
	ds_read2st64_b32 v[6:7], v10 offset0:33 offset1:34
	ds_read2st64_b32 v[8:9], v10 offset0:66 offset1:67
	ds_read2st64_b32 v[10:11], v10 offset0:99 offset1:100
	s_waitcnt lgkmcnt(4)
	v_cvt_f32_f16_e32 v12, v2
	v_cvt_f32_f16_sdwa v13, v2 dst_sel:DWORD dst_unused:UNUSED_PAD src0_sel:WORD_1
	ds_read2st64_b32 v[14:15], v14 offset0:68 offset1:101
	s_waitcnt lgkmcnt(3)
	v_cvt_f32_f16_e32 v16, v6
	v_cvt_f32_f16_sdwa v17, v6 dst_sel:DWORD dst_unused:UNUSED_PAD src0_sel:WORD_1
	s_waitcnt lgkmcnt(2)
	v_cvt_f32_f16_e32 v18, v8
	v_cvt_f32_f16_sdwa v19, v8 dst_sel:DWORD dst_unused:UNUSED_PAD src0_sel:WORD_1
	s_waitcnt lgkmcnt(1)
	v_cvt_f32_f16_e32 v20, v10
	v_cvt_f32_f16_sdwa v21, v10 dst_sel:DWORD dst_unused:UNUSED_PAD src0_sel:WORD_1
	v_pk_fma_f32 v[12:13], v[4:5], v[12:13], 0 op_sel_hi:[0,1,0]
	v_mov_b32_e32 v2, v5
	v_pk_fma_f32 v[12:13], v[2:3], v[16:17], v[12:13] op_sel_hi:[0,1,1]
	v_lshlrev_b32_e32 v1, 7, v1
	s_waitcnt lgkmcnt(0)
	v_pk_fma_f32 v[12:13], v[14:15], v[18:19], v[12:13] op_sel_hi:[0,1,1]
	v_mov_b32_e32 v6, v15
	v_add_lshl_u32 v1, v64, v1, 3
	v_pk_fma_f32 v[12:13], v[6:7], v[20:21], v[12:13] op_sel_hi:[0,1,1]
	global_store_dwordx2 v1, v[12:13], s[2:3]
	v_cvt_f32_f16_e32 v12, v3
	v_cvt_f32_f16_sdwa v13, v3 dst_sel:DWORD dst_unused:UNUSED_PAD src0_sel:WORD_1
	v_cvt_f32_f16_e32 v16, v7
	v_cvt_f32_f16_sdwa v17, v7 dst_sel:DWORD dst_unused:UNUSED_PAD src0_sel:WORD_1
	v_cvt_f32_f16_e32 v8, v9
	v_cvt_f32_f16_sdwa v9, v9 dst_sel:DWORD dst_unused:UNUSED_PAD src0_sel:WORD_1
	v_cvt_f32_f16_e32 v10, v11
	v_cvt_f32_f16_sdwa v11, v11 dst_sel:DWORD dst_unused:UNUSED_PAD src0_sel:WORD_1
	v_pk_fma_f32 v[4:5], v[4:5], v[12:13], 0 op_sel_hi:[0,1,0]
	v_pk_fma_f32 v[2:3], v[2:3], v[16:17], v[4:5] op_sel_hi:[0,1,1]
	v_pk_fma_f32 v[2:3], v[14:15], v[8:9], v[2:3] op_sel_hi:[0,1,1]
	v_pk_fma_f32 v[2:3], v[6:7], v[10:11], v[2:3] op_sel_hi:[0,1,1]
	global_store_dwordx2 v1, v[2:3], s[2:3] offset:512
	v_add_u32_e32 v1, 4, v0
	v_lshlrev_b32_e32 v2, 2, v1
	v_and_b32_e32 v3, 15, v1
	v_and_or_b32 v2, v2, s5, v3
	v_mad_u32_u24 v14, v2, s4, 0
	v_add_u32_e32 v10, v14, v65
	ds_read2st64_b32 v[2:3], v10 offset1:1
	ds_read2st64_b32 v[4:5], v14 offset0:2 offset1:35
	ds_read2st64_b32 v[6:7], v10 offset0:33 offset1:34
	ds_read2st64_b32 v[8:9], v10 offset0:66 offset1:67
	ds_read2st64_b32 v[10:11], v10 offset0:99 offset1:100
	s_waitcnt lgkmcnt(4)
	v_cvt_f32_f16_e32 v12, v2
	v_cvt_f32_f16_sdwa v13, v2 dst_sel:DWORD dst_unused:UNUSED_PAD src0_sel:WORD_1
	ds_read2st64_b32 v[14:15], v14 offset0:68 offset1:101
	s_waitcnt lgkmcnt(3)
	v_cvt_f32_f16_e32 v16, v6
	v_cvt_f32_f16_sdwa v17, v6 dst_sel:DWORD dst_unused:UNUSED_PAD src0_sel:WORD_1
	s_waitcnt lgkmcnt(2)
	v_cvt_f32_f16_e32 v18, v8
	v_cvt_f32_f16_sdwa v19, v8 dst_sel:DWORD dst_unused:UNUSED_PAD src0_sel:WORD_1
	s_waitcnt lgkmcnt(1)
	v_cvt_f32_f16_e32 v20, v10
	v_cvt_f32_f16_sdwa v21, v10 dst_sel:DWORD dst_unused:UNUSED_PAD src0_sel:WORD_1
	v_pk_fma_f32 v[12:13], v[4:5], v[12:13], 0 op_sel_hi:[0,1,0]
	v_mov_b32_e32 v2, v5
	v_pk_fma_f32 v[12:13], v[2:3], v[16:17], v[12:13] op_sel_hi:[0,1,1]
	v_lshlrev_b32_e32 v1, 7, v1
	s_waitcnt lgkmcnt(0)
	v_pk_fma_f32 v[12:13], v[14:15], v[18:19], v[12:13] op_sel_hi:[0,1,1]
	v_mov_b32_e32 v6, v15
	v_add_lshl_u32 v1, v64, v1, 3
	v_pk_fma_f32 v[12:13], v[6:7], v[20:21], v[12:13] op_sel_hi:[0,1,1]
	global_store_dwordx2 v1, v[12:13], s[2:3]
	v_cvt_f32_f16_e32 v12, v3
	v_cvt_f32_f16_sdwa v13, v3 dst_sel:DWORD dst_unused:UNUSED_PAD src0_sel:WORD_1
	v_cvt_f32_f16_e32 v16, v7
	v_cvt_f32_f16_sdwa v17, v7 dst_sel:DWORD dst_unused:UNUSED_PAD src0_sel:WORD_1
	v_cvt_f32_f16_e32 v8, v9
	v_cvt_f32_f16_sdwa v9, v9 dst_sel:DWORD dst_unused:UNUSED_PAD src0_sel:WORD_1
	v_cvt_f32_f16_e32 v10, v11
	v_cvt_f32_f16_sdwa v11, v11 dst_sel:DWORD dst_unused:UNUSED_PAD src0_sel:WORD_1
	v_pk_fma_f32 v[4:5], v[4:5], v[12:13], 0 op_sel_hi:[0,1,0]
	v_pk_fma_f32 v[2:3], v[2:3], v[16:17], v[4:5] op_sel_hi:[0,1,1]
	v_pk_fma_f32 v[2:3], v[14:15], v[8:9], v[2:3] op_sel_hi:[0,1,1]
	v_pk_fma_f32 v[2:3], v[6:7], v[10:11], v[2:3] op_sel_hi:[0,1,1]
	global_store_dwordx2 v1, v[2:3], s[2:3] offset:512
	v_add_u32_e32 v1, 5, v0
	v_lshlrev_b32_e32 v2, 2, v1
	v_and_b32_e32 v3, 15, v1
	v_and_or_b32 v2, v2, s5, v3
	v_mad_u32_u24 v14, v2, s4, 0
	v_add_u32_e32 v10, v14, v65
	ds_read2st64_b32 v[2:3], v10 offset1:1
	ds_read2st64_b32 v[4:5], v14 offset0:2 offset1:35
	ds_read2st64_b32 v[6:7], v10 offset0:33 offset1:34
	ds_read2st64_b32 v[8:9], v10 offset0:66 offset1:67
	ds_read2st64_b32 v[10:11], v10 offset0:99 offset1:100
	s_waitcnt lgkmcnt(4)
	v_cvt_f32_f16_e32 v12, v2
	v_cvt_f32_f16_sdwa v13, v2 dst_sel:DWORD dst_unused:UNUSED_PAD src0_sel:WORD_1
	ds_read2st64_b32 v[14:15], v14 offset0:68 offset1:101
	s_waitcnt lgkmcnt(3)
	v_cvt_f32_f16_e32 v16, v6
	v_cvt_f32_f16_sdwa v17, v6 dst_sel:DWORD dst_unused:UNUSED_PAD src0_sel:WORD_1
	s_waitcnt lgkmcnt(2)
	v_cvt_f32_f16_e32 v18, v8
	v_cvt_f32_f16_sdwa v19, v8 dst_sel:DWORD dst_unused:UNUSED_PAD src0_sel:WORD_1
	s_waitcnt lgkmcnt(1)
	v_cvt_f32_f16_e32 v20, v10
	v_cvt_f32_f16_sdwa v21, v10 dst_sel:DWORD dst_unused:UNUSED_PAD src0_sel:WORD_1
	v_pk_fma_f32 v[12:13], v[4:5], v[12:13], 0 op_sel_hi:[0,1,0]
	v_mov_b32_e32 v2, v5
	v_pk_fma_f32 v[12:13], v[2:3], v[16:17], v[12:13] op_sel_hi:[0,1,1]
	v_lshlrev_b32_e32 v1, 7, v1
	s_waitcnt lgkmcnt(0)
	v_pk_fma_f32 v[12:13], v[14:15], v[18:19], v[12:13] op_sel_hi:[0,1,1]
	v_mov_b32_e32 v6, v15
	v_add_lshl_u32 v1, v64, v1, 3
	v_pk_fma_f32 v[12:13], v[6:7], v[20:21], v[12:13] op_sel_hi:[0,1,1]
	global_store_dwordx2 v1, v[12:13], s[2:3]
	v_cvt_f32_f16_e32 v12, v3
	v_cvt_f32_f16_sdwa v13, v3 dst_sel:DWORD dst_unused:UNUSED_PAD src0_sel:WORD_1
	v_cvt_f32_f16_e32 v16, v7
	v_cvt_f32_f16_sdwa v17, v7 dst_sel:DWORD dst_unused:UNUSED_PAD src0_sel:WORD_1
	v_cvt_f32_f16_e32 v8, v9
	v_cvt_f32_f16_sdwa v9, v9 dst_sel:DWORD dst_unused:UNUSED_PAD src0_sel:WORD_1
	v_cvt_f32_f16_e32 v10, v11
	v_cvt_f32_f16_sdwa v11, v11 dst_sel:DWORD dst_unused:UNUSED_PAD src0_sel:WORD_1
	v_pk_fma_f32 v[4:5], v[4:5], v[12:13], 0 op_sel_hi:[0,1,0]
	v_pk_fma_f32 v[2:3], v[2:3], v[16:17], v[4:5] op_sel_hi:[0,1,1]
	v_pk_fma_f32 v[2:3], v[14:15], v[8:9], v[2:3] op_sel_hi:[0,1,1]
	v_pk_fma_f32 v[2:3], v[6:7], v[10:11], v[2:3] op_sel_hi:[0,1,1]
	global_store_dwordx2 v1, v[2:3], s[2:3] offset:512
	v_add_u32_e32 v1, 6, v0
	v_lshlrev_b32_e32 v2, 2, v1
	v_and_b32_e32 v3, 15, v1
	v_and_or_b32 v2, v2, s5, v3
	v_mad_u32_u24 v14, v2, s4, 0
	v_add_u32_e32 v10, v14, v65
	ds_read2st64_b32 v[2:3], v10 offset1:1
	ds_read2st64_b32 v[4:5], v14 offset0:2 offset1:35
	ds_read2st64_b32 v[6:7], v10 offset0:33 offset1:34
	ds_read2st64_b32 v[8:9], v10 offset0:66 offset1:67
	ds_read2st64_b32 v[10:11], v10 offset0:99 offset1:100
	s_waitcnt lgkmcnt(4)
	v_cvt_f32_f16_e32 v12, v2
	v_cvt_f32_f16_sdwa v13, v2 dst_sel:DWORD dst_unused:UNUSED_PAD src0_sel:WORD_1
	ds_read2st64_b32 v[14:15], v14 offset0:68 offset1:101
	s_waitcnt lgkmcnt(3)
	v_cvt_f32_f16_e32 v16, v6
	v_cvt_f32_f16_sdwa v17, v6 dst_sel:DWORD dst_unused:UNUSED_PAD src0_sel:WORD_1
	s_waitcnt lgkmcnt(2)
	v_cvt_f32_f16_e32 v18, v8
	v_cvt_f32_f16_sdwa v19, v8 dst_sel:DWORD dst_unused:UNUSED_PAD src0_sel:WORD_1
	s_waitcnt lgkmcnt(1)
	v_cvt_f32_f16_e32 v20, v10
	v_cvt_f32_f16_sdwa v21, v10 dst_sel:DWORD dst_unused:UNUSED_PAD src0_sel:WORD_1
	v_pk_fma_f32 v[12:13], v[4:5], v[12:13], 0 op_sel_hi:[0,1,0]
	v_mov_b32_e32 v2, v5
	v_pk_fma_f32 v[12:13], v[2:3], v[16:17], v[12:13] op_sel_hi:[0,1,1]
	v_lshlrev_b32_e32 v1, 7, v1
	s_waitcnt lgkmcnt(0)
	v_pk_fma_f32 v[12:13], v[14:15], v[18:19], v[12:13] op_sel_hi:[0,1,1]
	v_mov_b32_e32 v6, v15
	v_add_lshl_u32 v1, v64, v1, 3
	v_pk_fma_f32 v[12:13], v[6:7], v[20:21], v[12:13] op_sel_hi:[0,1,1]
	global_store_dwordx2 v1, v[12:13], s[2:3]
	v_cvt_f32_f16_e32 v12, v3
	v_cvt_f32_f16_sdwa v13, v3 dst_sel:DWORD dst_unused:UNUSED_PAD src0_sel:WORD_1
	v_cvt_f32_f16_e32 v16, v7
	v_cvt_f32_f16_sdwa v17, v7 dst_sel:DWORD dst_unused:UNUSED_PAD src0_sel:WORD_1
	v_cvt_f32_f16_e32 v8, v9
	v_cvt_f32_f16_sdwa v9, v9 dst_sel:DWORD dst_unused:UNUSED_PAD src0_sel:WORD_1
	v_cvt_f32_f16_e32 v10, v11
	v_cvt_f32_f16_sdwa v11, v11 dst_sel:DWORD dst_unused:UNUSED_PAD src0_sel:WORD_1
	v_pk_fma_f32 v[4:5], v[4:5], v[12:13], 0 op_sel_hi:[0,1,0]
	v_pk_fma_f32 v[2:3], v[2:3], v[16:17], v[4:5] op_sel_hi:[0,1,1]
	v_pk_fma_f32 v[2:3], v[14:15], v[8:9], v[2:3] op_sel_hi:[0,1,1]
	v_pk_fma_f32 v[2:3], v[6:7], v[10:11], v[2:3] op_sel_hi:[0,1,1]
	global_store_dwordx2 v1, v[2:3], s[2:3] offset:512
	v_add_u32_e32 v1, 7, v0
	v_lshlrev_b32_e32 v2, 2, v1
	v_and_b32_e32 v3, 15, v1
	v_and_or_b32 v2, v2, s5, v3
	v_mad_u32_u24 v14, v2, s4, 0
	v_add_u32_e32 v10, v14, v65
	ds_read2st64_b32 v[2:3], v10 offset1:1
	ds_read2st64_b32 v[4:5], v14 offset0:2 offset1:35
	ds_read2st64_b32 v[6:7], v10 offset0:33 offset1:34
	ds_read2st64_b32 v[8:9], v10 offset0:66 offset1:67
	ds_read2st64_b32 v[10:11], v10 offset0:99 offset1:100
	s_waitcnt lgkmcnt(4)
	v_cvt_f32_f16_e32 v12, v2
	v_cvt_f32_f16_sdwa v13, v2 dst_sel:DWORD dst_unused:UNUSED_PAD src0_sel:WORD_1
	ds_read2st64_b32 v[14:15], v14 offset0:68 offset1:101
	s_waitcnt lgkmcnt(3)
	v_cvt_f32_f16_e32 v16, v6
	v_cvt_f32_f16_sdwa v17, v6 dst_sel:DWORD dst_unused:UNUSED_PAD src0_sel:WORD_1
	s_waitcnt lgkmcnt(2)
	v_cvt_f32_f16_e32 v18, v8
	v_cvt_f32_f16_sdwa v19, v8 dst_sel:DWORD dst_unused:UNUSED_PAD src0_sel:WORD_1
	s_waitcnt lgkmcnt(1)
	v_cvt_f32_f16_e32 v20, v10
	v_cvt_f32_f16_sdwa v21, v10 dst_sel:DWORD dst_unused:UNUSED_PAD src0_sel:WORD_1
	v_pk_fma_f32 v[12:13], v[4:5], v[12:13], 0 op_sel_hi:[0,1,0]
	v_mov_b32_e32 v2, v5
	v_pk_fma_f32 v[12:13], v[2:3], v[16:17], v[12:13] op_sel_hi:[0,1,1]
	v_lshlrev_b32_e32 v1, 7, v1
	s_waitcnt lgkmcnt(0)
	v_pk_fma_f32 v[12:13], v[14:15], v[18:19], v[12:13] op_sel_hi:[0,1,1]
	v_mov_b32_e32 v6, v15
	v_add_lshl_u32 v1, v64, v1, 3
	v_pk_fma_f32 v[12:13], v[6:7], v[20:21], v[12:13] op_sel_hi:[0,1,1]
	global_store_dwordx2 v1, v[12:13], s[2:3]
	v_cvt_f32_f16_e32 v12, v3
	v_cvt_f32_f16_sdwa v13, v3 dst_sel:DWORD dst_unused:UNUSED_PAD src0_sel:WORD_1
	v_cvt_f32_f16_e32 v16, v7
	v_cvt_f32_f16_sdwa v17, v7 dst_sel:DWORD dst_unused:UNUSED_PAD src0_sel:WORD_1
	v_cvt_f32_f16_e32 v8, v9
	v_cvt_f32_f16_sdwa v9, v9 dst_sel:DWORD dst_unused:UNUSED_PAD src0_sel:WORD_1
	v_cvt_f32_f16_e32 v10, v11
	v_cvt_f32_f16_sdwa v11, v11 dst_sel:DWORD dst_unused:UNUSED_PAD src0_sel:WORD_1
	v_pk_fma_f32 v[4:5], v[4:5], v[12:13], 0 op_sel_hi:[0,1,0]
	v_pk_fma_f32 v[2:3], v[2:3], v[16:17], v[4:5] op_sel_hi:[0,1,1]
	v_pk_fma_f32 v[2:3], v[14:15], v[8:9], v[2:3] op_sel_hi:[0,1,1]
	v_pk_fma_f32 v[2:3], v[6:7], v[10:11], v[2:3] op_sel_hi:[0,1,1]
	global_store_dwordx2 v1, v[2:3], s[2:3] offset:512
	v_add_u32_e32 v1, 8, v0
	v_lshlrev_b32_e32 v2, 2, v1
	v_and_b32_e32 v3, 15, v1
	v_and_or_b32 v2, v2, s5, v3
	v_mad_u32_u24 v14, v2, s4, 0
	v_add_u32_e32 v10, v14, v65
	ds_read2st64_b32 v[2:3], v10 offset1:1
	ds_read2st64_b32 v[4:5], v14 offset0:2 offset1:35
	ds_read2st64_b32 v[6:7], v10 offset0:33 offset1:34
	ds_read2st64_b32 v[8:9], v10 offset0:66 offset1:67
	ds_read2st64_b32 v[10:11], v10 offset0:99 offset1:100
	s_waitcnt lgkmcnt(4)
	v_cvt_f32_f16_e32 v12, v2
	v_cvt_f32_f16_sdwa v13, v2 dst_sel:DWORD dst_unused:UNUSED_PAD src0_sel:WORD_1
	ds_read2st64_b32 v[14:15], v14 offset0:68 offset1:101
	s_waitcnt lgkmcnt(3)
	v_cvt_f32_f16_e32 v16, v6
	v_cvt_f32_f16_sdwa v17, v6 dst_sel:DWORD dst_unused:UNUSED_PAD src0_sel:WORD_1
	s_waitcnt lgkmcnt(2)
	v_cvt_f32_f16_e32 v18, v8
	v_cvt_f32_f16_sdwa v19, v8 dst_sel:DWORD dst_unused:UNUSED_PAD src0_sel:WORD_1
	s_waitcnt lgkmcnt(1)
	v_cvt_f32_f16_e32 v20, v10
	v_cvt_f32_f16_sdwa v21, v10 dst_sel:DWORD dst_unused:UNUSED_PAD src0_sel:WORD_1
	v_pk_fma_f32 v[12:13], v[4:5], v[12:13], 0 op_sel_hi:[0,1,0]
	v_mov_b32_e32 v2, v5
	v_pk_fma_f32 v[12:13], v[2:3], v[16:17], v[12:13] op_sel_hi:[0,1,1]
	v_lshlrev_b32_e32 v1, 7, v1
	s_waitcnt lgkmcnt(0)
	v_pk_fma_f32 v[12:13], v[14:15], v[18:19], v[12:13] op_sel_hi:[0,1,1]
	v_mov_b32_e32 v6, v15
	v_add_lshl_u32 v1, v64, v1, 3
	v_pk_fma_f32 v[12:13], v[6:7], v[20:21], v[12:13] op_sel_hi:[0,1,1]
	global_store_dwordx2 v1, v[12:13], s[2:3]
	v_cvt_f32_f16_e32 v12, v3
	v_cvt_f32_f16_sdwa v13, v3 dst_sel:DWORD dst_unused:UNUSED_PAD src0_sel:WORD_1
	v_cvt_f32_f16_e32 v16, v7
	v_cvt_f32_f16_sdwa v17, v7 dst_sel:DWORD dst_unused:UNUSED_PAD src0_sel:WORD_1
	v_cvt_f32_f16_e32 v8, v9
	v_cvt_f32_f16_sdwa v9, v9 dst_sel:DWORD dst_unused:UNUSED_PAD src0_sel:WORD_1
	v_cvt_f32_f16_e32 v10, v11
	v_cvt_f32_f16_sdwa v11, v11 dst_sel:DWORD dst_unused:UNUSED_PAD src0_sel:WORD_1
	v_pk_fma_f32 v[4:5], v[4:5], v[12:13], 0 op_sel_hi:[0,1,0]
	v_pk_fma_f32 v[2:3], v[2:3], v[16:17], v[4:5] op_sel_hi:[0,1,1]
	v_pk_fma_f32 v[2:3], v[14:15], v[8:9], v[2:3] op_sel_hi:[0,1,1]
	v_pk_fma_f32 v[2:3], v[6:7], v[10:11], v[2:3] op_sel_hi:[0,1,1]
	global_store_dwordx2 v1, v[2:3], s[2:3] offset:512
	v_add_u32_e32 v1, 9, v0
	v_lshlrev_b32_e32 v2, 2, v1
	v_and_b32_e32 v3, 15, v1
	v_and_or_b32 v2, v2, s5, v3
	v_mad_u32_u24 v14, v2, s4, 0
	v_add_u32_e32 v10, v14, v65
	ds_read2st64_b32 v[2:3], v10 offset1:1
	ds_read2st64_b32 v[4:5], v14 offset0:2 offset1:35
	ds_read2st64_b32 v[6:7], v10 offset0:33 offset1:34
	ds_read2st64_b32 v[8:9], v10 offset0:66 offset1:67
	ds_read2st64_b32 v[10:11], v10 offset0:99 offset1:100
	s_waitcnt lgkmcnt(4)
	v_cvt_f32_f16_e32 v12, v2
	v_cvt_f32_f16_sdwa v13, v2 dst_sel:DWORD dst_unused:UNUSED_PAD src0_sel:WORD_1
	ds_read2st64_b32 v[14:15], v14 offset0:68 offset1:101
	s_waitcnt lgkmcnt(3)
	v_cvt_f32_f16_e32 v16, v6
	v_cvt_f32_f16_sdwa v17, v6 dst_sel:DWORD dst_unused:UNUSED_PAD src0_sel:WORD_1
	s_waitcnt lgkmcnt(2)
	v_cvt_f32_f16_e32 v18, v8
	v_cvt_f32_f16_sdwa v19, v8 dst_sel:DWORD dst_unused:UNUSED_PAD src0_sel:WORD_1
	s_waitcnt lgkmcnt(1)
	v_cvt_f32_f16_e32 v20, v10
	v_cvt_f32_f16_sdwa v21, v10 dst_sel:DWORD dst_unused:UNUSED_PAD src0_sel:WORD_1
	v_pk_fma_f32 v[12:13], v[4:5], v[12:13], 0 op_sel_hi:[0,1,0]
	v_mov_b32_e32 v2, v5
	v_pk_fma_f32 v[12:13], v[2:3], v[16:17], v[12:13] op_sel_hi:[0,1,1]
	v_lshlrev_b32_e32 v1, 7, v1
	s_waitcnt lgkmcnt(0)
	v_pk_fma_f32 v[12:13], v[14:15], v[18:19], v[12:13] op_sel_hi:[0,1,1]
	v_mov_b32_e32 v6, v15
	v_add_lshl_u32 v1, v64, v1, 3
	v_pk_fma_f32 v[12:13], v[6:7], v[20:21], v[12:13] op_sel_hi:[0,1,1]
	global_store_dwordx2 v1, v[12:13], s[2:3]
	v_cvt_f32_f16_e32 v12, v3
	v_cvt_f32_f16_sdwa v13, v3 dst_sel:DWORD dst_unused:UNUSED_PAD src0_sel:WORD_1
	v_cvt_f32_f16_e32 v16, v7
	v_cvt_f32_f16_sdwa v17, v7 dst_sel:DWORD dst_unused:UNUSED_PAD src0_sel:WORD_1
	v_cvt_f32_f16_e32 v8, v9
	v_cvt_f32_f16_sdwa v9, v9 dst_sel:DWORD dst_unused:UNUSED_PAD src0_sel:WORD_1
	v_cvt_f32_f16_e32 v10, v11
	v_cvt_f32_f16_sdwa v11, v11 dst_sel:DWORD dst_unused:UNUSED_PAD src0_sel:WORD_1
	v_pk_fma_f32 v[4:5], v[4:5], v[12:13], 0 op_sel_hi:[0,1,0]
	v_pk_fma_f32 v[2:3], v[2:3], v[16:17], v[4:5] op_sel_hi:[0,1,1]
	v_pk_fma_f32 v[2:3], v[14:15], v[8:9], v[2:3] op_sel_hi:[0,1,1]
	v_pk_fma_f32 v[2:3], v[6:7], v[10:11], v[2:3] op_sel_hi:[0,1,1]
	global_store_dwordx2 v1, v[2:3], s[2:3] offset:512
	v_add_u32_e32 v1, 10, v0
	v_lshlrev_b32_e32 v2, 2, v1
	v_and_b32_e32 v3, 15, v1
	v_and_or_b32 v2, v2, s5, v3
	v_mad_u32_u24 v14, v2, s4, 0
	v_add_u32_e32 v10, v14, v65
	ds_read2st64_b32 v[2:3], v10 offset1:1
	ds_read2st64_b32 v[4:5], v14 offset0:2 offset1:35
	ds_read2st64_b32 v[6:7], v10 offset0:33 offset1:34
	ds_read2st64_b32 v[8:9], v10 offset0:66 offset1:67
	ds_read2st64_b32 v[10:11], v10 offset0:99 offset1:100
	s_waitcnt lgkmcnt(4)
	v_cvt_f32_f16_e32 v12, v2
	v_cvt_f32_f16_sdwa v13, v2 dst_sel:DWORD dst_unused:UNUSED_PAD src0_sel:WORD_1
	ds_read2st64_b32 v[14:15], v14 offset0:68 offset1:101
	s_waitcnt lgkmcnt(3)
	v_cvt_f32_f16_e32 v16, v6
	v_cvt_f32_f16_sdwa v17, v6 dst_sel:DWORD dst_unused:UNUSED_PAD src0_sel:WORD_1
	s_waitcnt lgkmcnt(2)
	v_cvt_f32_f16_e32 v18, v8
	v_cvt_f32_f16_sdwa v19, v8 dst_sel:DWORD dst_unused:UNUSED_PAD src0_sel:WORD_1
	s_waitcnt lgkmcnt(1)
	v_cvt_f32_f16_e32 v20, v10
	v_cvt_f32_f16_sdwa v21, v10 dst_sel:DWORD dst_unused:UNUSED_PAD src0_sel:WORD_1
	v_pk_fma_f32 v[12:13], v[4:5], v[12:13], 0 op_sel_hi:[0,1,0]
	v_mov_b32_e32 v2, v5
	v_pk_fma_f32 v[12:13], v[2:3], v[16:17], v[12:13] op_sel_hi:[0,1,1]
	v_lshlrev_b32_e32 v1, 7, v1
	s_waitcnt lgkmcnt(0)
	v_pk_fma_f32 v[12:13], v[14:15], v[18:19], v[12:13] op_sel_hi:[0,1,1]
	v_mov_b32_e32 v6, v15
	v_add_lshl_u32 v1, v64, v1, 3
	v_pk_fma_f32 v[12:13], v[6:7], v[20:21], v[12:13] op_sel_hi:[0,1,1]
	global_store_dwordx2 v1, v[12:13], s[2:3]
	v_cvt_f32_f16_e32 v12, v3
	v_cvt_f32_f16_sdwa v13, v3 dst_sel:DWORD dst_unused:UNUSED_PAD src0_sel:WORD_1
	v_cvt_f32_f16_e32 v16, v7
	v_cvt_f32_f16_sdwa v17, v7 dst_sel:DWORD dst_unused:UNUSED_PAD src0_sel:WORD_1
	v_cvt_f32_f16_e32 v8, v9
	v_cvt_f32_f16_sdwa v9, v9 dst_sel:DWORD dst_unused:UNUSED_PAD src0_sel:WORD_1
	v_cvt_f32_f16_e32 v10, v11
	v_cvt_f32_f16_sdwa v11, v11 dst_sel:DWORD dst_unused:UNUSED_PAD src0_sel:WORD_1
	v_pk_fma_f32 v[4:5], v[4:5], v[12:13], 0 op_sel_hi:[0,1,0]
	v_pk_fma_f32 v[2:3], v[2:3], v[16:17], v[4:5] op_sel_hi:[0,1,1]
	v_pk_fma_f32 v[2:3], v[14:15], v[8:9], v[2:3] op_sel_hi:[0,1,1]
	v_pk_fma_f32 v[2:3], v[6:7], v[10:11], v[2:3] op_sel_hi:[0,1,1]
	global_store_dwordx2 v1, v[2:3], s[2:3] offset:512
	v_add_u32_e32 v1, 11, v0
	v_lshlrev_b32_e32 v2, 2, v1
	v_and_b32_e32 v3, 15, v1
	v_and_or_b32 v2, v2, s5, v3
	v_mad_u32_u24 v14, v2, s4, 0
	v_add_u32_e32 v10, v14, v65
	ds_read2st64_b32 v[2:3], v10 offset1:1
	ds_read2st64_b32 v[4:5], v14 offset0:2 offset1:35
	ds_read2st64_b32 v[6:7], v10 offset0:33 offset1:34
	ds_read2st64_b32 v[8:9], v10 offset0:66 offset1:67
	ds_read2st64_b32 v[10:11], v10 offset0:99 offset1:100
	s_waitcnt lgkmcnt(4)
	v_cvt_f32_f16_e32 v12, v2
	v_cvt_f32_f16_sdwa v13, v2 dst_sel:DWORD dst_unused:UNUSED_PAD src0_sel:WORD_1
	ds_read2st64_b32 v[14:15], v14 offset0:68 offset1:101
	s_waitcnt lgkmcnt(3)
	v_cvt_f32_f16_e32 v16, v6
	v_cvt_f32_f16_sdwa v17, v6 dst_sel:DWORD dst_unused:UNUSED_PAD src0_sel:WORD_1
	s_waitcnt lgkmcnt(2)
	v_cvt_f32_f16_e32 v18, v8
	v_cvt_f32_f16_sdwa v19, v8 dst_sel:DWORD dst_unused:UNUSED_PAD src0_sel:WORD_1
	s_waitcnt lgkmcnt(1)
	v_cvt_f32_f16_e32 v20, v10
	v_cvt_f32_f16_sdwa v21, v10 dst_sel:DWORD dst_unused:UNUSED_PAD src0_sel:WORD_1
	v_pk_fma_f32 v[12:13], v[4:5], v[12:13], 0 op_sel_hi:[0,1,0]
	v_mov_b32_e32 v2, v5
	v_pk_fma_f32 v[12:13], v[2:3], v[16:17], v[12:13] op_sel_hi:[0,1,1]
	v_lshlrev_b32_e32 v1, 7, v1
	s_waitcnt lgkmcnt(0)
	v_pk_fma_f32 v[12:13], v[14:15], v[18:19], v[12:13] op_sel_hi:[0,1,1]
	v_mov_b32_e32 v6, v15
	v_add_lshl_u32 v1, v64, v1, 3
	v_pk_fma_f32 v[12:13], v[6:7], v[20:21], v[12:13] op_sel_hi:[0,1,1]
	global_store_dwordx2 v1, v[12:13], s[2:3]
	v_cvt_f32_f16_e32 v12, v3
	v_cvt_f32_f16_sdwa v13, v3 dst_sel:DWORD dst_unused:UNUSED_PAD src0_sel:WORD_1
	v_cvt_f32_f16_e32 v16, v7
	v_cvt_f32_f16_sdwa v17, v7 dst_sel:DWORD dst_unused:UNUSED_PAD src0_sel:WORD_1
	v_cvt_f32_f16_e32 v8, v9
	v_cvt_f32_f16_sdwa v9, v9 dst_sel:DWORD dst_unused:UNUSED_PAD src0_sel:WORD_1
	v_cvt_f32_f16_e32 v10, v11
	v_cvt_f32_f16_sdwa v11, v11 dst_sel:DWORD dst_unused:UNUSED_PAD src0_sel:WORD_1
	v_pk_fma_f32 v[4:5], v[4:5], v[12:13], 0 op_sel_hi:[0,1,0]
	v_pk_fma_f32 v[2:3], v[2:3], v[16:17], v[4:5] op_sel_hi:[0,1,1]
	v_pk_fma_f32 v[2:3], v[14:15], v[8:9], v[2:3] op_sel_hi:[0,1,1]
	v_pk_fma_f32 v[2:3], v[6:7], v[10:11], v[2:3] op_sel_hi:[0,1,1]
	global_store_dwordx2 v1, v[2:3], s[2:3] offset:512
	v_add_u32_e32 v1, 12, v0
	v_lshlrev_b32_e32 v2, 2, v1
	v_and_b32_e32 v3, 15, v1
	v_and_or_b32 v2, v2, s5, v3
	v_mad_u32_u24 v14, v2, s4, 0
	v_add_u32_e32 v10, v14, v65
	ds_read2st64_b32 v[2:3], v10 offset1:1
	ds_read2st64_b32 v[4:5], v14 offset0:2 offset1:35
	ds_read2st64_b32 v[6:7], v10 offset0:33 offset1:34
	ds_read2st64_b32 v[8:9], v10 offset0:66 offset1:67
	ds_read2st64_b32 v[10:11], v10 offset0:99 offset1:100
	s_waitcnt lgkmcnt(4)
	v_cvt_f32_f16_e32 v12, v2
	v_cvt_f32_f16_sdwa v13, v2 dst_sel:DWORD dst_unused:UNUSED_PAD src0_sel:WORD_1
	ds_read2st64_b32 v[14:15], v14 offset0:68 offset1:101
	s_waitcnt lgkmcnt(3)
	v_cvt_f32_f16_e32 v16, v6
	v_cvt_f32_f16_sdwa v17, v6 dst_sel:DWORD dst_unused:UNUSED_PAD src0_sel:WORD_1
	s_waitcnt lgkmcnt(2)
	v_cvt_f32_f16_e32 v18, v8
	v_cvt_f32_f16_sdwa v19, v8 dst_sel:DWORD dst_unused:UNUSED_PAD src0_sel:WORD_1
	s_waitcnt lgkmcnt(1)
	v_cvt_f32_f16_e32 v20, v10
	v_cvt_f32_f16_sdwa v21, v10 dst_sel:DWORD dst_unused:UNUSED_PAD src0_sel:WORD_1
	v_pk_fma_f32 v[12:13], v[4:5], v[12:13], 0 op_sel_hi:[0,1,0]
	v_mov_b32_e32 v2, v5
	v_pk_fma_f32 v[12:13], v[2:3], v[16:17], v[12:13] op_sel_hi:[0,1,1]
	v_lshlrev_b32_e32 v1, 7, v1
	s_waitcnt lgkmcnt(0)
	v_pk_fma_f32 v[12:13], v[14:15], v[18:19], v[12:13] op_sel_hi:[0,1,1]
	v_mov_b32_e32 v6, v15
	v_add_lshl_u32 v1, v64, v1, 3
	v_pk_fma_f32 v[12:13], v[6:7], v[20:21], v[12:13] op_sel_hi:[0,1,1]
	global_store_dwordx2 v1, v[12:13], s[2:3]
	v_cvt_f32_f16_e32 v12, v3
	v_cvt_f32_f16_sdwa v13, v3 dst_sel:DWORD dst_unused:UNUSED_PAD src0_sel:WORD_1
	v_cvt_f32_f16_e32 v16, v7
	v_cvt_f32_f16_sdwa v17, v7 dst_sel:DWORD dst_unused:UNUSED_PAD src0_sel:WORD_1
	v_cvt_f32_f16_e32 v8, v9
	v_cvt_f32_f16_sdwa v9, v9 dst_sel:DWORD dst_unused:UNUSED_PAD src0_sel:WORD_1
	v_cvt_f32_f16_e32 v10, v11
	v_cvt_f32_f16_sdwa v11, v11 dst_sel:DWORD dst_unused:UNUSED_PAD src0_sel:WORD_1
	v_pk_fma_f32 v[4:5], v[4:5], v[12:13], 0 op_sel_hi:[0,1,0]
	v_pk_fma_f32 v[2:3], v[2:3], v[16:17], v[4:5] op_sel_hi:[0,1,1]
	v_pk_fma_f32 v[2:3], v[14:15], v[8:9], v[2:3] op_sel_hi:[0,1,1]
	v_pk_fma_f32 v[2:3], v[6:7], v[10:11], v[2:3] op_sel_hi:[0,1,1]
	global_store_dwordx2 v1, v[2:3], s[2:3] offset:512
	v_add_u32_e32 v1, 13, v0
	v_lshlrev_b32_e32 v2, 2, v1
	v_and_b32_e32 v3, 15, v1
	v_and_or_b32 v2, v2, s5, v3
	v_mad_u32_u24 v14, v2, s4, 0
	v_add_u32_e32 v10, v14, v65
	ds_read2st64_b32 v[2:3], v10 offset1:1
	ds_read2st64_b32 v[4:5], v14 offset0:2 offset1:35
	ds_read2st64_b32 v[6:7], v10 offset0:33 offset1:34
	ds_read2st64_b32 v[8:9], v10 offset0:66 offset1:67
	ds_read2st64_b32 v[10:11], v10 offset0:99 offset1:100
	s_waitcnt lgkmcnt(4)
	v_cvt_f32_f16_e32 v12, v2
	v_cvt_f32_f16_sdwa v13, v2 dst_sel:DWORD dst_unused:UNUSED_PAD src0_sel:WORD_1
	ds_read2st64_b32 v[14:15], v14 offset0:68 offset1:101
	s_waitcnt lgkmcnt(3)
	v_cvt_f32_f16_e32 v16, v6
	v_cvt_f32_f16_sdwa v17, v6 dst_sel:DWORD dst_unused:UNUSED_PAD src0_sel:WORD_1
	s_waitcnt lgkmcnt(2)
	v_cvt_f32_f16_e32 v18, v8
	v_cvt_f32_f16_sdwa v19, v8 dst_sel:DWORD dst_unused:UNUSED_PAD src0_sel:WORD_1
	s_waitcnt lgkmcnt(1)
	v_cvt_f32_f16_e32 v20, v10
	v_cvt_f32_f16_sdwa v21, v10 dst_sel:DWORD dst_unused:UNUSED_PAD src0_sel:WORD_1
	v_pk_fma_f32 v[12:13], v[4:5], v[12:13], 0 op_sel_hi:[0,1,0]
	v_mov_b32_e32 v2, v5
	v_pk_fma_f32 v[12:13], v[2:3], v[16:17], v[12:13] op_sel_hi:[0,1,1]
	v_lshlrev_b32_e32 v1, 7, v1
	s_waitcnt lgkmcnt(0)
	v_pk_fma_f32 v[12:13], v[14:15], v[18:19], v[12:13] op_sel_hi:[0,1,1]
	v_mov_b32_e32 v6, v15
	v_add_lshl_u32 v1, v64, v1, 3
	v_pk_fma_f32 v[12:13], v[6:7], v[20:21], v[12:13] op_sel_hi:[0,1,1]
	global_store_dwordx2 v1, v[12:13], s[2:3]
	v_cvt_f32_f16_e32 v12, v3
	v_cvt_f32_f16_sdwa v13, v3 dst_sel:DWORD dst_unused:UNUSED_PAD src0_sel:WORD_1
	v_cvt_f32_f16_e32 v16, v7
	v_cvt_f32_f16_sdwa v17, v7 dst_sel:DWORD dst_unused:UNUSED_PAD src0_sel:WORD_1
	v_cvt_f32_f16_e32 v8, v9
	v_cvt_f32_f16_sdwa v9, v9 dst_sel:DWORD dst_unused:UNUSED_PAD src0_sel:WORD_1
	v_cvt_f32_f16_e32 v10, v11
	v_cvt_f32_f16_sdwa v11, v11 dst_sel:DWORD dst_unused:UNUSED_PAD src0_sel:WORD_1
	v_pk_fma_f32 v[4:5], v[4:5], v[12:13], 0 op_sel_hi:[0,1,0]
	v_pk_fma_f32 v[2:3], v[2:3], v[16:17], v[4:5] op_sel_hi:[0,1,1]
	v_pk_fma_f32 v[2:3], v[14:15], v[8:9], v[2:3] op_sel_hi:[0,1,1]
	v_pk_fma_f32 v[2:3], v[6:7], v[10:11], v[2:3] op_sel_hi:[0,1,1]
	global_store_dwordx2 v1, v[2:3], s[2:3] offset:512
	v_add_u32_e32 v1, 14, v0
	v_lshlrev_b32_e32 v2, 2, v1
	v_and_b32_e32 v3, 15, v1
	v_and_or_b32 v2, v2, s5, v3
	v_mad_u32_u24 v14, v2, s4, 0
	v_add_u32_e32 v10, v14, v65
	ds_read2st64_b32 v[2:3], v10 offset1:1
	ds_read2st64_b32 v[4:5], v14 offset0:2 offset1:35
	ds_read2st64_b32 v[6:7], v10 offset0:33 offset1:34
	;; [unrolled: 1-line block ×4, first 2 shown]
	s_waitcnt lgkmcnt(4)
	v_cvt_f32_f16_e32 v12, v2
	v_cvt_f32_f16_sdwa v13, v2 dst_sel:DWORD dst_unused:UNUSED_PAD src0_sel:WORD_1
	ds_read2st64_b32 v[14:15], v14 offset0:68 offset1:101
	s_waitcnt lgkmcnt(3)
	v_cvt_f32_f16_e32 v16, v6
	v_cvt_f32_f16_sdwa v17, v6 dst_sel:DWORD dst_unused:UNUSED_PAD src0_sel:WORD_1
	s_waitcnt lgkmcnt(2)
	v_cvt_f32_f16_e32 v18, v8
	v_cvt_f32_f16_sdwa v19, v8 dst_sel:DWORD dst_unused:UNUSED_PAD src0_sel:WORD_1
	;; [unrolled: 3-line block ×3, first 2 shown]
	v_pk_fma_f32 v[12:13], v[4:5], v[12:13], 0 op_sel_hi:[0,1,0]
	v_mov_b32_e32 v2, v5
	v_pk_fma_f32 v[12:13], v[2:3], v[16:17], v[12:13] op_sel_hi:[0,1,1]
	v_lshlrev_b32_e32 v1, 7, v1
	s_waitcnt lgkmcnt(0)
	v_pk_fma_f32 v[12:13], v[14:15], v[18:19], v[12:13] op_sel_hi:[0,1,1]
	v_mov_b32_e32 v6, v15
	v_add_lshl_u32 v1, v64, v1, 3
	v_pk_fma_f32 v[12:13], v[6:7], v[20:21], v[12:13] op_sel_hi:[0,1,1]
	global_store_dwordx2 v1, v[12:13], s[2:3]
	v_cvt_f32_f16_e32 v12, v3
	v_cvt_f32_f16_sdwa v13, v3 dst_sel:DWORD dst_unused:UNUSED_PAD src0_sel:WORD_1
	v_cvt_f32_f16_e32 v16, v7
	v_cvt_f32_f16_sdwa v17, v7 dst_sel:DWORD dst_unused:UNUSED_PAD src0_sel:WORD_1
	v_cvt_f32_f16_e32 v8, v9
	v_cvt_f32_f16_sdwa v9, v9 dst_sel:DWORD dst_unused:UNUSED_PAD src0_sel:WORD_1
	v_cvt_f32_f16_e32 v10, v11
	v_cvt_f32_f16_sdwa v11, v11 dst_sel:DWORD dst_unused:UNUSED_PAD src0_sel:WORD_1
	v_pk_fma_f32 v[4:5], v[4:5], v[12:13], 0 op_sel_hi:[0,1,0]
	v_pk_fma_f32 v[2:3], v[2:3], v[16:17], v[4:5] op_sel_hi:[0,1,1]
	;; [unrolled: 1-line block ×4, first 2 shown]
	v_add_u32_e32 v12, 15, v0
	global_store_dwordx2 v1, v[2:3], s[2:3] offset:512
	v_lshlrev_b32_e32 v0, 2, v12
	v_and_b32_e32 v1, 15, v12
	v_and_or_b32 v0, v0, s5, v1
	v_mad_u32_u24 v13, v0, s4, 0
	v_add_u32_e32 v8, v13, v65
	ds_read2st64_b32 v[0:1], v8 offset1:1
	ds_read2st64_b32 v[2:3], v13 offset0:2 offset1:35
	ds_read2st64_b32 v[4:5], v8 offset0:33 offset1:34
	;; [unrolled: 1-line block ×4, first 2 shown]
	s_waitcnt lgkmcnt(4)
	v_cvt_f32_f16_e32 v10, v0
	v_cvt_f32_f16_sdwa v11, v0 dst_sel:DWORD dst_unused:UNUSED_PAD src0_sel:WORD_1
	v_lshlrev_b32_e32 v0, 7, v12
	ds_read2st64_b32 v[12:13], v13 offset0:68 offset1:101
	s_waitcnt lgkmcnt(3)
	v_cvt_f32_f16_e32 v14, v4
	v_cvt_f32_f16_sdwa v15, v4 dst_sel:DWORD dst_unused:UNUSED_PAD src0_sel:WORD_1
	s_waitcnt lgkmcnt(2)
	v_cvt_f32_f16_e32 v16, v6
	v_cvt_f32_f16_sdwa v17, v6 dst_sel:DWORD dst_unused:UNUSED_PAD src0_sel:WORD_1
	s_waitcnt lgkmcnt(1)
	v_cvt_f32_f16_e32 v18, v8
	v_cvt_f32_f16_sdwa v19, v8 dst_sel:DWORD dst_unused:UNUSED_PAD src0_sel:WORD_1
	v_add_lshl_u32 v20, v64, v0, 3
	v_pk_fma_f32 v[10:11], v[2:3], v[10:11], 0 op_sel_hi:[0,1,0]
	v_mov_b32_e32 v0, v3
	v_pk_fma_f32 v[10:11], v[0:1], v[14:15], v[10:11] op_sel_hi:[0,1,1]
	s_waitcnt lgkmcnt(0)
	v_pk_fma_f32 v[10:11], v[12:13], v[16:17], v[10:11] op_sel_hi:[0,1,1]
	v_mov_b32_e32 v4, v13
	v_pk_fma_f32 v[10:11], v[4:5], v[18:19], v[10:11] op_sel_hi:[0,1,1]
	global_store_dwordx2 v20, v[10:11], s[2:3]
	v_cvt_f32_f16_e32 v10, v1
	v_cvt_f32_f16_sdwa v11, v1 dst_sel:DWORD dst_unused:UNUSED_PAD src0_sel:WORD_1
	v_cvt_f32_f16_e32 v14, v5
	v_cvt_f32_f16_sdwa v15, v5 dst_sel:DWORD dst_unused:UNUSED_PAD src0_sel:WORD_1
	;; [unrolled: 2-line block ×4, first 2 shown]
	v_pk_fma_f32 v[2:3], v[2:3], v[10:11], 0 op_sel_hi:[0,1,0]
	v_pk_fma_f32 v[0:1], v[0:1], v[14:15], v[2:3] op_sel_hi:[0,1,1]
	;; [unrolled: 1-line block ×4, first 2 shown]
	global_store_dwordx2 v20, v[0:1], s[2:3] offset:512
.LBB30_432:
	s_or_b64 exec, exec, s[0:1]
	s_barrier
	s_endpgm
	.section	.rodata,"a",@progbits
	.p2align	6, 0x0
	.amdhsa_kernel _ZL18flash_attn_ext_f16ILi256ELi256ELi16ELi1ELb1ELb0EEvPKcS1_S1_S1_S1_PKiPfP15HIP_vector_typeIfLj2EEffffjfiS5_IjLj3EEiiiiiiiiiiiliiliiiiil
		.amdhsa_group_segment_fixed_size 0
		.amdhsa_private_segment_fixed_size 32
		.amdhsa_kernarg_size 464
		.amdhsa_user_sgpr_count 2
		.amdhsa_user_sgpr_dispatch_ptr 0
		.amdhsa_user_sgpr_queue_ptr 0
		.amdhsa_user_sgpr_kernarg_segment_ptr 1
		.amdhsa_user_sgpr_dispatch_id 0
		.amdhsa_user_sgpr_kernarg_preload_length 0
		.amdhsa_user_sgpr_kernarg_preload_offset 0
		.amdhsa_user_sgpr_private_segment_size 0
		.amdhsa_uses_dynamic_stack 0
		.amdhsa_enable_private_segment 1
		.amdhsa_system_sgpr_workgroup_id_x 1
		.amdhsa_system_sgpr_workgroup_id_y 0
		.amdhsa_system_sgpr_workgroup_id_z 0
		.amdhsa_system_sgpr_workgroup_info 0
		.amdhsa_system_vgpr_workitem_id 1
		.amdhsa_next_free_vgpr 354
		.amdhsa_next_free_sgpr 100
		.amdhsa_accum_offset 256
		.amdhsa_reserve_vcc 1
		.amdhsa_float_round_mode_32 0
		.amdhsa_float_round_mode_16_64 0
		.amdhsa_float_denorm_mode_32 3
		.amdhsa_float_denorm_mode_16_64 3
		.amdhsa_dx10_clamp 1
		.amdhsa_ieee_mode 1
		.amdhsa_fp16_overflow 0
		.amdhsa_tg_split 0
		.amdhsa_exception_fp_ieee_invalid_op 0
		.amdhsa_exception_fp_denorm_src 0
		.amdhsa_exception_fp_ieee_div_zero 0
		.amdhsa_exception_fp_ieee_overflow 0
		.amdhsa_exception_fp_ieee_underflow 0
		.amdhsa_exception_fp_ieee_inexact 0
		.amdhsa_exception_int_div_zero 0
	.end_amdhsa_kernel
	.section	.text._ZL18flash_attn_ext_f16ILi256ELi256ELi16ELi1ELb1ELb0EEvPKcS1_S1_S1_S1_PKiPfP15HIP_vector_typeIfLj2EEffffjfiS5_IjLj3EEiiiiiiiiiiiliiliiiiil,"axG",@progbits,_ZL18flash_attn_ext_f16ILi256ELi256ELi16ELi1ELb1ELb0EEvPKcS1_S1_S1_S1_PKiPfP15HIP_vector_typeIfLj2EEffffjfiS5_IjLj3EEiiiiiiiiiiiliiliiiiil,comdat
.Lfunc_end30:
	.size	_ZL18flash_attn_ext_f16ILi256ELi256ELi16ELi1ELb1ELb0EEvPKcS1_S1_S1_S1_PKiPfP15HIP_vector_typeIfLj2EEffffjfiS5_IjLj3EEiiiiiiiiiiiliiliiiiil, .Lfunc_end30-_ZL18flash_attn_ext_f16ILi256ELi256ELi16ELi1ELb1ELb0EEvPKcS1_S1_S1_S1_PKiPfP15HIP_vector_typeIfLj2EEffffjfiS5_IjLj3EEiiiiiiiiiiiliiliiiiil
                                        ; -- End function
	.set _ZL18flash_attn_ext_f16ILi256ELi256ELi16ELi1ELb1ELb0EEvPKcS1_S1_S1_S1_PKiPfP15HIP_vector_typeIfLj2EEffffjfiS5_IjLj3EEiiiiiiiiiiiliiliiiiil.num_vgpr, 256
	.set _ZL18flash_attn_ext_f16ILi256ELi256ELi16ELi1ELb1ELb0EEvPKcS1_S1_S1_S1_PKiPfP15HIP_vector_typeIfLj2EEffffjfiS5_IjLj3EEiiiiiiiiiiiliiliiiiil.num_agpr, 98
	.set _ZL18flash_attn_ext_f16ILi256ELi256ELi16ELi1ELb1ELb0EEvPKcS1_S1_S1_S1_PKiPfP15HIP_vector_typeIfLj2EEffffjfiS5_IjLj3EEiiiiiiiiiiiliiliiiiil.numbered_sgpr, 100
	.set _ZL18flash_attn_ext_f16ILi256ELi256ELi16ELi1ELb1ELb0EEvPKcS1_S1_S1_S1_PKiPfP15HIP_vector_typeIfLj2EEffffjfiS5_IjLj3EEiiiiiiiiiiiliiliiiiil.num_named_barrier, 0
	.set _ZL18flash_attn_ext_f16ILi256ELi256ELi16ELi1ELb1ELb0EEvPKcS1_S1_S1_S1_PKiPfP15HIP_vector_typeIfLj2EEffffjfiS5_IjLj3EEiiiiiiiiiiiliiliiiiil.private_seg_size, 32
	.set _ZL18flash_attn_ext_f16ILi256ELi256ELi16ELi1ELb1ELb0EEvPKcS1_S1_S1_S1_PKiPfP15HIP_vector_typeIfLj2EEffffjfiS5_IjLj3EEiiiiiiiiiiiliiliiiiil.uses_vcc, 1
	.set _ZL18flash_attn_ext_f16ILi256ELi256ELi16ELi1ELb1ELb0EEvPKcS1_S1_S1_S1_PKiPfP15HIP_vector_typeIfLj2EEffffjfiS5_IjLj3EEiiiiiiiiiiiliiliiiiil.uses_flat_scratch, 0
	.set _ZL18flash_attn_ext_f16ILi256ELi256ELi16ELi1ELb1ELb0EEvPKcS1_S1_S1_S1_PKiPfP15HIP_vector_typeIfLj2EEffffjfiS5_IjLj3EEiiiiiiiiiiiliiliiiiil.has_dyn_sized_stack, 0
	.set _ZL18flash_attn_ext_f16ILi256ELi256ELi16ELi1ELb1ELb0EEvPKcS1_S1_S1_S1_PKiPfP15HIP_vector_typeIfLj2EEffffjfiS5_IjLj3EEiiiiiiiiiiiliiliiiiil.has_recursion, 0
	.set _ZL18flash_attn_ext_f16ILi256ELi256ELi16ELi1ELb1ELb0EEvPKcS1_S1_S1_S1_PKiPfP15HIP_vector_typeIfLj2EEffffjfiS5_IjLj3EEiiiiiiiiiiiliiliiiiil.has_indirect_call, 0
	.section	.AMDGPU.csdata,"",@progbits
; Kernel info:
; codeLenInByte = 76668
; TotalNumSgprs: 106
; NumVgprs: 256
; NumAgprs: 98
; TotalNumVgprs: 354
; ScratchSize: 32
; MemoryBound: 0
; FloatMode: 240
; IeeeMode: 1
; LDSByteSize: 0 bytes/workgroup (compile time only)
; SGPRBlocks: 13
; VGPRBlocks: 44
; NumSGPRsForWavesPerEU: 106
; NumVGPRsForWavesPerEU: 354
; AccumOffset: 256
; Occupancy: 1
; WaveLimiterHint : 1
; COMPUTE_PGM_RSRC2:SCRATCH_EN: 1
; COMPUTE_PGM_RSRC2:USER_SGPR: 2
; COMPUTE_PGM_RSRC2:TRAP_HANDLER: 0
; COMPUTE_PGM_RSRC2:TGID_X_EN: 1
; COMPUTE_PGM_RSRC2:TGID_Y_EN: 0
; COMPUTE_PGM_RSRC2:TGID_Z_EN: 0
; COMPUTE_PGM_RSRC2:TIDIG_COMP_CNT: 1
; COMPUTE_PGM_RSRC3_GFX90A:ACCUM_OFFSET: 63
; COMPUTE_PGM_RSRC3_GFX90A:TG_SPLIT: 0
	.section	.text._ZL33flash_attn_stream_k_fixup_uniformILi256ELi16ELi1EEvPfPK15HIP_vector_typeIfLj2EEiiiiiiS1_IjLj3EES5_S5_,"axG",@progbits,_ZL33flash_attn_stream_k_fixup_uniformILi256ELi16ELi1EEvPfPK15HIP_vector_typeIfLj2EEiiiiiiS1_IjLj3EES5_S5_,comdat
	.globl	_ZL33flash_attn_stream_k_fixup_uniformILi256ELi16ELi1EEvPfPK15HIP_vector_typeIfLj2EEiiiiiiS1_IjLj3EES5_S5_ ; -- Begin function _ZL33flash_attn_stream_k_fixup_uniformILi256ELi16ELi1EEvPfPK15HIP_vector_typeIfLj2EEiiiiiiS1_IjLj3EES5_S5_
	.p2align	8
	.type	_ZL33flash_attn_stream_k_fixup_uniformILi256ELi16ELi1EEvPfPK15HIP_vector_typeIfLj2EEiiiiiiS1_IjLj3EES5_S5_,@function
_ZL33flash_attn_stream_k_fixup_uniformILi256ELi16ELi1EEvPfPK15HIP_vector_typeIfLj2EEiiiiiiS1_IjLj3EES5_S5_: ; @_ZL33flash_attn_stream_k_fixup_uniformILi256ELi16ELi1EEvPfPK15HIP_vector_typeIfLj2EEiiiiiiS1_IjLj3EES5_S5_
; %bb.0:
	s_load_dwordx8 s[8:15], s[0:1], 0x1c
	s_load_dwordx2 s[6:7], s[0:1], 0x10
	s_load_dwordx4 s[20:23], s[0:1], 0x3c
	s_waitcnt lgkmcnt(0)
	s_mul_hi_u32 s5, s11, s2
	s_add_i32 s5, s2, s5
	s_lshr_b32 s5, s5, s12
	s_mul_i32 s11, s5, s13
	s_sub_i32 s11, s2, s11
	s_mul_hi_u32 s12, s11, s14
	s_add_i32 s12, s11, s12
	s_lshr_b32 s16, s12, s15
	s_mul_i32 s12, s16, s20
	s_sub_i32 s12, s11, s12
	;; [unrolled: 5-line block ×3, first 2 shown]
	s_lshl_b32 s12, s17, 4
	s_add_i32 s12, s12, s3
	s_cmp_lt_i32 s12, s6
	s_cselect_b64 s[12:13], -1, 0
	s_add_i32 s14, s11, s4
	s_cmp_lt_i32 s14, s9
	s_cselect_b64 s[14:15], -1, 0
	s_and_b64 s[12:13], s[12:13], s[14:15]
	s_andn2_b64 vcc, exec, s[12:13]
	s_cbranch_vccnz .LBB31_6
; %bb.1:
	s_load_dwordx4 s[12:15], s[0:1], 0x0
	s_mul_i32 s0, s5, s6
	s_add_i32 s0, s0, s3
	s_mul_i32 s0, s0, s7
	s_mul_i32 s16, s16, s9
	s_add_i32 s0, s0, s4
	s_add_i32 s0, s0, s16
	s_mul_i32 s1, s7, s17
	s_add_i32 s0, s0, s11
	s_lshl_b32 s1, s1, 12
	s_lshl_b32 s0, s0, 8
	s_add_i32 s1, s1, s0
	v_or_b32_e32 v4, s1, v0
	s_waitcnt lgkmcnt(0)
	v_mov_b32_e32 v2, s12
	v_mov_b32_e32 v3, s13
	v_ashrrev_i32_e32 v5, 31, v4
	v_lshl_add_u64 v[2:3], v[4:5], 2, v[2:3]
	global_load_dword v5, v[2:3], off
	s_mul_i32 s6, s10, s2
	s_add_i32 s7, s6, s10
	s_add_i32 s3, s3, s4
	s_lshl_b32 s0, s7, 4
	s_add_i32 s0, s3, s0
	s_add_i32 s0, s0, -16
	s_ashr_i32 s1, s0, 31
	s_lshl_b64 s[0:1], s[0:1], 3
	s_add_u32 s0, s14, s0
	s_addc_u32 s1, s15, s1
	s_load_dword s9, s[0:1], 0x4
	s_add_i32 s4, s7, -2
	s_cmp_lt_i32 s4, s6
	s_cbranch_scc1 .LBB31_4
; %bb.2:
	s_lshl_b32 s4, s8, 6
	s_ashr_i32 s5, s4, 31
	s_lshl_b64 s[4:5], s[4:5], 2
	s_add_u32 s4, s14, s4
	s_addc_u32 s5, s15, s5
	s_add_i32 s2, s2, 1
	s_mul_i32 s2, s10, s2
	s_load_dword s0, s[0:1], 0x0
	s_lshl_b32 s1, s3, 8
	s_lshl_b32 s10, s2, 12
	s_add_i32 s1, s1, s10
	v_or_b32_e32 v0, s1, v0
	s_lshl_b32 s1, s2, 4
	s_add_i32 s1, s3, s1
	s_lshl_b32 s2, s8, 4
	s_add_i32 s1, s1, s2
	s_add_i32 s7, s7, -1
	v_add_u32_e32 v0, 0xffffe000, v0
	s_sub_i32 s2, s1, 32
	s_waitcnt lgkmcnt(0)
	v_mov_b32_e32 v7, s0
	v_mov_b32_e32 v4, s9
	s_mov_b32 s8, 0x3fb8aa3b
	s_mov_b32 s9, 0xc2ce8ed0
	;; [unrolled: 1-line block ×3, first 2 shown]
	v_mov_b32_e32 v6, 0x7f800000
	s_mov_b32 s11, 0xc1a00000
.LBB31_3:                               ; =>This Inner Loop Header: Depth=1
	v_ashrrev_i32_e32 v1, 31, v0
	v_lshl_add_u64 v[8:9], v[0:1], 2, s[4:5]
	global_load_dword v9, v[8:9], off
	s_ashr_i32 s3, s2, 31
	s_lshl_b64 s[0:1], s[2:3], 3
	s_add_u32 s0, s14, s0
	s_addc_u32 s1, s15, s1
	s_load_dwordx2 s[0:1], s[0:1], 0x0
	v_max_f32_e32 v1, v7, v7
	s_add_i32 s7, s7, -1
	s_add_i32 s2, s2, -16
	v_add_u32_e32 v0, 0xfffff000, v0
	s_waitcnt lgkmcnt(0)
	v_max_f32_e64 v10, s0, s0
	v_max_f32_e32 v1, v1, v10
	v_sub_f32_e32 v11, s0, v1
	v_sub_f32_e32 v10, v7, v1
	v_mul_f32_e32 v12, 0x3fb8aa3b, v11
	v_mov_b32_e32 v7, v1
	v_mul_f32_e32 v1, 0x3fb8aa3b, v10
	v_fma_f32 v15, v11, s8, -v12
	v_rndne_f32_e32 v16, v12
	v_fma_f32 v13, v10, s8, -v1
	v_rndne_f32_e32 v14, v1
	v_fmac_f32_e32 v15, 0x32a5705f, v11
	v_sub_f32_e32 v12, v12, v16
	v_fmac_f32_e32 v13, 0x32a5705f, v10
	v_sub_f32_e32 v1, v1, v14
	v_add_f32_e32 v12, v12, v15
	v_cvt_i32_f32_e32 v16, v16
	v_add_f32_e32 v1, v1, v13
	v_exp_f32_e32 v12, v12
	v_cvt_i32_f32_e32 v14, v14
	v_exp_f32_e32 v1, v1
	v_cmp_ngt_f32_e32 vcc, s9, v11
	v_ldexp_f32 v12, v12, v16
	v_mov_b32_e32 v8, s1
	v_ldexp_f32 v1, v1, v14
	v_cmp_ngt_f32_e64 s[0:1], s9, v10
	v_cndmask_b32_e32 v12, 0, v12, vcc
	v_cmp_nlt_f32_e32 vcc, s10, v11
	v_cndmask_b32_e64 v1, 0, v1, s[0:1]
	v_cmp_nlt_f32_e64 s[0:1], s10, v10
	v_cndmask_b32_e32 v12, v6, v12, vcc
	v_cmp_le_f32_e32 vcc, s11, v11
	v_cndmask_b32_e64 v1, v6, v1, s[0:1]
	v_cmp_le_f32_e64 s[0:1], s11, v10
	v_cndmask_b32_e32 v12, 0, v12, vcc
	s_cmp_le_i32 s7, s6
	v_cndmask_b32_e64 v10, 0, v1, s[0:1]
	s_waitcnt vmcnt(0)
	v_pk_mul_f32 v[8:9], v[8:9], v[12:13] op_sel_hi:[1,0]
	s_nop 0
	v_pk_fma_f32 v[4:5], v[4:5], v[10:11], v[8:9] op_sel_hi:[1,0,1]
	s_cbranch_scc0 .LBB31_3
	s_branch .LBB31_5
.LBB31_4:
	s_waitcnt lgkmcnt(0)
	v_mov_b32_e32 v4, s9
.LBB31_5:
	s_waitcnt vmcnt(0)
	v_div_scale_f32 v0, s[0:1], v4, v4, v5
	v_rcp_f32_e32 v1, v0
	v_div_scale_f32 v6, vcc, v5, v4, v5
	v_fma_f32 v7, -v0, v1, 1.0
	v_fmac_f32_e32 v1, v7, v1
	v_mul_f32_e32 v7, v6, v1
	v_fma_f32 v8, -v0, v7, v6
	v_fmac_f32_e32 v7, v8, v1
	v_fma_f32 v0, -v0, v7, v6
	v_div_fmas_f32 v0, v0, v1, v7
	v_div_fixup_f32 v0, v0, v4, v5
	global_store_dword v[2:3], v0, off
.LBB31_6:
	s_endpgm
	.section	.rodata,"a",@progbits
	.p2align	6, 0x0
	.amdhsa_kernel _ZL33flash_attn_stream_k_fixup_uniformILi256ELi16ELi1EEvPfPK15HIP_vector_typeIfLj2EEiiiiiiS1_IjLj3EES5_S5_
		.amdhsa_group_segment_fixed_size 0
		.amdhsa_private_segment_fixed_size 0
		.amdhsa_kernarg_size 76
		.amdhsa_user_sgpr_count 2
		.amdhsa_user_sgpr_dispatch_ptr 0
		.amdhsa_user_sgpr_queue_ptr 0
		.amdhsa_user_sgpr_kernarg_segment_ptr 1
		.amdhsa_user_sgpr_dispatch_id 0
		.amdhsa_user_sgpr_kernarg_preload_length 0
		.amdhsa_user_sgpr_kernarg_preload_offset 0
		.amdhsa_user_sgpr_private_segment_size 0
		.amdhsa_uses_dynamic_stack 0
		.amdhsa_enable_private_segment 0
		.amdhsa_system_sgpr_workgroup_id_x 1
		.amdhsa_system_sgpr_workgroup_id_y 1
		.amdhsa_system_sgpr_workgroup_id_z 1
		.amdhsa_system_sgpr_workgroup_info 0
		.amdhsa_system_vgpr_workitem_id 0
		.amdhsa_next_free_vgpr 17
		.amdhsa_next_free_sgpr 24
		.amdhsa_accum_offset 20
		.amdhsa_reserve_vcc 1
		.amdhsa_float_round_mode_32 0
		.amdhsa_float_round_mode_16_64 0
		.amdhsa_float_denorm_mode_32 3
		.amdhsa_float_denorm_mode_16_64 3
		.amdhsa_dx10_clamp 1
		.amdhsa_ieee_mode 1
		.amdhsa_fp16_overflow 0
		.amdhsa_tg_split 0
		.amdhsa_exception_fp_ieee_invalid_op 0
		.amdhsa_exception_fp_denorm_src 0
		.amdhsa_exception_fp_ieee_div_zero 0
		.amdhsa_exception_fp_ieee_overflow 0
		.amdhsa_exception_fp_ieee_underflow 0
		.amdhsa_exception_fp_ieee_inexact 0
		.amdhsa_exception_int_div_zero 0
	.end_amdhsa_kernel
	.section	.text._ZL33flash_attn_stream_k_fixup_uniformILi256ELi16ELi1EEvPfPK15HIP_vector_typeIfLj2EEiiiiiiS1_IjLj3EES5_S5_,"axG",@progbits,_ZL33flash_attn_stream_k_fixup_uniformILi256ELi16ELi1EEvPfPK15HIP_vector_typeIfLj2EEiiiiiiS1_IjLj3EES5_S5_,comdat
.Lfunc_end31:
	.size	_ZL33flash_attn_stream_k_fixup_uniformILi256ELi16ELi1EEvPfPK15HIP_vector_typeIfLj2EEiiiiiiS1_IjLj3EES5_S5_, .Lfunc_end31-_ZL33flash_attn_stream_k_fixup_uniformILi256ELi16ELi1EEvPfPK15HIP_vector_typeIfLj2EEiiiiiiS1_IjLj3EES5_S5_
                                        ; -- End function
	.set _ZL33flash_attn_stream_k_fixup_uniformILi256ELi16ELi1EEvPfPK15HIP_vector_typeIfLj2EEiiiiiiS1_IjLj3EES5_S5_.num_vgpr, 17
	.set _ZL33flash_attn_stream_k_fixup_uniformILi256ELi16ELi1EEvPfPK15HIP_vector_typeIfLj2EEiiiiiiS1_IjLj3EES5_S5_.num_agpr, 0
	.set _ZL33flash_attn_stream_k_fixup_uniformILi256ELi16ELi1EEvPfPK15HIP_vector_typeIfLj2EEiiiiiiS1_IjLj3EES5_S5_.numbered_sgpr, 24
	.set _ZL33flash_attn_stream_k_fixup_uniformILi256ELi16ELi1EEvPfPK15HIP_vector_typeIfLj2EEiiiiiiS1_IjLj3EES5_S5_.num_named_barrier, 0
	.set _ZL33flash_attn_stream_k_fixup_uniformILi256ELi16ELi1EEvPfPK15HIP_vector_typeIfLj2EEiiiiiiS1_IjLj3EES5_S5_.private_seg_size, 0
	.set _ZL33flash_attn_stream_k_fixup_uniformILi256ELi16ELi1EEvPfPK15HIP_vector_typeIfLj2EEiiiiiiS1_IjLj3EES5_S5_.uses_vcc, 1
	.set _ZL33flash_attn_stream_k_fixup_uniformILi256ELi16ELi1EEvPfPK15HIP_vector_typeIfLj2EEiiiiiiS1_IjLj3EES5_S5_.uses_flat_scratch, 0
	.set _ZL33flash_attn_stream_k_fixup_uniformILi256ELi16ELi1EEvPfPK15HIP_vector_typeIfLj2EEiiiiiiS1_IjLj3EES5_S5_.has_dyn_sized_stack, 0
	.set _ZL33flash_attn_stream_k_fixup_uniformILi256ELi16ELi1EEvPfPK15HIP_vector_typeIfLj2EEiiiiiiS1_IjLj3EES5_S5_.has_recursion, 0
	.set _ZL33flash_attn_stream_k_fixup_uniformILi256ELi16ELi1EEvPfPK15HIP_vector_typeIfLj2EEiiiiiiS1_IjLj3EES5_S5_.has_indirect_call, 0
	.section	.AMDGPU.csdata,"",@progbits
; Kernel info:
; codeLenInByte = 816
; TotalNumSgprs: 30
; NumVgprs: 17
; NumAgprs: 0
; TotalNumVgprs: 17
; ScratchSize: 0
; MemoryBound: 0
; FloatMode: 240
; IeeeMode: 1
; LDSByteSize: 0 bytes/workgroup (compile time only)
; SGPRBlocks: 3
; VGPRBlocks: 2
; NumSGPRsForWavesPerEU: 30
; NumVGPRsForWavesPerEU: 17
; AccumOffset: 20
; Occupancy: 8
; WaveLimiterHint : 0
; COMPUTE_PGM_RSRC2:SCRATCH_EN: 0
; COMPUTE_PGM_RSRC2:USER_SGPR: 2
; COMPUTE_PGM_RSRC2:TRAP_HANDLER: 0
; COMPUTE_PGM_RSRC2:TGID_X_EN: 1
; COMPUTE_PGM_RSRC2:TGID_Y_EN: 1
; COMPUTE_PGM_RSRC2:TGID_Z_EN: 1
; COMPUTE_PGM_RSRC2:TIDIG_COMP_CNT: 0
; COMPUTE_PGM_RSRC3_GFX90A:ACCUM_OFFSET: 4
; COMPUTE_PGM_RSRC3_GFX90A:TG_SPLIT: 0
	.section	.text._ZL33flash_attn_stream_k_fixup_generalILi256ELi16ELi1EEvPfPK15HIP_vector_typeIfLj2EEiiiiS1_IjLj3EES5_S5_S5_,"axG",@progbits,_ZL33flash_attn_stream_k_fixup_generalILi256ELi16ELi1EEvPfPK15HIP_vector_typeIfLj2EEiiiiS1_IjLj3EES5_S5_S5_,comdat
	.globl	_ZL33flash_attn_stream_k_fixup_generalILi256ELi16ELi1EEvPfPK15HIP_vector_typeIfLj2EEiiiiS1_IjLj3EES5_S5_S5_ ; -- Begin function _ZL33flash_attn_stream_k_fixup_generalILi256ELi16ELi1EEvPfPK15HIP_vector_typeIfLj2EEiiiiS1_IjLj3EES5_S5_S5_
	.p2align	8
	.type	_ZL33flash_attn_stream_k_fixup_generalILi256ELi16ELi1EEvPfPK15HIP_vector_typeIfLj2EEiiiiS1_IjLj3EES5_S5_S5_,@function
_ZL33flash_attn_stream_k_fixup_generalILi256ELi16ELi1EEvPfPK15HIP_vector_typeIfLj2EEiiiiS1_IjLj3EES5_S5_S5_: ; @_ZL33flash_attn_stream_k_fixup_generalILi256ELi16ELi1EEvPfPK15HIP_vector_typeIfLj2EEiiiiS1_IjLj3EES5_S5_S5_
; %bb.0:
	s_load_dwordx4 s[8:11], s[0:1], 0x10
	s_load_dword s22, s[0:1], 0x50
	s_mov_b32 s12, 0
	s_waitcnt lgkmcnt(0)
	s_mul_hi_i32 s13, s11, s2
	s_cmp_lg_u64 s[12:13], 0
	s_mul_i32 s5, s11, s2
	s_cbranch_scc0 .LBB32_20
; %bb.1:
	s_add_u32 s6, s22, 0
	s_addc_u32 s7, 0, 0
	s_xor_b64 s[6:7], s[6:7], 0
	v_cvt_f32_u32_e32 v1, s6
	v_cvt_f32_u32_e32 v2, s7
	s_sub_u32 s12, 0, s6
	s_subb_u32 s18, 0, s7
	v_fmamk_f32 v1, v2, 0x4f800000, v1
	v_rcp_f32_e32 v1, v1
	s_nop 0
	v_mul_f32_e32 v1, 0x5f7ffffc, v1
	v_mul_f32_e32 v2, 0x2f800000, v1
	v_trunc_f32_e32 v2, v2
	v_fmamk_f32 v1, v2, 0xcf800000, v1
	v_cvt_u32_f32_e32 v2, v2
	v_cvt_u32_f32_e32 v1, v1
	v_readfirstlane_b32 s19, v2
	v_readfirstlane_b32 s14, v1
	s_mul_i32 s15, s12, s19
	s_mul_hi_u32 s21, s12, s14
	s_mul_i32 s20, s18, s14
	s_add_i32 s15, s21, s15
	s_add_i32 s15, s15, s20
	s_mul_i32 s23, s12, s14
	s_mul_i32 s21, s14, s15
	s_mul_hi_u32 s24, s14, s23
	s_mul_hi_u32 s20, s14, s15
	s_add_u32 s21, s24, s21
	s_addc_u32 s20, 0, s20
	s_mul_hi_u32 s25, s19, s23
	s_mul_i32 s23, s19, s23
	s_add_u32 s21, s21, s23
	s_mul_hi_u32 s24, s19, s15
	s_addc_u32 s20, s20, s25
	s_addc_u32 s21, s24, 0
	s_mul_i32 s15, s19, s15
	s_add_u32 s15, s20, s15
	s_addc_u32 s20, 0, s21
	s_add_u32 s21, s14, s15
	s_cselect_b64 s[14:15], -1, 0
	s_cmp_lg_u64 s[14:15], 0
	s_addc_u32 s19, s19, s20
	s_mul_i32 s14, s12, s19
	s_mul_hi_u32 s15, s12, s21
	s_add_i32 s14, s15, s14
	s_mul_i32 s18, s18, s21
	s_add_i32 s14, s14, s18
	s_mul_i32 s12, s12, s21
	s_mul_hi_u32 s18, s19, s12
	s_mul_i32 s20, s19, s12
	s_mul_i32 s24, s21, s14
	s_mul_hi_u32 s12, s21, s12
	s_mul_hi_u32 s23, s21, s14
	s_add_u32 s12, s12, s24
	s_addc_u32 s23, 0, s23
	s_add_u32 s12, s12, s20
	s_mul_hi_u32 s15, s19, s14
	s_addc_u32 s12, s23, s18
	s_addc_u32 s15, s15, 0
	s_mul_i32 s14, s19, s14
	s_add_u32 s12, s12, s14
	s_addc_u32 s18, 0, s15
	s_add_u32 s20, s21, s12
	s_cselect_b64 s[14:15], -1, 0
	s_cmp_lg_u64 s[14:15], 0
	s_addc_u32 s18, s19, s18
	s_ashr_i32 s14, s13, 31
	s_add_u32 s12, s5, s14
	s_mov_b32 s15, s14
	s_addc_u32 s13, s13, s14
	s_xor_b64 s[12:13], s[12:13], s[14:15]
	s_mul_i32 s21, s12, s18
	s_mul_hi_u32 s23, s12, s20
	s_mul_hi_u32 s19, s12, s18
	s_add_u32 s21, s23, s21
	s_addc_u32 s19, 0, s19
	s_mul_hi_u32 s24, s13, s20
	s_mul_i32 s20, s13, s20
	s_add_u32 s20, s21, s20
	s_mul_hi_u32 s23, s13, s18
	s_addc_u32 s19, s19, s24
	s_addc_u32 s20, s23, 0
	s_mul_i32 s18, s13, s18
	s_add_u32 s23, s19, s18
	s_addc_u32 s24, 0, s20
	s_mul_i32 s18, s6, s24
	s_mul_hi_u32 s19, s6, s23
	s_add_i32 s18, s19, s18
	s_mul_i32 s19, s7, s23
	s_add_i32 s25, s18, s19
	s_sub_i32 s20, s13, s25
	s_mul_i32 s18, s6, s23
	s_sub_u32 s12, s12, s18
	s_cselect_b64 s[18:19], -1, 0
	s_cmp_lg_u64 s[18:19], 0
	s_subb_u32 s26, s20, s7
	s_sub_u32 s27, s12, s6
	s_cselect_b64 s[20:21], -1, 0
	s_cmp_lg_u64 s[20:21], 0
	s_subb_u32 s20, s26, 0
	s_cmp_ge_u32 s20, s7
	s_cselect_b32 s21, -1, 0
	s_cmp_ge_u32 s27, s6
	s_cselect_b32 s26, -1, 0
	s_cmp_eq_u32 s20, s7
	s_cselect_b32 s20, s26, s21
	s_add_u32 s21, s23, 1
	s_addc_u32 s26, s24, 0
	s_add_u32 s27, s23, 2
	s_addc_u32 s28, s24, 0
	s_cmp_lg_u32 s20, 0
	s_cselect_b32 s20, s27, s21
	s_cselect_b32 s21, s28, s26
	s_cmp_lg_u64 s[18:19], 0
	s_subb_u32 s13, s13, s25
	s_cmp_ge_u32 s13, s7
	s_cselect_b32 s18, -1, 0
	s_cmp_ge_u32 s12, s6
	s_cselect_b32 s6, -1, 0
	s_cmp_eq_u32 s13, s7
	s_cselect_b32 s6, s6, s18
	s_cmp_lg_u32 s6, 0
	s_cselect_b32 s7, s21, s24
	s_cselect_b32 s6, s20, s23
	s_xor_b64 s[12:13], s[14:15], 0
	s_xor_b64 s[6:7], s[6:7], s[12:13]
	s_sub_u32 s6, s6, s12
	s_load_dwordx4 s[12:15], s[0:1], 0x44
	s_cbranch_execnz .LBB32_3
.LBB32_2:
	v_cvt_f32_u32_e32 v1, s22
	s_sub_i32 s6, 0, s22
	v_rcp_iflag_f32_e32 v1, v1
	s_nop 0
	v_mul_f32_e32 v1, 0x4f7ffffe, v1
	v_cvt_u32_f32_e32 v1, v1
	s_nop 0
	v_readfirstlane_b32 s7, v1
	s_mul_i32 s6, s6, s7
	s_mul_hi_u32 s6, s7, s6
	s_add_i32 s7, s7, s6
	s_mul_hi_u32 s6, s5, s7
	s_waitcnt lgkmcnt(0)
	s_mul_i32 s15, s6, s22
	s_sub_i32 s5, s5, s15
	s_add_i32 s7, s6, 1
	s_sub_i32 s15, s5, s22
	s_cmp_ge_u32 s5, s22
	s_cselect_b32 s6, s7, s6
	s_cselect_b32 s5, s15, s5
	s_add_i32 s7, s6, 1
	s_cmp_ge_u32 s5, s22
	s_cselect_b32 s6, s7, s6
.LBB32_3:
	s_add_i32 s5, s2, 1
	s_mul_hi_i32 s21, s11, s5
	s_mov_b32 s20, 0
	s_cmp_lg_u64 s[20:21], 0
	s_mul_i32 s5, s11, s5
	s_cbranch_scc0 .LBB32_21
; %bb.4:
	s_add_u32 s16, s22, 0
	s_addc_u32 s17, 0, 0
	s_xor_b64 s[18:19], s[16:17], 0
	v_cvt_f32_u32_e32 v1, s18
	v_cvt_f32_u32_e32 v2, s19
	s_sub_u32 s7, 0, s18
	s_waitcnt lgkmcnt(0)
	s_subb_u32 s15, 0, s19
	v_fmamk_f32 v1, v2, 0x4f800000, v1
	v_rcp_f32_e32 v1, v1
	s_nop 0
	v_mul_f32_e32 v1, 0x5f7ffffc, v1
	v_mul_f32_e32 v2, 0x2f800000, v1
	v_trunc_f32_e32 v2, v2
	v_fmamk_f32 v1, v2, 0xcf800000, v1
	v_cvt_u32_f32_e32 v2, v2
	v_cvt_u32_f32_e32 v1, v1
	v_readfirstlane_b32 s20, v2
	v_readfirstlane_b32 s23, v1
	s_mul_i32 s24, s7, s20
	s_mul_hi_u32 s26, s7, s23
	s_mul_i32 s25, s15, s23
	s_add_i32 s24, s26, s24
	s_add_i32 s24, s24, s25
	s_mul_i32 s27, s7, s23
	s_mul_i32 s26, s23, s24
	s_mul_hi_u32 s28, s23, s27
	s_mul_hi_u32 s25, s23, s24
	s_add_u32 s26, s28, s26
	s_addc_u32 s25, 0, s25
	s_mul_hi_u32 s29, s20, s27
	s_mul_i32 s27, s20, s27
	s_add_u32 s26, s26, s27
	s_mul_hi_u32 s28, s20, s24
	s_addc_u32 s25, s25, s29
	s_addc_u32 s26, s28, 0
	s_mul_i32 s24, s20, s24
	s_add_u32 s24, s25, s24
	s_addc_u32 s26, 0, s26
	s_add_u32 s23, s23, s24
	s_cselect_b64 s[24:25], -1, 0
	s_cmp_lg_u64 s[24:25], 0
	s_addc_u32 s20, s20, s26
	s_mul_i32 s24, s7, s20
	s_mul_hi_u32 s25, s7, s23
	s_add_i32 s24, s25, s24
	s_mul_i32 s15, s15, s23
	s_add_i32 s24, s24, s15
	s_mul_i32 s7, s7, s23
	s_mul_hi_u32 s25, s20, s7
	s_mul_i32 s26, s20, s7
	s_mul_i32 s28, s23, s24
	s_mul_hi_u32 s7, s23, s7
	s_mul_hi_u32 s27, s23, s24
	s_add_u32 s7, s7, s28
	s_addc_u32 s27, 0, s27
	s_add_u32 s7, s7, s26
	s_mul_hi_u32 s15, s20, s24
	s_addc_u32 s7, s27, s25
	s_addc_u32 s15, s15, 0
	s_mul_i32 s24, s20, s24
	s_add_u32 s7, s7, s24
	s_addc_u32 s15, 0, s15
	s_add_u32 s7, s23, s7
	s_cselect_b64 s[24:25], -1, 0
	s_cmp_lg_u64 s[24:25], 0
	s_addc_u32 s15, s20, s15
	s_ashr_i32 s24, s21, 31
	s_add_u32 s20, s5, s24
	s_mov_b32 s25, s24
	s_addc_u32 s21, s21, s24
	s_xor_b64 s[20:21], s[20:21], s[24:25]
	s_mul_i32 s26, s20, s15
	s_mul_hi_u32 s27, s20, s7
	s_mul_hi_u32 s23, s20, s15
	s_add_u32 s26, s27, s26
	s_addc_u32 s23, 0, s23
	s_mul_hi_u32 s28, s21, s7
	s_mul_i32 s7, s21, s7
	s_add_u32 s7, s26, s7
	s_mul_hi_u32 s27, s21, s15
	s_addc_u32 s7, s23, s28
	s_addc_u32 s23, s27, 0
	s_mul_i32 s15, s21, s15
	s_add_u32 s7, s7, s15
	s_addc_u32 s15, 0, s23
	s_mul_i32 s23, s18, s15
	s_mul_hi_u32 s26, s18, s7
	s_add_i32 s23, s26, s23
	s_mul_i32 s26, s19, s7
	s_add_i32 s23, s23, s26
	s_sub_i32 s28, s21, s23
	s_mul_i32 s26, s18, s7
	s_sub_u32 s20, s20, s26
	s_cselect_b64 s[26:27], -1, 0
	s_cmp_lg_u64 s[26:27], 0
	s_subb_u32 s30, s28, s19
	s_sub_u32 s31, s20, s18
	s_cselect_b64 s[28:29], -1, 0
	s_cmp_lg_u64 s[28:29], 0
	s_subb_u32 s28, s30, 0
	s_cmp_ge_u32 s28, s19
	s_cselect_b32 s29, -1, 0
	s_cmp_ge_u32 s31, s18
	s_cselect_b32 s30, -1, 0
	s_cmp_eq_u32 s28, s19
	s_cselect_b32 s28, s30, s29
	s_add_u32 s29, s7, 1
	s_addc_u32 s30, s15, 0
	s_add_u32 s31, s7, 2
	s_addc_u32 s33, s15, 0
	s_cmp_lg_u32 s28, 0
	s_cselect_b32 s28, s31, s29
	s_cselect_b32 s29, s33, s30
	s_cmp_lg_u64 s[26:27], 0
	s_subb_u32 s21, s21, s23
	s_cmp_ge_u32 s21, s19
	s_cselect_b32 s23, -1, 0
	s_cmp_ge_u32 s20, s18
	s_cselect_b32 s18, -1, 0
	s_cmp_eq_u32 s21, s19
	s_cselect_b32 s18, s18, s23
	s_cmp_lg_u32 s18, 0
	s_cselect_b32 s19, s29, s15
	s_cselect_b32 s18, s28, s7
	s_xor_b64 s[20:21], s[24:25], 0
	s_xor_b64 s[18:19], s[18:19], s[20:21]
	s_sub_u32 s18, s18, s20
	s_cbranch_execnz .LBB32_6
.LBB32_5:
	v_cvt_f32_u32_e32 v1, s22
	s_sub_i32 s7, 0, s22
	v_rcp_iflag_f32_e32 v1, v1
	s_nop 0
	v_mul_f32_e32 v1, 0x4f7ffffe, v1
	v_cvt_u32_f32_e32 v1, v1
	s_waitcnt lgkmcnt(0)
	v_readfirstlane_b32 s15, v1
	s_mul_i32 s7, s7, s15
	s_mul_hi_u32 s7, s15, s7
	s_add_i32 s15, s15, s7
	s_mul_hi_u32 s7, s5, s15
	s_mul_i32 s16, s7, s22
	s_sub_i32 s5, s5, s16
	s_add_i32 s15, s7, 1
	s_sub_i32 s16, s5, s22
	s_cmp_ge_u32 s5, s22
	s_cselect_b32 s7, s15, s7
	s_cselect_b32 s5, s16, s5
	s_add_i32 s15, s7, 1
	s_cmp_ge_u32 s5, s22
	s_cselect_b32 s18, s15, s7
.LBB32_6:
	s_cmp_eq_u32 s6, s18
	s_waitcnt lgkmcnt(0)
	s_mul_hi_u32 s5, s6, s12
	s_cselect_b64 s[16:17], -1, 0
	s_add_i32 s5, s5, s6
	s_lshr_b32 s7, s5, s13
	s_mul_i32 s5, s7, s14
	s_cmp_eq_u32 s5, s6
	s_mul_hi_u32 s5, s18, s12
	s_cselect_b64 s[20:21], -1, 0
	s_add_i32 s5, s5, s18
	s_lshr_b32 s5, s5, s13
	s_cmp_eq_u32 s7, s5
	s_mul_i32 s5, s5, s14
	s_cselect_b64 s[24:25], -1, 0
	s_cmp_lg_u32 s5, s18
	s_cselect_b64 s[18:19], -1, 0
	s_and_b64 s[18:19], s[24:25], s[18:19]
	s_or_b64 s[16:17], s[16:17], s[20:21]
	s_or_b64 s[16:17], s[16:17], s[18:19]
	s_and_b64 vcc, exec, s[16:17]
	s_cbranch_vccnz .LBB32_23
; %bb.7:
	s_load_dwordx8 s[24:31], s[0:1], 0x20
	s_load_dword s15, s[0:1], 0x40
	s_waitcnt lgkmcnt(0)
	s_mul_hi_u32 s5, s6, s24
	s_add_i32 s5, s5, s6
	s_lshr_b32 s5, s5, s25
	s_mul_i32 s16, s5, s26
	s_sub_i32 s16, s6, s16
	s_mul_hi_u32 s17, s16, s27
	s_add_i32 s17, s16, s17
	s_lshr_b32 s21, s17, s28
	s_mul_i32 s17, s21, s29
	s_sub_i32 s16, s16, s17
	;; [unrolled: 5-line block ×3, first 2 shown]
	s_mul_hi_u32 s16, s15, s12
	s_add_i32 s15, s15, s16
	s_lshr_b32 s23, s15, s13
	s_lshl_b32 s15, s23, 4
	s_add_i32 s15, s15, s3
	s_cmp_lt_i32 s15, s8
	s_cselect_b64 s[16:17], -1, 0
	s_add_i32 s15, s20, s4
	s_cmp_lt_i32 s15, s10
	s_cselect_b64 s[18:19], -1, 0
	s_and_b64 s[16:17], s[16:17], s[18:19]
	s_andn2_b64 vcc, exec, s[16:17]
	s_cbranch_vccnz .LBB32_23
; %bb.8:
	s_load_dwordx4 s[16:19], s[0:1], 0x0
	s_mov_b32 s0, 0
	s_lshl_b32 s24, s22, 6
	s_mov_b32 s25, s0
	s_add_i32 s15, s3, s4
	s_waitcnt lgkmcnt(0)
	v_mov_b32_e32 v2, s16
	v_mov_b32_e32 v3, s17
	s_lshl_b64 s[16:17], s[24:25], 2
	s_add_u32 s16, s18, s16
	s_mul_i32 s1, s5, s8
	s_addc_u32 s17, s19, s17
	s_add_i32 s1, s1, s3
	s_mul_i32 s1, s1, s9
	s_mul_i32 s21, s21, s10
	s_add_i32 s1, s1, s4
	s_add_i32 s1, s1, s21
	s_mul_i32 s5, s9, s23
	s_add_i32 s1, s1, s20
	s_lshl_b32 s5, s5, 12
	s_lshl_b32 s1, s1, 8
	s_add_i32 s5, s5, s1
	v_or_b32_e32 v4, s5, v0
	v_ashrrev_i32_e32 v5, 31, v4
	v_lshl_add_u64 v[2:3], v[4:5], 2, v[2:3]
	global_load_dword v1, v[2:3], off
	v_cvt_f32_u32_e32 v4, s22
	s_lshl_b32 s1, s2, 4
	s_add_i32 s4, s1, s15
	s_ashr_i32 s5, s4, 31
	s_lshl_b64 s[4:5], s[4:5], 3
	v_rcp_iflag_f32_e32 v4, v4
	s_add_u32 s4, s18, s4
	s_addc_u32 s5, s19, s5
	s_load_dwordx2 s[4:5], s[4:5], 0x0
	v_mul_f32_e32 v4, 0x4f7ffffe, v4
	v_cvt_u32_f32_e32 v7, v4
	s_add_i32 s24, s2, -1
	v_lshl_or_b32 v6, s15, 8, v0
	s_waitcnt lgkmcnt(0)
	v_mov_b32_e32 v0, s5
	v_mov_b32_e32 v9, s4
	s_mov_b32 s10, 0x3fb8aa3b
	s_mov_b32 s20, 0xc2ce8ed0
	;; [unrolled: 1-line block ×4, first 2 shown]
	v_mov_b32_e32 v8, 0x7f800000
	s_mul_hi_i32 s1, s24, s11
	s_cmp_lg_u64 s[0:1], 0
	s_mul_i32 s8, s24, s11
	s_cbranch_scc0 .LBB32_19
.LBB32_9:
	s_add_u32 s2, s22, 0
	s_addc_u32 s3, 0, 0
	s_xor_b64 s[2:3], s[2:3], 0
	v_cvt_f32_u32_e32 v4, s2
	v_cvt_f32_u32_e32 v5, s3
	s_sub_u32 s9, 0, s2
	s_subb_u32 s25, 0, s3
	v_fmac_f32_e32 v4, 0x4f800000, v5
	v_rcp_f32_e32 v4, v4
	s_nop 0
	v_mul_f32_e32 v4, 0x5f7ffffc, v4
	v_mul_f32_e32 v5, 0x2f800000, v4
	v_trunc_f32_e32 v5, v5
	v_fmac_f32_e32 v4, 0xcf800000, v5
	v_cvt_u32_f32_e32 v5, v5
	v_cvt_u32_f32_e32 v4, v4
	v_readfirstlane_b32 s26, v5
	v_readfirstlane_b32 s4, v4
	s_mul_i32 s5, s9, s26
	s_mul_hi_u32 s28, s9, s4
	s_mul_i32 s27, s25, s4
	s_add_i32 s5, s28, s5
	s_mul_i32 s29, s9, s4
	s_add_i32 s5, s5, s27
	s_mul_i32 s28, s4, s5
	s_mul_hi_u32 s30, s4, s29
	s_mul_hi_u32 s27, s4, s5
	s_add_u32 s28, s30, s28
	s_addc_u32 s27, 0, s27
	s_mul_hi_u32 s31, s26, s29
	s_mul_i32 s29, s26, s29
	s_add_u32 s28, s28, s29
	s_mul_hi_u32 s30, s26, s5
	s_addc_u32 s27, s27, s31
	s_addc_u32 s28, s30, 0
	s_mul_i32 s5, s26, s5
	s_add_u32 s5, s27, s5
	s_addc_u32 s27, 0, s28
	s_add_u32 s28, s4, s5
	s_cselect_b64 s[4:5], -1, 0
	s_cmp_lg_u64 s[4:5], 0
	s_addc_u32 s26, s26, s27
	s_mul_i32 s4, s9, s26
	s_mul_hi_u32 s5, s9, s28
	s_add_i32 s4, s5, s4
	s_mul_i32 s25, s25, s28
	s_add_i32 s4, s4, s25
	s_mul_i32 s9, s9, s28
	s_mul_hi_u32 s25, s26, s9
	s_mul_i32 s27, s26, s9
	s_mul_i32 s30, s28, s4
	s_mul_hi_u32 s9, s28, s9
	s_mul_hi_u32 s29, s28, s4
	s_add_u32 s9, s9, s30
	s_addc_u32 s29, 0, s29
	s_add_u32 s9, s9, s27
	s_mul_hi_u32 s5, s26, s4
	s_addc_u32 s9, s29, s25
	s_addc_u32 s5, s5, 0
	s_mul_i32 s4, s26, s4
	s_add_u32 s4, s9, s4
	s_addc_u32 s9, 0, s5
	s_add_u32 s25, s28, s4
	s_cselect_b64 s[4:5], -1, 0
	s_cmp_lg_u64 s[4:5], 0
	s_addc_u32 s9, s26, s9
	s_ashr_i32 s4, s1, 31
	s_add_u32 s26, s8, s4
	s_mov_b32 s5, s4
	s_addc_u32 s27, s1, s4
	s_xor_b64 s[26:27], s[26:27], s[4:5]
	s_mul_i32 s28, s26, s9
	s_mul_hi_u32 s29, s26, s25
	s_mul_hi_u32 s1, s26, s9
	s_add_u32 s28, s29, s28
	s_addc_u32 s1, 0, s1
	s_mul_hi_u32 s30, s27, s25
	s_mul_i32 s25, s27, s25
	s_add_u32 s25, s28, s25
	s_mul_hi_u32 s29, s27, s9
	s_addc_u32 s1, s1, s30
	s_addc_u32 s25, s29, 0
	s_mul_i32 s9, s27, s9
	s_add_u32 s1, s1, s9
	s_addc_u32 s9, 0, s25
	s_mul_i32 s25, s2, s9
	s_mul_hi_u32 s28, s2, s1
	s_add_i32 s25, s28, s25
	s_mul_i32 s28, s3, s1
	s_add_i32 s25, s25, s28
	s_sub_i32 s30, s27, s25
	s_mul_i32 s28, s2, s1
	s_sub_u32 s26, s26, s28
	s_cselect_b64 s[28:29], -1, 0
	s_cmp_lg_u64 s[28:29], 0
	s_subb_u32 s33, s30, s3
	s_sub_u32 s34, s26, s2
	s_cselect_b64 s[30:31], -1, 0
	s_cmp_lg_u64 s[30:31], 0
	s_subb_u32 s30, s33, 0
	s_cmp_ge_u32 s30, s3
	s_cselect_b32 s31, -1, 0
	s_cmp_ge_u32 s34, s2
	s_cselect_b32 s33, -1, 0
	s_cmp_eq_u32 s30, s3
	s_cselect_b32 s30, s33, s31
	s_add_u32 s31, s1, 1
	s_addc_u32 s33, s9, 0
	s_add_u32 s34, s1, 2
	s_addc_u32 s35, s9, 0
	s_cmp_lg_u32 s30, 0
	s_cselect_b32 s30, s34, s31
	s_cselect_b32 s31, s35, s33
	s_cmp_lg_u64 s[28:29], 0
	s_subb_u32 s25, s27, s25
	s_cmp_ge_u32 s25, s3
	s_cselect_b32 s27, -1, 0
	s_cmp_ge_u32 s26, s2
	s_cselect_b32 s2, -1, 0
	s_cmp_eq_u32 s25, s3
	s_cselect_b32 s2, s2, s27
	s_cmp_lg_u32 s2, 0
	s_cselect_b32 s3, s31, s9
	s_cselect_b32 s2, s30, s1
	s_xor_b64 s[4:5], s[4:5], 0
	s_xor_b64 s[2:3], s[2:3], s[4:5]
	s_sub_u32 s4, s2, s4
	s_cbranch_execnz .LBB32_11
.LBB32_10:
	s_sub_i32 s1, 0, s22
	v_readfirstlane_b32 s2, v7
	s_mul_i32 s1, s1, s2
	s_mul_hi_u32 s1, s2, s1
	s_add_i32 s2, s2, s1
	s_mul_hi_u32 s1, s8, s2
	s_mul_i32 s3, s1, s22
	s_sub_i32 s3, s8, s3
	s_add_i32 s2, s1, 1
	s_sub_i32 s4, s3, s22
	s_cmp_ge_u32 s3, s22
	s_cselect_b32 s1, s2, s1
	s_cselect_b32 s3, s4, s3
	s_add_i32 s2, s1, 1
	s_cmp_ge_u32 s3, s22
	s_cselect_b32 s4, s2, s1
.LBB32_11:
	s_cmp_lg_u32 s6, s4
	s_cbranch_scc0 .LBB32_15
; %bb.12:
	s_add_i32 s1, s24, s22
	s_lshl_b32 s1, s1, 4
	s_add_i32 s2, s1, s15
	s_mov_b32 s3, s0
	s_lshl_b64 s[2:3], s[2:3], 3
	s_add_u32 s8, s18, s2
	s_mul_hi_u32 s1, s4, s12
	s_addc_u32 s9, s19, s3
	s_add_i32 s1, s1, s4
	s_lshr_b32 s1, s1, s13
	s_mul_i32 s2, s1, s14
	s_cmp_eq_u32 s2, s4
	s_cselect_b64 s[2:3], -1, 0
	s_cmp_lt_u32 s1, s7
	s_cselect_b64 s[26:27], -1, 0
	s_or_b64 s[26:27], s[26:27], s[2:3]
	s_mov_b64 s[2:3], -1
	s_and_b64 vcc, exec, s[26:27]
	s_mov_b32 s1, s24
	s_mov_b32 s25, s6
	s_cbranch_vccnz .LBB32_14
; %bb.13:
	s_add_i32 s1, s24, -1
	s_mov_b64 s[2:3], 0
	s_mov_b32 s25, s4
.LBB32_14:
	v_lshl_add_u32 v4, s24, 12, v6
	v_ashrrev_i32_e32 v5, 31, v4
	v_lshl_add_u64 v[4:5], v[4:5], 2, s[16:17]
	global_load_dword v5, v[4:5], off
	s_load_dwordx2 s[4:5], s[8:9], 0x0
	v_max_f32_e32 v4, v9, v9
	s_waitcnt lgkmcnt(0)
	v_max_f32_e64 v10, s4, s4
	v_max_f32_e32 v10, v4, v10
	v_sub_f32_e32 v11, v9, v10
	v_sub_f32_e32 v13, s4, v10
	v_mul_f32_e32 v4, 0x3fb8aa3b, v11
	v_mul_f32_e32 v12, 0x3fb8aa3b, v13
	v_fma_f32 v14, v11, s10, -v4
	v_rndne_f32_e32 v15, v4
	v_fma_f32 v16, v13, s10, -v12
	v_rndne_f32_e32 v17, v12
	v_fmac_f32_e32 v14, 0x32a5705f, v11
	v_sub_f32_e32 v4, v4, v15
	v_fmac_f32_e32 v16, 0x32a5705f, v13
	v_sub_f32_e32 v12, v12, v17
	v_add_f32_e32 v4, v4, v14
	v_cvt_i32_f32_e32 v15, v15
	v_add_f32_e32 v12, v12, v16
	v_exp_f32_e32 v14, v4
	v_cvt_i32_f32_e32 v17, v17
	v_exp_f32_e32 v12, v12
	v_cmp_ngt_f32_e32 vcc, s20, v11
	v_ldexp_f32 v14, v14, v15
	v_mov_b32_e32 v4, s5
	v_ldexp_f32 v12, v12, v17
	v_cndmask_b32_e32 v14, 0, v14, vcc
	v_cmp_ngt_f32_e32 vcc, s20, v13
	s_nop 1
	v_cndmask_b32_e32 v12, 0, v12, vcc
	v_cmp_nlt_f32_e32 vcc, s21, v11
	s_nop 1
	v_cndmask_b32_e32 v14, v8, v14, vcc
	v_cmp_nlt_f32_e32 vcc, s21, v13
	s_nop 1
	v_cndmask_b32_e32 v15, v8, v12, vcc
	v_cmp_le_f32_e32 vcc, s23, v11
	s_nop 1
	v_cndmask_b32_e32 v12, 0, v14, vcc
	v_cmp_le_f32_e32 vcc, s23, v13
	s_nop 1
	v_cndmask_b32_e32 v14, 0, v15, vcc
	s_waitcnt vmcnt(0)
	v_pk_mul_f32 v[4:5], v[4:5], v[14:15] op_sel_hi:[1,0]
	s_nop 0
	v_pk_fma_f32 v[4:5], v[0:1], v[12:13], v[4:5] op_sel_hi:[1,0,1]
	s_cbranch_execz .LBB32_16
	s_branch .LBB32_17
.LBB32_15:
                                        ; implicit-def: $vgpr4_vgpr5
                                        ; implicit-def: $sgpr2_sgpr3
                                        ; implicit-def: $vgpr10
                                        ; implicit-def: $sgpr1
                                        ; implicit-def: $sgpr25
.LBB32_16:
	s_add_i32 s1, s24, -1
	s_mov_b64 s[2:3], 0
	s_mov_b32 s25, s6
	v_mov_b32_e32 v10, v9
	s_waitcnt vmcnt(0)
	v_mov_b64_e32 v[4:5], v[0:1]
.LBB32_17:
	s_andn2_b64 vcc, exec, s[2:3]
	s_cbranch_vccz .LBB32_22
; %bb.18:
	s_mov_b32 s6, s25
	s_mov_b32 s24, s1
	v_mov_b32_e32 v9, v10
	s_waitcnt vmcnt(0)
	v_mov_b64_e32 v[0:1], v[4:5]
	s_mul_hi_i32 s1, s24, s11
	s_cmp_lg_u64 s[0:1], 0
	s_mul_i32 s8, s24, s11
	s_cbranch_scc1 .LBB32_9
.LBB32_19:
                                        ; implicit-def: $sgpr4_sgpr5
	s_branch .LBB32_10
.LBB32_20:
                                        ; implicit-def: $sgpr6_sgpr7
	s_load_dwordx4 s[12:15], s[0:1], 0x44
	s_branch .LBB32_2
.LBB32_21:
                                        ; implicit-def: $sgpr18_sgpr19
	s_branch .LBB32_5
.LBB32_22:
	v_div_scale_f32 v0, s[0:1], v4, v4, v5
	s_waitcnt vmcnt(0)
	v_rcp_f32_e32 v1, v0
	v_div_scale_f32 v6, vcc, v5, v4, v5
	v_fma_f32 v7, -v0, v1, 1.0
	v_fmac_f32_e32 v1, v7, v1
	v_mul_f32_e32 v7, v6, v1
	v_fma_f32 v8, -v0, v7, v6
	v_fmac_f32_e32 v7, v8, v1
	v_fma_f32 v0, -v0, v7, v6
	v_div_fmas_f32 v0, v0, v1, v7
	v_div_fixup_f32 v0, v0, v4, v5
	global_store_dword v[2:3], v0, off
.LBB32_23:
	s_endpgm
	.section	.rodata,"a",@progbits
	.p2align	6, 0x0
	.amdhsa_kernel _ZL33flash_attn_stream_k_fixup_generalILi256ELi16ELi1EEvPfPK15HIP_vector_typeIfLj2EEiiiiS1_IjLj3EES5_S5_S5_
		.amdhsa_group_segment_fixed_size 0
		.amdhsa_private_segment_fixed_size 0
		.amdhsa_kernarg_size 336
		.amdhsa_user_sgpr_count 2
		.amdhsa_user_sgpr_dispatch_ptr 0
		.amdhsa_user_sgpr_queue_ptr 0
		.amdhsa_user_sgpr_kernarg_segment_ptr 1
		.amdhsa_user_sgpr_dispatch_id 0
		.amdhsa_user_sgpr_kernarg_preload_length 0
		.amdhsa_user_sgpr_kernarg_preload_offset 0
		.amdhsa_user_sgpr_private_segment_size 0
		.amdhsa_uses_dynamic_stack 0
		.amdhsa_enable_private_segment 0
		.amdhsa_system_sgpr_workgroup_id_x 1
		.amdhsa_system_sgpr_workgroup_id_y 1
		.amdhsa_system_sgpr_workgroup_id_z 1
		.amdhsa_system_sgpr_workgroup_info 0
		.amdhsa_system_vgpr_workitem_id 0
		.amdhsa_next_free_vgpr 18
		.amdhsa_next_free_sgpr 36
		.amdhsa_accum_offset 20
		.amdhsa_reserve_vcc 1
		.amdhsa_float_round_mode_32 0
		.amdhsa_float_round_mode_16_64 0
		.amdhsa_float_denorm_mode_32 3
		.amdhsa_float_denorm_mode_16_64 3
		.amdhsa_dx10_clamp 1
		.amdhsa_ieee_mode 1
		.amdhsa_fp16_overflow 0
		.amdhsa_tg_split 0
		.amdhsa_exception_fp_ieee_invalid_op 0
		.amdhsa_exception_fp_denorm_src 0
		.amdhsa_exception_fp_ieee_div_zero 0
		.amdhsa_exception_fp_ieee_overflow 0
		.amdhsa_exception_fp_ieee_underflow 0
		.amdhsa_exception_fp_ieee_inexact 0
		.amdhsa_exception_int_div_zero 0
	.end_amdhsa_kernel
	.section	.text._ZL33flash_attn_stream_k_fixup_generalILi256ELi16ELi1EEvPfPK15HIP_vector_typeIfLj2EEiiiiS1_IjLj3EES5_S5_S5_,"axG",@progbits,_ZL33flash_attn_stream_k_fixup_generalILi256ELi16ELi1EEvPfPK15HIP_vector_typeIfLj2EEiiiiS1_IjLj3EES5_S5_S5_,comdat
.Lfunc_end32:
	.size	_ZL33flash_attn_stream_k_fixup_generalILi256ELi16ELi1EEvPfPK15HIP_vector_typeIfLj2EEiiiiS1_IjLj3EES5_S5_S5_, .Lfunc_end32-_ZL33flash_attn_stream_k_fixup_generalILi256ELi16ELi1EEvPfPK15HIP_vector_typeIfLj2EEiiiiS1_IjLj3EES5_S5_S5_
                                        ; -- End function
	.set _ZL33flash_attn_stream_k_fixup_generalILi256ELi16ELi1EEvPfPK15HIP_vector_typeIfLj2EEiiiiS1_IjLj3EES5_S5_S5_.num_vgpr, 18
	.set _ZL33flash_attn_stream_k_fixup_generalILi256ELi16ELi1EEvPfPK15HIP_vector_typeIfLj2EEiiiiS1_IjLj3EES5_S5_S5_.num_agpr, 0
	.set _ZL33flash_attn_stream_k_fixup_generalILi256ELi16ELi1EEvPfPK15HIP_vector_typeIfLj2EEiiiiS1_IjLj3EES5_S5_S5_.numbered_sgpr, 36
	.set _ZL33flash_attn_stream_k_fixup_generalILi256ELi16ELi1EEvPfPK15HIP_vector_typeIfLj2EEiiiiS1_IjLj3EES5_S5_S5_.num_named_barrier, 0
	.set _ZL33flash_attn_stream_k_fixup_generalILi256ELi16ELi1EEvPfPK15HIP_vector_typeIfLj2EEiiiiS1_IjLj3EES5_S5_S5_.private_seg_size, 0
	.set _ZL33flash_attn_stream_k_fixup_generalILi256ELi16ELi1EEvPfPK15HIP_vector_typeIfLj2EEiiiiS1_IjLj3EES5_S5_S5_.uses_vcc, 1
	.set _ZL33flash_attn_stream_k_fixup_generalILi256ELi16ELi1EEvPfPK15HIP_vector_typeIfLj2EEiiiiS1_IjLj3EES5_S5_S5_.uses_flat_scratch, 0
	.set _ZL33flash_attn_stream_k_fixup_generalILi256ELi16ELi1EEvPfPK15HIP_vector_typeIfLj2EEiiiiS1_IjLj3EES5_S5_S5_.has_dyn_sized_stack, 0
	.set _ZL33flash_attn_stream_k_fixup_generalILi256ELi16ELi1EEvPfPK15HIP_vector_typeIfLj2EEiiiiS1_IjLj3EES5_S5_S5_.has_recursion, 0
	.set _ZL33flash_attn_stream_k_fixup_generalILi256ELi16ELi1EEvPfPK15HIP_vector_typeIfLj2EEiiiiS1_IjLj3EES5_S5_S5_.has_indirect_call, 0
	.section	.AMDGPU.csdata,"",@progbits
; Kernel info:
; codeLenInByte = 2932
; TotalNumSgprs: 42
; NumVgprs: 18
; NumAgprs: 0
; TotalNumVgprs: 18
; ScratchSize: 0
; MemoryBound: 0
; FloatMode: 240
; IeeeMode: 1
; LDSByteSize: 0 bytes/workgroup (compile time only)
; SGPRBlocks: 5
; VGPRBlocks: 2
; NumSGPRsForWavesPerEU: 42
; NumVGPRsForWavesPerEU: 18
; AccumOffset: 20
; Occupancy: 8
; WaveLimiterHint : 0
; COMPUTE_PGM_RSRC2:SCRATCH_EN: 0
; COMPUTE_PGM_RSRC2:USER_SGPR: 2
; COMPUTE_PGM_RSRC2:TRAP_HANDLER: 0
; COMPUTE_PGM_RSRC2:TGID_X_EN: 1
; COMPUTE_PGM_RSRC2:TGID_Y_EN: 1
; COMPUTE_PGM_RSRC2:TGID_Z_EN: 1
; COMPUTE_PGM_RSRC2:TIDIG_COMP_CNT: 0
; COMPUTE_PGM_RSRC3_GFX90A:ACCUM_OFFSET: 4
; COMPUTE_PGM_RSRC3_GFX90A:TG_SPLIT: 0
	.section	.text._ZL26flash_attn_combine_resultsILi256EEvPKfPK15HIP_vector_typeIfLj2EEPfi,"axG",@progbits,_ZL26flash_attn_combine_resultsILi256EEvPKfPK15HIP_vector_typeIfLj2EEPfi,comdat
	.globl	_ZL26flash_attn_combine_resultsILi256EEvPKfPK15HIP_vector_typeIfLj2EEPfi ; -- Begin function _ZL26flash_attn_combine_resultsILi256EEvPKfPK15HIP_vector_typeIfLj2EEPfi
	.p2align	8
	.type	_ZL26flash_attn_combine_resultsILi256EEvPKfPK15HIP_vector_typeIfLj2EEPfi,@function
_ZL26flash_attn_combine_resultsILi256EEvPKfPK15HIP_vector_typeIfLj2EEPfi: ; @_ZL26flash_attn_combine_resultsILi256EEvPKfPK15HIP_vector_typeIfLj2EEPfi
; %bb.0:
	s_load_dwordx2 s[6:7], s[0:1], 0x20
	s_load_dword s19, s[0:1], 0x18
	s_load_dwordx4 s[8:11], s[0:1], 0x0
	s_load_dwordx2 s[14:15], s[0:1], 0x10
	s_waitcnt lgkmcnt(0)
	s_mul_i32 s0, s6, s4
	s_add_i32 s0, s0, s2
	s_mul_i32 s18, s0, s7
	s_add_i32 s18, s18, s3
	s_lshl_b32 s20, s19, 1
	s_mul_i32 s2, s18, s19
	v_cmp_gt_i32_e32 vcc, s20, v0
	s_and_saveexec_b64 s[0:1], vcc
	s_cbranch_execz .LBB33_13
; %bb.1:
	v_xad_u32 v1, v0, -1, s20
	s_movk_i32 s4, 0xff
	s_ashr_i32 s3, s2, 31
	v_cmp_lt_u32_e32 vcc, s4, v1
	s_mov_b64 s[6:7], -1
	v_mov_b32_e32 v2, v0
	s_and_saveexec_b64 s[4:5], vcc
	s_cbranch_execz .LBB33_10
; %bb.2:
	v_lshrrev_b32_e32 v6, 8, v1
	s_lshl_b64 s[6:7], s[2:3], 3
	v_add_u32_e32 v2, -1, v6
	s_add_u32 s6, s10, s6
	v_or_b32_e32 v1, 0x100, v0
	v_lshrrev_b32_e32 v3, 1, v2
	s_addc_u32 s7, s11, s7
	s_mov_b32 s21, 0
	v_add_u32_e32 v7, 1, v3
	v_cmp_lt_u32_e32 vcc, 13, v2
	v_mov_b32_e32 v4, 0
	v_mov_b64_e32 v[2:3], v[0:1]
	s_and_saveexec_b64 s[12:13], vcc
	s_cbranch_execz .LBB33_6
; %bb.3:
	v_and_b32_e32 v8, -8, v7
	v_lshl_add_u32 v9, v0, 2, 0
	s_mov_b64 s[16:17], 0
	v_mov_b32_e32 v5, 0
	v_mov_b64_e32 v[2:3], v[0:1]
.LBB33_4:                               ; =>This Inner Loop Header: Depth=1
	v_mov_b32_e32 v4, v2
	v_lshl_add_u64 v[24:25], v[4:5], 2, s[6:7]
	v_mov_b32_e32 v4, v3
	v_add_u32_e32 v10, 0x200, v3
	v_mov_b32_e32 v11, v5
	v_lshl_add_u64 v[26:27], v[4:5], 2, s[6:7]
	v_add_u32_e32 v4, 0x200, v2
	v_lshl_add_u64 v[10:11], v[10:11], 2, s[6:7]
	global_load_dword v1, v[24:25], off
	v_lshl_add_u64 v[24:25], v[4:5], 2, s[6:7]
	v_add_u32_e32 v4, 0x400, v2
	global_load_dword v28, v[26:27], off
	global_load_dword v29, v[24:25], off
	;; [unrolled: 1-line block ×3, first 2 shown]
	v_lshl_add_u64 v[10:11], v[4:5], 2, s[6:7]
	v_add_u32_e32 v4, 0x600, v2
	v_add_u32_e32 v12, 0x400, v3
	v_mov_b32_e32 v13, v5
	v_add_u32_e32 v14, 0x600, v3
	v_mov_b32_e32 v15, v5
	v_lshl_add_u64 v[24:25], v[4:5], 2, s[6:7]
	v_add_u32_e32 v4, 0x800, v2
	v_lshl_add_u64 v[12:13], v[12:13], 2, s[6:7]
	v_lshl_add_u64 v[14:15], v[14:15], 2, s[6:7]
	global_load_dword v26, v[10:11], off
	global_load_dword v27, v[12:13], off
	;; [unrolled: 1-line block ×4, first 2 shown]
	v_lshl_add_u64 v[10:11], v[4:5], 2, s[6:7]
	v_add_u32_e32 v4, 0xa00, v2
	v_add_u32_e32 v16, 0x800, v3
	v_mov_b32_e32 v17, v5
	v_add_u32_e32 v18, 0xa00, v3
	v_mov_b32_e32 v19, v5
	v_lshl_add_u64 v[12:13], v[4:5], 2, s[6:7]
	v_add_u32_e32 v4, 0xc00, v2
	v_add_u32_e32 v20, 0xc00, v3
	v_mov_b32_e32 v21, v5
	v_add_u32_e32 v22, 0xe00, v3
	v_mov_b32_e32 v23, v5
	v_lshl_add_u64 v[16:17], v[16:17], 2, s[6:7]
	v_lshl_add_u64 v[18:19], v[18:19], 2, s[6:7]
	global_load_dword v14, v[10:11], off
	global_load_dword v15, v[16:17], off
	global_load_dword v24, v[12:13], off
	global_load_dword v25, v[18:19], off
	v_lshl_add_u64 v[10:11], v[4:5], 2, s[6:7]
	v_add_u32_e32 v4, 0xe00, v2
	v_lshl_add_u64 v[20:21], v[20:21], 2, s[6:7]
	v_lshl_add_u64 v[22:23], v[22:23], 2, s[6:7]
	v_lshl_add_u64 v[12:13], v[4:5], 2, s[6:7]
	global_load_dword v16, v[10:11], off
	global_load_dword v17, v[20:21], off
	;; [unrolled: 1-line block ×4, first 2 shown]
	v_add_u32_e32 v8, -8, v8
	s_add_i32 s21, s21, 16
	v_cmp_eq_u32_e32 vcc, 0, v8
	v_add_u32_e32 v3, 0x1000, v3
	v_mov_b32_e32 v4, s21
	s_or_b64 s[16:17], vcc, s[16:17]
	v_add_u32_e32 v2, 0x1000, v2
	s_waitcnt vmcnt(14)
	ds_write2st64_b32 v9, v1, v28 offset1:4
	s_waitcnt vmcnt(12)
	ds_write2st64_b32 v9, v29, v30 offset0:8 offset1:12
	s_waitcnt vmcnt(10)
	ds_write2st64_b32 v9, v26, v27 offset0:16 offset1:20
	;; [unrolled: 2-line block ×7, first 2 shown]
	v_add_u32_e32 v9, 0x4000, v9
	s_andn2_b64 exec, exec, s[16:17]
	s_cbranch_execnz .LBB33_4
; %bb.5:
	s_or_b64 exec, exec, s[16:17]
.LBB33_6:
	s_or_b64 exec, exec, s[12:13]
	v_and_b32_e32 v1, 7, v7
	v_cmp_ne_u32_e32 vcc, 0, v1
	s_and_saveexec_b64 s[12:13], vcc
	s_cbranch_execz .LBB33_9
; %bb.7:
	v_lshlrev_b32_e32 v5, 2, v0
	v_lshl_or_b32 v4, v4, 10, v5
	v_add_u32_e32 v7, 0, v4
	s_mov_b64 s[16:17], 0
	v_mov_b32_e32 v5, 0
.LBB33_8:                               ; =>This Inner Loop Header: Depth=1
	v_mov_b32_e32 v4, v2
	v_lshl_add_u64 v[8:9], v[4:5], 2, s[6:7]
	v_mov_b32_e32 v4, v3
	v_lshl_add_u64 v[10:11], v[4:5], 2, s[6:7]
	global_load_dword v4, v[8:9], off
	global_load_dword v12, v[10:11], off
	v_add_u32_e32 v1, -1, v1
	v_cmp_eq_u32_e32 vcc, 0, v1
	v_add_u32_e32 v2, 0x200, v2
	v_add_u32_e32 v3, 0x200, v3
	s_or_b64 s[16:17], vcc, s[16:17]
	s_waitcnt vmcnt(0)
	ds_write2st64_b32 v7, v4, v12 offset1:4
	v_add_u32_e32 v7, 0x800, v7
	s_andn2_b64 exec, exec, s[16:17]
	s_cbranch_execnz .LBB33_8
.LBB33_9:
	s_or_b64 exec, exec, s[12:13]
	v_add_u32_e32 v1, 1, v6
	v_and_b32_e32 v3, 0x1fffffe, v1
	v_cmp_ne_u32_e32 vcc, v1, v3
	v_lshl_or_b32 v2, v3, 8, v0
	s_orn2_b64 s[6:7], vcc, exec
.LBB33_10:
	s_or_b64 exec, exec, s[4:5]
	s_and_b64 exec, exec, s[6:7]
	s_cbranch_execz .LBB33_13
; %bb.11:
	s_lshl_b64 s[4:5], s[2:3], 3
	s_add_u32 s4, s10, s4
	v_mov_b32_e32 v3, 0
	s_addc_u32 s5, s11, s5
	v_lshl_add_u64 v[4:5], v[2:3], 2, s[4:5]
	v_lshl_add_u32 v1, v2, 2, 0
	s_mov_b64 s[4:5], 0
	s_mov_b64 s[6:7], 0x400
.LBB33_12:                              ; =>This Inner Loop Header: Depth=1
	global_load_dword v3, v[4:5], off
	v_add_u32_e32 v2, 0x100, v2
	v_cmp_le_i32_e32 vcc, s20, v2
	v_lshl_add_u64 v[4:5], v[4:5], 0, s[6:7]
	s_or_b64 s[4:5], vcc, s[4:5]
	s_waitcnt vmcnt(0)
	ds_write_b32 v1, v3
	v_add_u32_e32 v1, 0x400, v1
	s_andn2_b64 exec, exec, s[4:5]
	s_cbranch_execnz .LBB33_12
.LBB33_13:
	s_or_b64 exec, exec, s[0:1]
	v_mov_b32_e32 v1, 0
	s_waitcnt lgkmcnt(0)
	s_barrier
	ds_read_b32 v1, v1
	s_cmp_lt_i32 s19, 2
	s_cbranch_scc1 .LBB33_21
; %bb.14:
	s_cmp_eq_u32 s19, 2
	s_cbranch_scc1 .LBB33_18
; %bb.15:
	s_add_i32 s3, s19, -1
	s_and_b32 s4, s3, -2
	s_add_i32 s6, 0, 8
	s_mov_b32 s5, 2
	s_waitcnt lgkmcnt(0)
	v_mov_b32_e32 v4, v1
.LBB33_16:                              ; =>This Inner Loop Header: Depth=1
	v_mov_b32_e32 v2, v1
	v_mov_b32_e32 v1, s6
	;; [unrolled: 1-line block ×3, first 2 shown]
	ds_read2_b32 v[4:5], v1 offset1:2
	s_cmp_lg_u32 s4, s5
	s_cselect_b64 s[10:11], -1, 0
	v_max_f32_e32 v1, v3, v3
	v_max_f32_e32 v6, v2, v2
	s_waitcnt lgkmcnt(0)
	v_cmp_u_f32_e32 vcc, v5, v5
	v_max_f32_e32 v7, v5, v5
	v_max_f32_e32 v8, v4, v4
	v_cndmask_b32_e64 v5, 0, 1, vcc
	v_cmp_u_f32_e32 vcc, v4, v4
	v_readfirstlane_b32 s0, v5
	s_lshl_b32 s0, s0, 1
	v_cndmask_b32_e64 v9, 0, 1, vcc
	v_max_f32_e32 v4, v1, v7
	v_readfirstlane_b32 s1, v9
	s_or_b32 s0, s1, s0
	s_and_b32 s7, s0, 3
	s_cmp_lg_u32 s7, 0
	s_cselect_b64 s[0:1], -1, 0
	s_cmp_eq_u32 s7, 0
	s_cselect_b64 s[12:13], -1, 0
	s_and_b64 s[10:11], s[12:13], s[10:11]
	v_max_f32_e32 v1, v6, v8
	s_add_i32 s5, s5, 2
	s_add_i32 s6, s6, 16
	s_and_b64 vcc, exec, s[10:11]
	s_cbranch_vccnz .LBB33_16
; %bb.17:
	s_add_i32 s5, s5, -4
	s_and_b64 s[6:7], s[0:1], exec
	s_cselect_b32 s5, s5, s3
	s_or_b32 s5, s5, 1
	v_cndmask_b32_e64 v1, v1, v2, s[0:1]
	v_cndmask_b32_e64 v2, v4, v3, s[0:1]
	s_cmp_lg_u32 s3, s4
	v_max_f32_e32 v2, v2, v2
	v_max_f32_e32 v1, v1, v1
	s_cselect_b64 s[6:7], -1, 0
	v_max_f32_e32 v1, v1, v2
	s_or_b64 s[0:1], s[6:7], s[0:1]
	s_and_b64 vcc, exec, s[0:1]
	s_cbranch_vccnz .LBB33_19
	s_branch .LBB33_21
.LBB33_18:
	s_mov_b32 s5, 1
	s_cbranch_execz .LBB33_21
.LBB33_19:
	s_lshl_b32 s1, s5, 3
	s_sub_i32 s0, s19, s5
	s_add_i32 s1, s1, 0
.LBB33_20:                              ; =>This Inner Loop Header: Depth=1
	v_mov_b32_e32 v2, s1
	ds_read_b32 v2, v2
	s_waitcnt lgkmcnt(1)
	v_max_f32_e32 v1, v1, v1
	s_add_i32 s0, s0, -1
	s_add_i32 s1, s1, 8
	s_cmp_eq_u32 s0, 0
	s_waitcnt lgkmcnt(0)
	v_max_f32_e32 v2, v2, v2
	v_max_f32_e32 v1, v1, v2
	s_cbranch_scc0 .LBB33_20
.LBB33_21:
	s_cmp_lt_i32 s19, 1
	s_cbranch_scc1 .LBB33_26
; %bb.22:
	s_lshl_b32 s0, s2, 8
	s_ashr_i32 s1, s0, 31
	s_lshl_b64 s[0:1], s[0:1], 2
	s_add_u32 s16, s8, s0
	s_addc_u32 s17, s9, s1
	s_cmp_lt_u32 s19, 8
	s_cbranch_scc1 .LBB33_27
; %bb.23:
	v_mov_b32_e32 v7, 0
	s_and_b32 s20, s19, 0x7ffffff8
	v_or_b32_e32 v4, 0x700, v0
	s_mov_b32 s21, 0
	s_mov_b32 s22, 0x3fb8aa3b
	;; [unrolled: 1-line block ×4, first 2 shown]
	v_mov_b32_e32 v8, 0x7f800000
	s_mov_b32 s25, 0
	v_mov_b32_e32 v2, v7
	v_mov_b32_e32 v3, v7
.LBB33_24:                              ; =>This Inner Loop Header: Depth=1
	v_add_u32_e32 v6, 0xfffff900, v4
	v_lshl_add_u64 v[26:27], v[6:7], 2, s[16:17]
	v_add_u32_e32 v6, 0xfffffa00, v4
	v_mov_b32_e32 v9, s21
	v_lshl_add_u64 v[30:31], v[6:7], 2, s[16:17]
	v_add_u32_e32 v6, 0xfffffb00, v4
	ds_read2_b64 v[10:13], v9 offset1:1
	ds_read2_b64 v[14:17], v9 offset0:2 offset1:3
	ds_read2_b64 v[18:21], v9 offset0:4 offset1:5
	;; [unrolled: 1-line block ×3, first 2 shown]
	global_load_dword v33, v[26:27], off
	global_load_dword v35, v[30:31], off
	v_lshl_add_u64 v[26:27], v[6:7], 2, s[16:17]
	v_add_u32_e32 v6, 0xfffffc00, v4
	v_lshl_add_u64 v[30:31], v[6:7], 2, s[16:17]
	v_add_u32_e32 v6, 0xfffffd00, v4
	global_load_dword v37, v[26:27], off
	global_load_dword v39, v[30:31], off
	v_lshl_add_u64 v[26:27], v[6:7], 2, s[16:17]
	v_add_u32_e32 v6, 0xfffffe00, v4
	s_waitcnt lgkmcnt(3)
	v_mov_b32_e32 v32, v11
	v_sub_f32_e32 v9, v12, v1
	v_mov_b32_e32 v34, v13
	global_load_dword v11, v[26:27], off
	v_lshl_add_u64 v[12:13], v[6:7], 2, s[16:17]
	s_waitcnt lgkmcnt(2)
	v_mov_b32_e32 v36, v15
	v_add_u32_e32 v6, 0xffffff00, v4
	global_load_dword v15, v[12:13], off
	v_mov_b32_e32 v5, v7
	v_lshl_add_u64 v[12:13], v[6:7], 2, s[16:17]
	v_lshl_add_u64 v[28:29], v[4:5], 2, s[16:17]
	v_sub_f32_e32 v5, v10, v1
	v_mov_b32_e32 v38, v17
	s_waitcnt lgkmcnt(1)
	v_mov_b32_e32 v10, v19
	global_load_dword v17, v[12:13], off
	global_load_dword v19, v[28:29], off
	v_sub_f32_e32 v30, v14, v1
	v_sub_f32_e32 v31, v16, v1
	;; [unrolled: 1-line block ×3, first 2 shown]
	v_mov_b32_e32 v14, v21
	s_waitcnt lgkmcnt(0)
	v_sub_f32_e32 v21, v22, v1
	v_mov_b32_e32 v16, v23
	v_sub_f32_e32 v22, v24, v1
	v_mul_f32_e32 v23, 0x3fb8aa3b, v5
	v_mov_b32_e32 v18, v25
	v_mul_f32_e32 v24, 0x3fb8aa3b, v9
	v_mul_f32_e32 v25, 0x3fb8aa3b, v30
	;; [unrolled: 1-line block ×5, first 2 shown]
	v_fma_f32 v43, v5, s22, -v23
	v_rndne_f32_e32 v44, v23
	v_sub_f32_e32 v20, v20, v1
	v_fma_f32 v45, v9, s22, -v24
	v_rndne_f32_e32 v46, v24
	v_fma_f32 v47, v30, s22, -v25
	v_rndne_f32_e32 v48, v25
	;; [unrolled: 2-line block ×5, first 2 shown]
	v_fmac_f32_e32 v43, 0x32a5705f, v5
	v_sub_f32_e32 v12, v23, v44
	v_mul_f32_e32 v26, 0x3fb8aa3b, v31
	v_mul_f32_e32 v41, 0x3fb8aa3b, v20
	v_fmac_f32_e32 v45, 0x32a5705f, v9
	v_sub_f32_e32 v23, v24, v46
	v_fmac_f32_e32 v47, 0x32a5705f, v30
	v_sub_f32_e32 v25, v25, v48
	;; [unrolled: 2-line block ×5, first 2 shown]
	v_add_f32_e32 v12, v12, v43
	v_fma_f32 v49, v31, s22, -v26
	v_rndne_f32_e32 v50, v26
	v_fma_f32 v53, v20, s22, -v41
	v_rndne_f32_e32 v54, v41
	v_cvt_i32_f32_e32 v13, v44
	v_add_f32_e32 v23, v23, v45
	v_add_f32_e32 v25, v25, v47
	;; [unrolled: 1-line block ×5, first 2 shown]
	v_exp_f32_e32 v12, v12
	v_cvt_i32_f32_e32 v24, v46
	v_cvt_i32_f32_e32 v28, v48
	v_fmac_f32_e32 v49, 0x32a5705f, v31
	v_sub_f32_e32 v26, v26, v50
	v_cvt_i32_f32_e32 v29, v50
	v_cvt_i32_f32_e32 v44, v52
	v_fmac_f32_e32 v53, 0x32a5705f, v20
	v_sub_f32_e32 v41, v41, v54
	v_cvt_i32_f32_e32 v48, v56
	v_cvt_i32_f32_e32 v50, v58
	v_exp_f32_e32 v23, v23
	v_exp_f32_e32 v25, v25
	;; [unrolled: 1-line block ×5, first 2 shown]
	v_add_f32_e32 v26, v26, v49
	v_add_f32_e32 v41, v41, v53
	v_cvt_i32_f32_e32 v46, v54
	v_exp_f32_e32 v26, v26
	v_exp_f32_e32 v41, v41
	v_ldexp_f32 v12, v12, v13
	v_cmp_ngt_f32_e64 s[12:13], s23, v5
	v_ldexp_f32 v13, v23, v24
	v_cmp_ngt_f32_e32 vcc, s23, v9
	v_ldexp_f32 v23, v25, v28
	v_ldexp_f32 v25, v27, v44
	v_ldexp_f32 v27, v42, v48
	v_cmp_ngt_f32_e64 s[8:9], s23, v21
	v_ldexp_f32 v6, v6, v50
	v_cmp_ngt_f32_e64 s[10:11], s23, v22
	v_cndmask_b32_e64 v12, 0, v12, s[12:13]
	v_cmp_nlt_f32_e64 s[12:13], s24, v5
	v_cmp_ngt_f32_e64 s[0:1], s23, v30
	v_cndmask_b32_e32 v13, 0, v13, vcc
	v_cmp_nlt_f32_e32 vcc, s24, v9
	v_cndmask_b32_e64 v27, 0, v27, s[8:9]
	v_cmp_nlt_f32_e64 s[8:9], s24, v21
	v_cndmask_b32_e64 v21, 0, v6, s[10:11]
	v_cndmask_b32_e64 v6, v8, v12, s[12:13]
	v_ldexp_f32 v24, v26, v29
	v_cmp_ngt_f32_e64 s[2:3], s23, v31
	v_cmp_ngt_f32_e64 s[4:5], s23, v40
	v_ldexp_f32 v26, v41, v46
	v_cmp_ngt_f32_e64 s[6:7], s23, v20
	v_cndmask_b32_e64 v9, 0, v23, s[0:1]
	v_cmp_nlt_f32_e64 s[0:1], s24, v30
	v_cndmask_b32_e32 v12, v8, v13, vcc
	s_waitcnt vmcnt(7)
	v_pk_fma_f32 v[2:3], v[6:7], v[32:33], v[2:3] op_sel_hi:[0,1,1]
	v_cndmask_b32_e64 v23, 0, v24, s[2:3]
	v_cmp_nlt_f32_e64 s[2:3], s24, v31
	v_cndmask_b32_e64 v24, 0, v25, s[4:5]
	v_cndmask_b32_e64 v25, 0, v26, s[6:7]
	v_cmp_nlt_f32_e64 s[6:7], s24, v20
	v_cndmask_b32_e64 v20, v8, v9, s[0:1]
	s_waitcnt vmcnt(6)
	v_pk_fma_f32 v[2:3], v[12:13], v[34:35], v[2:3] op_sel_hi:[0,1,1]
	v_cmp_nlt_f32_e64 s[4:5], s24, v40
	v_cmp_nlt_f32_e64 s[10:11], s24, v22
	v_cndmask_b32_e64 v22, v8, v23, s[2:3]
	s_waitcnt vmcnt(5)
	v_pk_fma_f32 v[2:3], v[20:21], v[36:37], v[2:3] op_sel_hi:[0,1,1]
	v_cndmask_b32_e64 v24, v8, v24, s[4:5]
	s_waitcnt vmcnt(4)
	v_pk_fma_f32 v[2:3], v[22:23], v[38:39], v[2:3] op_sel_hi:[0,1,1]
	;; [unrolled: 3-line block ×4, first 2 shown]
	s_add_i32 s25, s25, 8
	s_add_i32 s21, s21, 64
	v_cndmask_b32_e64 v30, v8, v21, s[10:11]
	s_waitcnt vmcnt(1)
	v_pk_fma_f32 v[2:3], v[28:29], v[16:17], v[2:3] op_sel_hi:[0,1,1]
	s_cmp_eq_u32 s20, s25
	v_add_u32_e32 v4, 0x800, v4
	s_waitcnt vmcnt(0)
	v_pk_fma_f32 v[2:3], v[30:31], v[18:19], v[2:3] op_sel_hi:[0,1,1]
	s_cbranch_scc0 .LBB33_24
; %bb.25:
	s_and_b32 s0, s19, 7
	s_cmp_eq_u32 s0, 0
	s_cbranch_scc0 .LBB33_28
	s_branch .LBB33_30
.LBB33_26:
	s_waitcnt lgkmcnt(0)
	v_mov_b32_e32 v1, 0x7fc00000
	s_branch .LBB33_31
.LBB33_27:
	v_mov_b32_e32 v2, 0
	s_mov_b32 s20, 0
	v_mov_b32_e32 v3, v2
	s_and_b32 s0, s19, 7
	s_cmp_eq_u32 s0, 0
	s_cbranch_scc1 .LBB33_30
.LBB33_28:
	s_lshl_b32 s1, s20, 3
	v_lshl_or_b32 v4, s20, 8, v0
	s_add_i32 s1, s1, 0
	s_mov_b32 s2, 0x3fb8aa3b
	s_mov_b32 s3, 0xc2ce8ed0
	;; [unrolled: 1-line block ×3, first 2 shown]
	v_mov_b32_e32 v6, 0x7f800000
	v_mov_b32_e32 v5, 0
.LBB33_29:                              ; =>This Inner Loop Header: Depth=1
	v_lshl_add_u64 v[8:9], v[4:5], 2, s[16:17]
	global_load_dword v9, v[8:9], off
	v_mov_b32_e32 v7, s1
	ds_read_b64 v[10:11], v7
	s_add_i32 s1, s1, 8
	s_add_i32 s0, s0, -1
	v_add_u32_e32 v4, 0x100, v4
	s_cmp_lg_u32 s0, 0
	s_waitcnt lgkmcnt(0)
	v_sub_f32_e32 v7, v10, v1
	v_mul_f32_e32 v8, 0x3fb8aa3b, v7
	v_fma_f32 v10, v7, s2, -v8
	v_rndne_f32_e32 v12, v8
	v_fmac_f32_e32 v10, 0x32a5705f, v7
	v_sub_f32_e32 v8, v8, v12
	v_add_f32_e32 v8, v8, v10
	v_cvt_i32_f32_e32 v12, v12
	v_exp_f32_e32 v10, v8
	v_cmp_ngt_f32_e32 vcc, s3, v7
	v_mov_b32_e32 v8, v11
	v_ldexp_f32 v10, v10, v12
	v_cndmask_b32_e32 v10, 0, v10, vcc
	v_cmp_nlt_f32_e32 vcc, s4, v7
	s_nop 1
	v_cndmask_b32_e32 v10, v6, v10, vcc
	s_waitcnt vmcnt(0)
	v_pk_fma_f32 v[2:3], v[10:11], v[8:9], v[2:3] op_sel_hi:[0,1,1]
	s_cbranch_scc1 .LBB33_29
.LBB33_30:
	s_waitcnt lgkmcnt(0)
	v_div_scale_f32 v1, s[0:1], v2, v2, v3
	v_rcp_f32_e32 v4, v1
	v_div_scale_f32 v5, vcc, v3, v2, v3
	v_fma_f32 v6, -v1, v4, 1.0
	v_fmac_f32_e32 v4, v6, v4
	v_mul_f32_e32 v6, v5, v4
	v_fma_f32 v7, -v1, v6, v5
	v_fmac_f32_e32 v6, v7, v4
	v_fma_f32 v1, -v1, v6, v5
	v_div_fmas_f32 v1, v1, v4, v6
	v_div_fixup_f32 v1, v1, v2, v3
.LBB33_31:
	s_lshl_b32 s0, s18, 8
	s_ashr_i32 s1, s0, 31
	s_lshl_b64 s[0:1], s[0:1], 2
	s_add_u32 s0, s14, s0
	s_addc_u32 s1, s15, s1
	v_lshlrev_b32_e32 v0, 2, v0
	global_store_dword v0, v1, s[0:1]
	s_endpgm
	.section	.rodata,"a",@progbits
	.p2align	6, 0x0
	.amdhsa_kernel _ZL26flash_attn_combine_resultsILi256EEvPKfPK15HIP_vector_typeIfLj2EEPfi
		.amdhsa_group_segment_fixed_size 0
		.amdhsa_private_segment_fixed_size 0
		.amdhsa_kernarg_size 288
		.amdhsa_user_sgpr_count 2
		.amdhsa_user_sgpr_dispatch_ptr 0
		.amdhsa_user_sgpr_queue_ptr 0
		.amdhsa_user_sgpr_kernarg_segment_ptr 1
		.amdhsa_user_sgpr_dispatch_id 0
		.amdhsa_user_sgpr_kernarg_preload_length 0
		.amdhsa_user_sgpr_kernarg_preload_offset 0
		.amdhsa_user_sgpr_private_segment_size 0
		.amdhsa_uses_dynamic_stack 0
		.amdhsa_enable_private_segment 0
		.amdhsa_system_sgpr_workgroup_id_x 1
		.amdhsa_system_sgpr_workgroup_id_y 1
		.amdhsa_system_sgpr_workgroup_id_z 1
		.amdhsa_system_sgpr_workgroup_info 0
		.amdhsa_system_vgpr_workitem_id 0
		.amdhsa_next_free_vgpr 59
		.amdhsa_next_free_sgpr 26
		.amdhsa_accum_offset 60
		.amdhsa_reserve_vcc 1
		.amdhsa_float_round_mode_32 0
		.amdhsa_float_round_mode_16_64 0
		.amdhsa_float_denorm_mode_32 3
		.amdhsa_float_denorm_mode_16_64 3
		.amdhsa_dx10_clamp 1
		.amdhsa_ieee_mode 1
		.amdhsa_fp16_overflow 0
		.amdhsa_tg_split 0
		.amdhsa_exception_fp_ieee_invalid_op 0
		.amdhsa_exception_fp_denorm_src 0
		.amdhsa_exception_fp_ieee_div_zero 0
		.amdhsa_exception_fp_ieee_overflow 0
		.amdhsa_exception_fp_ieee_underflow 0
		.amdhsa_exception_fp_ieee_inexact 0
		.amdhsa_exception_int_div_zero 0
	.end_amdhsa_kernel
	.section	.text._ZL26flash_attn_combine_resultsILi256EEvPKfPK15HIP_vector_typeIfLj2EEPfi,"axG",@progbits,_ZL26flash_attn_combine_resultsILi256EEvPKfPK15HIP_vector_typeIfLj2EEPfi,comdat
.Lfunc_end33:
	.size	_ZL26flash_attn_combine_resultsILi256EEvPKfPK15HIP_vector_typeIfLj2EEPfi, .Lfunc_end33-_ZL26flash_attn_combine_resultsILi256EEvPKfPK15HIP_vector_typeIfLj2EEPfi
                                        ; -- End function
	.set _ZL26flash_attn_combine_resultsILi256EEvPKfPK15HIP_vector_typeIfLj2EEPfi.num_vgpr, 59
	.set _ZL26flash_attn_combine_resultsILi256EEvPKfPK15HIP_vector_typeIfLj2EEPfi.num_agpr, 0
	.set _ZL26flash_attn_combine_resultsILi256EEvPKfPK15HIP_vector_typeIfLj2EEPfi.numbered_sgpr, 26
	.set _ZL26flash_attn_combine_resultsILi256EEvPKfPK15HIP_vector_typeIfLj2EEPfi.num_named_barrier, 0
	.set _ZL26flash_attn_combine_resultsILi256EEvPKfPK15HIP_vector_typeIfLj2EEPfi.private_seg_size, 0
	.set _ZL26flash_attn_combine_resultsILi256EEvPKfPK15HIP_vector_typeIfLj2EEPfi.uses_vcc, 1
	.set _ZL26flash_attn_combine_resultsILi256EEvPKfPK15HIP_vector_typeIfLj2EEPfi.uses_flat_scratch, 0
	.set _ZL26flash_attn_combine_resultsILi256EEvPKfPK15HIP_vector_typeIfLj2EEPfi.has_dyn_sized_stack, 0
	.set _ZL26flash_attn_combine_resultsILi256EEvPKfPK15HIP_vector_typeIfLj2EEPfi.has_recursion, 0
	.set _ZL26flash_attn_combine_resultsILi256EEvPKfPK15HIP_vector_typeIfLj2EEPfi.has_indirect_call, 0
	.section	.AMDGPU.csdata,"",@progbits
; Kernel info:
; codeLenInByte = 2924
; TotalNumSgprs: 32
; NumVgprs: 59
; NumAgprs: 0
; TotalNumVgprs: 59
; ScratchSize: 0
; MemoryBound: 0
; FloatMode: 240
; IeeeMode: 1
; LDSByteSize: 0 bytes/workgroup (compile time only)
; SGPRBlocks: 3
; VGPRBlocks: 7
; NumSGPRsForWavesPerEU: 32
; NumVGPRsForWavesPerEU: 59
; AccumOffset: 60
; Occupancy: 8
; WaveLimiterHint : 0
; COMPUTE_PGM_RSRC2:SCRATCH_EN: 0
; COMPUTE_PGM_RSRC2:USER_SGPR: 2
; COMPUTE_PGM_RSRC2:TRAP_HANDLER: 0
; COMPUTE_PGM_RSRC2:TGID_X_EN: 1
; COMPUTE_PGM_RSRC2:TGID_Y_EN: 1
; COMPUTE_PGM_RSRC2:TGID_Z_EN: 1
; COMPUTE_PGM_RSRC2:TIDIG_COMP_CNT: 0
; COMPUTE_PGM_RSRC3_GFX90A:ACCUM_OFFSET: 14
; COMPUTE_PGM_RSRC3_GFX90A:TG_SPLIT: 0
	.text
	.p2alignl 6, 3212836864
	.fill 256, 4, 3212836864
	.section	.AMDGPU.gpr_maximums,"",@progbits
	.set amdgpu.max_num_vgpr, 50
	.set amdgpu.max_num_agpr, 0
	.set amdgpu.max_num_sgpr, 34
	.text
	.type	.str.3,@object                  ; @.str.3
	.section	.rodata.str1.1,"aMS",@progbits,1
.str.3:
	.asciz	"/root/src/amdgpu-assembly/repos/ggml-org__llama.cpp/ggml/src/ggml-cuda/template-instances/../fattn-mma-f16.cuh"
	.size	.str.3, 111

	.type	__FUNCTION__._ZL18flash_attn_ext_f16ILi64ELi64ELi16ELi1ELb1ELb0EEvPKcS1_S1_S1_S1_PKiPfP15HIP_vector_typeIfLj2EEffffjfiS5_IjLj3EEiiiiiiiiiiiliiliiiiil,@object ; @__FUNCTION__._ZL18flash_attn_ext_f16ILi64ELi64ELi16ELi1ELb1ELb0EEvPKcS1_S1_S1_S1_PKiPfP15HIP_vector_typeIfLj2EEffffjfiS5_IjLj3EEiiiiiiiiiiiliiliiiiil
__FUNCTION__._ZL18flash_attn_ext_f16ILi64ELi64ELi16ELi1ELb1ELb0EEvPKcS1_S1_S1_S1_PKiPfP15HIP_vector_typeIfLj2EEffffjfiS5_IjLj3EEiiiiiiiiiiiliiliiiiil:
	.asciz	"flash_attn_ext_f16"
	.size	__FUNCTION__._ZL18flash_attn_ext_f16ILi64ELi64ELi16ELi1ELb1ELb0EEvPKcS1_S1_S1_S1_PKiPfP15HIP_vector_typeIfLj2EEffffjfiS5_IjLj3EEiiiiiiiiiiiliiliiiiil, 19

	.type	.str.5,@object                  ; @.str.5
.str.5:
	.asciz	"%s:%d: ERROR: HIP kernel %s has no device code compatible with HIP arch %d.\n"
	.size	.str.5, 77

	.type	__hip_cuid_cb23b4a4cfe8df0c,@object ; @__hip_cuid_cb23b4a4cfe8df0c
	.section	.bss,"aw",@nobits
	.globl	__hip_cuid_cb23b4a4cfe8df0c
__hip_cuid_cb23b4a4cfe8df0c:
	.byte	0                               ; 0x0
	.size	__hip_cuid_cb23b4a4cfe8df0c, 1

	.ident	"AMD clang version 22.0.0git (https://github.com/RadeonOpenCompute/llvm-project roc-7.2.4 26084 f58b06dce1f9c15707c5f808fd002e18c2accf7e)"
	.section	".note.GNU-stack","",@progbits
	.addrsig
	.addrsig_sym __hip_cuid_cb23b4a4cfe8df0c
	.amdgpu_metadata
---
amdhsa.kernels:
  - .agpr_count:     0
    .args:
      - .address_space:  global
        .offset:         0
        .size:           8
        .value_kind:     global_buffer
      - .address_space:  global
        .offset:         8
        .size:           8
        .value_kind:     global_buffer
      - .address_space:  global
        .offset:         16
        .size:           8
        .value_kind:     global_buffer
      - .address_space:  global
        .offset:         24
        .size:           8
        .value_kind:     global_buffer
      - .address_space:  global
        .offset:         32
        .size:           8
        .value_kind:     global_buffer
      - .address_space:  global
        .offset:         40
        .size:           8
        .value_kind:     global_buffer
      - .address_space:  global
        .offset:         48
        .size:           8
        .value_kind:     global_buffer
      - .address_space:  global
        .offset:         56
        .size:           8
        .value_kind:     global_buffer
      - .offset:         64
        .size:           4
        .value_kind:     by_value
      - .offset:         68
        .size:           4
        .value_kind:     by_value
      - .offset:         72
        .size:           4
        .value_kind:     by_value
      - .offset:         76
        .size:           4
        .value_kind:     by_value
      - .offset:         80
        .size:           4
        .value_kind:     by_value
      - .offset:         84
        .size:           4
        .value_kind:     by_value
      - .offset:         88
        .size:           4
        .value_kind:     by_value
      - .offset:         92
        .size:           12
        .value_kind:     by_value
      - .offset:         104
        .size:           4
        .value_kind:     by_value
      - .offset:         108
        .size:           4
        .value_kind:     by_value
      - .offset:         112
        .size:           4
        .value_kind:     by_value
      - .offset:         116
        .size:           4
        .value_kind:     by_value
      - .offset:         120
        .size:           4
        .value_kind:     by_value
      - .offset:         124
        .size:           4
        .value_kind:     by_value
      - .offset:         128
        .size:           4
        .value_kind:     by_value
      - .offset:         132
        .size:           4
        .value_kind:     by_value
      - .offset:         136
        .size:           4
        .value_kind:     by_value
      - .offset:         140
        .size:           4
        .value_kind:     by_value
      - .offset:         144
        .size:           4
        .value_kind:     by_value
      - .offset:         152
        .size:           8
        .value_kind:     by_value
      - .offset:         160
        .size:           4
        .value_kind:     by_value
      - .offset:         164
        .size:           4
        .value_kind:     by_value
      - .offset:         168
        .size:           8
        .value_kind:     by_value
      - .offset:         176
        .size:           4
        .value_kind:     by_value
      - .offset:         180
        .size:           4
        .value_kind:     by_value
      - .offset:         184
        .size:           4
        .value_kind:     by_value
      - .offset:         188
        .size:           4
        .value_kind:     by_value
      - .offset:         192
        .size:           4
        .value_kind:     by_value
      - .offset:         200
        .size:           8
        .value_kind:     by_value
      - .offset:         208
        .size:           4
        .value_kind:     hidden_block_count_x
      - .offset:         212
        .size:           4
        .value_kind:     hidden_block_count_y
      - .offset:         216
        .size:           4
        .value_kind:     hidden_block_count_z
      - .offset:         220
        .size:           2
        .value_kind:     hidden_group_size_x
      - .offset:         222
        .size:           2
        .value_kind:     hidden_group_size_y
      - .offset:         224
        .size:           2
        .value_kind:     hidden_group_size_z
      - .offset:         226
        .size:           2
        .value_kind:     hidden_remainder_x
      - .offset:         228
        .size:           2
        .value_kind:     hidden_remainder_y
      - .offset:         230
        .size:           2
        .value_kind:     hidden_remainder_z
      - .offset:         248
        .size:           8
        .value_kind:     hidden_global_offset_x
      - .offset:         256
        .size:           8
        .value_kind:     hidden_global_offset_y
      - .offset:         264
        .size:           8
        .value_kind:     hidden_global_offset_z
      - .offset:         272
        .size:           2
        .value_kind:     hidden_grid_dims
      - .offset:         328
        .size:           4
        .value_kind:     hidden_dynamic_lds_size
    .group_segment_fixed_size: 0
    .kernarg_segment_align: 8
    .kernarg_segment_size: 464
    .language:       OpenCL C
    .language_version:
      - 2
      - 0
    .max_flat_workgroup_size: 256
    .name:           _ZL18flash_attn_ext_f16ILi64ELi64ELi16ELi1ELb0ELb0EEvPKcS1_S1_S1_S1_PKiPfP15HIP_vector_typeIfLj2EEffffjfiS5_IjLj3EEiiiiiiiiiiiliiliiiiil
    .private_segment_fixed_size: 32
    .sgpr_count:     106
    .sgpr_spill_count: 54
    .symbol:         _ZL18flash_attn_ext_f16ILi64ELi64ELi16ELi1ELb0ELb0EEvPKcS1_S1_S1_S1_PKiPfP15HIP_vector_typeIfLj2EEffffjfiS5_IjLj3EEiiiiiiiiiiiliiliiiiil.kd
    .uniform_work_group_size: 1
    .uses_dynamic_stack: false
    .vgpr_count:     160
    .vgpr_spill_count: 0
    .wavefront_size: 64
  - .agpr_count:     0
    .args:
      - .address_space:  global
        .offset:         0
        .size:           8
        .value_kind:     global_buffer
      - .address_space:  global
        .offset:         8
        .size:           8
        .value_kind:     global_buffer
      - .address_space:  global
        .offset:         16
        .size:           8
        .value_kind:     global_buffer
      - .address_space:  global
        .offset:         24
        .size:           8
        .value_kind:     global_buffer
      - .address_space:  global
        .offset:         32
        .size:           8
        .value_kind:     global_buffer
      - .address_space:  global
        .offset:         40
        .size:           8
        .value_kind:     global_buffer
      - .address_space:  global
        .offset:         48
        .size:           8
        .value_kind:     global_buffer
      - .address_space:  global
        .offset:         56
        .size:           8
        .value_kind:     global_buffer
      - .offset:         64
        .size:           4
        .value_kind:     by_value
      - .offset:         68
        .size:           4
        .value_kind:     by_value
      - .offset:         72
        .size:           4
        .value_kind:     by_value
      - .offset:         76
        .size:           4
        .value_kind:     by_value
      - .offset:         80
        .size:           4
        .value_kind:     by_value
      - .offset:         84
        .size:           4
        .value_kind:     by_value
      - .offset:         88
        .size:           4
        .value_kind:     by_value
      - .offset:         92
        .size:           12
        .value_kind:     by_value
      - .offset:         104
        .size:           4
        .value_kind:     by_value
      - .offset:         108
        .size:           4
        .value_kind:     by_value
      - .offset:         112
        .size:           4
        .value_kind:     by_value
      - .offset:         116
        .size:           4
        .value_kind:     by_value
      - .offset:         120
        .size:           4
        .value_kind:     by_value
      - .offset:         124
        .size:           4
        .value_kind:     by_value
      - .offset:         128
        .size:           4
        .value_kind:     by_value
      - .offset:         132
        .size:           4
        .value_kind:     by_value
      - .offset:         136
        .size:           4
        .value_kind:     by_value
      - .offset:         140
        .size:           4
        .value_kind:     by_value
      - .offset:         144
        .size:           4
        .value_kind:     by_value
      - .offset:         152
        .size:           8
        .value_kind:     by_value
      - .offset:         160
        .size:           4
        .value_kind:     by_value
      - .offset:         164
        .size:           4
        .value_kind:     by_value
      - .offset:         168
        .size:           8
        .value_kind:     by_value
      - .offset:         176
        .size:           4
        .value_kind:     by_value
      - .offset:         180
        .size:           4
        .value_kind:     by_value
      - .offset:         184
        .size:           4
        .value_kind:     by_value
      - .offset:         188
        .size:           4
        .value_kind:     by_value
      - .offset:         192
        .size:           4
        .value_kind:     by_value
      - .offset:         200
        .size:           8
        .value_kind:     by_value
      - .offset:         208
        .size:           4
        .value_kind:     hidden_block_count_x
      - .offset:         212
        .size:           4
        .value_kind:     hidden_block_count_y
      - .offset:         216
        .size:           4
        .value_kind:     hidden_block_count_z
      - .offset:         220
        .size:           2
        .value_kind:     hidden_group_size_x
      - .offset:         222
        .size:           2
        .value_kind:     hidden_group_size_y
      - .offset:         224
        .size:           2
        .value_kind:     hidden_group_size_z
      - .offset:         226
        .size:           2
        .value_kind:     hidden_remainder_x
      - .offset:         228
        .size:           2
        .value_kind:     hidden_remainder_y
      - .offset:         230
        .size:           2
        .value_kind:     hidden_remainder_z
      - .offset:         248
        .size:           8
        .value_kind:     hidden_global_offset_x
      - .offset:         256
        .size:           8
        .value_kind:     hidden_global_offset_y
      - .offset:         264
        .size:           8
        .value_kind:     hidden_global_offset_z
      - .offset:         272
        .size:           2
        .value_kind:     hidden_grid_dims
      - .offset:         288
        .size:           8
        .value_kind:     hidden_hostcall_buffer
    .group_segment_fixed_size: 0
    .kernarg_segment_align: 8
    .kernarg_segment_size: 464
    .language:       OpenCL C
    .language_version:
      - 2
      - 0
    .max_flat_workgroup_size: 256
    .name:           _ZL18flash_attn_ext_f16ILi64ELi64ELi16ELi1ELb1ELb0EEvPKcS1_S1_S1_S1_PKiPfP15HIP_vector_typeIfLj2EEffffjfiS5_IjLj3EEiiiiiiiiiiiliiliiiiil
    .private_segment_fixed_size: 16
    .sgpr_count:     40
    .sgpr_spill_count: 0
    .symbol:         _ZL18flash_attn_ext_f16ILi64ELi64ELi16ELi1ELb1ELb0EEvPKcS1_S1_S1_S1_PKiPfP15HIP_vector_typeIfLj2EEffffjfiS5_IjLj3EEiiiiiiiiiiiliiliiiiil.kd
    .uniform_work_group_size: 1
    .uses_dynamic_stack: false
    .vgpr_count:     50
    .vgpr_spill_count: 0
    .wavefront_size: 64
  - .agpr_count:     0
    .args:
      - .actual_access:  read_only
        .address_space:  global
        .offset:         0
        .size:           8
        .value_kind:     global_buffer
      - .actual_access:  write_only
        .address_space:  global
        .offset:         8
        .size:           8
        .value_kind:     global_buffer
      - .offset:         16
        .size:           4
        .value_kind:     by_value
      - .offset:         20
        .size:           4
        .value_kind:     by_value
      - .offset:         24
        .size:           4
        .value_kind:     by_value
      - .offset:         32
        .size:           4
        .value_kind:     hidden_block_count_x
      - .offset:         36
        .size:           4
        .value_kind:     hidden_block_count_y
      - .offset:         40
        .size:           4
        .value_kind:     hidden_block_count_z
      - .offset:         44
        .size:           2
        .value_kind:     hidden_group_size_x
      - .offset:         46
        .size:           2
        .value_kind:     hidden_group_size_y
      - .offset:         48
        .size:           2
        .value_kind:     hidden_group_size_z
      - .offset:         50
        .size:           2
        .value_kind:     hidden_remainder_x
      - .offset:         52
        .size:           2
        .value_kind:     hidden_remainder_y
      - .offset:         54
        .size:           2
        .value_kind:     hidden_remainder_z
      - .offset:         72
        .size:           8
        .value_kind:     hidden_global_offset_x
      - .offset:         80
        .size:           8
        .value_kind:     hidden_global_offset_y
      - .offset:         88
        .size:           8
        .value_kind:     hidden_global_offset_z
      - .offset:         96
        .size:           2
        .value_kind:     hidden_grid_dims
    .group_segment_fixed_size: 128
    .kernarg_segment_align: 8
    .kernarg_segment_size: 288
    .language:       OpenCL C
    .language_version:
      - 2
      - 0
    .max_flat_workgroup_size: 128
    .name:           _ZL25flash_attn_mask_to_KV_maxILi16EEvPK7__half2Piiii
    .private_segment_fixed_size: 0
    .sgpr_count:     84
    .sgpr_spill_count: 0
    .symbol:         _ZL25flash_attn_mask_to_KV_maxILi16EEvPK7__half2Piiii.kd
    .uniform_work_group_size: 1
    .uses_dynamic_stack: false
    .vgpr_count:     12
    .vgpr_spill_count: 0
    .wavefront_size: 64
  - .agpr_count:     0
    .args:
      - .address_space:  global
        .offset:         0
        .size:           8
        .value_kind:     global_buffer
      - .address_space:  global
        .offset:         8
        .size:           8
        .value_kind:     global_buffer
      - .offset:         16
        .size:           4
        .value_kind:     by_value
      - .offset:         20
        .size:           4
        .value_kind:     by_value
      - .offset:         24
        .size:           4
        .value_kind:     by_value
      - .offset:         28
        .size:           4
        .value_kind:     by_value
      - .offset:         32
        .size:           4
        .value_kind:     by_value
      - .offset:         36
        .size:           4
        .value_kind:     by_value
      - .offset:         40
        .size:           12
        .value_kind:     by_value
      - .offset:         52
        .size:           12
        .value_kind:     by_value
      - .offset:         64
        .size:           12
        .value_kind:     by_value
    .group_segment_fixed_size: 0
    .kernarg_segment_align: 8
    .kernarg_segment_size: 76
    .language:       OpenCL C
    .language_version:
      - 2
      - 0
    .max_flat_workgroup_size: 64
    .name:           _ZL33flash_attn_stream_k_fixup_uniformILi64ELi16ELi1EEvPfPK15HIP_vector_typeIfLj2EEiiiiiiS1_IjLj3EES5_S5_
    .private_segment_fixed_size: 0
    .sgpr_count:     30
    .sgpr_spill_count: 0
    .symbol:         _ZL33flash_attn_stream_k_fixup_uniformILi64ELi16ELi1EEvPfPK15HIP_vector_typeIfLj2EEiiiiiiS1_IjLj3EES5_S5_.kd
    .uniform_work_group_size: 1
    .uses_dynamic_stack: false
    .vgpr_count:     17
    .vgpr_spill_count: 0
    .wavefront_size: 64
  - .agpr_count:     0
    .args:
      - .address_space:  global
        .offset:         0
        .size:           8
        .value_kind:     global_buffer
      - .address_space:  global
        .offset:         8
        .size:           8
        .value_kind:     global_buffer
      - .offset:         16
        .size:           4
        .value_kind:     by_value
      - .offset:         20
        .size:           4
        .value_kind:     by_value
      - .offset:         24
        .size:           4
        .value_kind:     by_value
      - .offset:         28
        .size:           4
        .value_kind:     by_value
      - .offset:         32
        .size:           12
        .value_kind:     by_value
      - .offset:         44
        .size:           12
        .value_kind:     by_value
      - .offset:         56
        .size:           12
        .value_kind:     by_value
      - .offset:         68
        .size:           12
        .value_kind:     by_value
      - .offset:         80
        .size:           4
        .value_kind:     hidden_block_count_x
      - .offset:         84
        .size:           4
        .value_kind:     hidden_block_count_y
      - .offset:         88
        .size:           4
        .value_kind:     hidden_block_count_z
      - .offset:         92
        .size:           2
        .value_kind:     hidden_group_size_x
      - .offset:         94
        .size:           2
        .value_kind:     hidden_group_size_y
      - .offset:         96
        .size:           2
        .value_kind:     hidden_group_size_z
      - .offset:         98
        .size:           2
        .value_kind:     hidden_remainder_x
      - .offset:         100
        .size:           2
        .value_kind:     hidden_remainder_y
      - .offset:         102
        .size:           2
        .value_kind:     hidden_remainder_z
      - .offset:         120
        .size:           8
        .value_kind:     hidden_global_offset_x
      - .offset:         128
        .size:           8
        .value_kind:     hidden_global_offset_y
      - .offset:         136
        .size:           8
        .value_kind:     hidden_global_offset_z
      - .offset:         144
        .size:           2
        .value_kind:     hidden_grid_dims
    .group_segment_fixed_size: 0
    .kernarg_segment_align: 8
    .kernarg_segment_size: 336
    .language:       OpenCL C
    .language_version:
      - 2
      - 0
    .max_flat_workgroup_size: 64
    .name:           _ZL33flash_attn_stream_k_fixup_generalILi64ELi16ELi1EEvPfPK15HIP_vector_typeIfLj2EEiiiiS1_IjLj3EES5_S5_S5_
    .private_segment_fixed_size: 0
    .sgpr_count:     42
    .sgpr_spill_count: 0
    .symbol:         _ZL33flash_attn_stream_k_fixup_generalILi64ELi16ELi1EEvPfPK15HIP_vector_typeIfLj2EEiiiiS1_IjLj3EES5_S5_S5_.kd
    .uniform_work_group_size: 1
    .uses_dynamic_stack: false
    .vgpr_count:     18
    .vgpr_spill_count: 0
    .wavefront_size: 64
  - .agpr_count:     0
    .args:
      - .address_space:  global
        .offset:         0
        .size:           8
        .value_kind:     global_buffer
      - .address_space:  global
        .offset:         8
        .size:           8
        .value_kind:     global_buffer
      - .address_space:  global
        .offset:         16
        .size:           8
        .value_kind:     global_buffer
      - .offset:         24
        .size:           4
        .value_kind:     by_value
      - .offset:         32
        .size:           4
        .value_kind:     hidden_block_count_x
      - .offset:         36
        .size:           4
        .value_kind:     hidden_block_count_y
      - .offset:         40
        .size:           4
        .value_kind:     hidden_block_count_z
      - .offset:         44
        .size:           2
        .value_kind:     hidden_group_size_x
      - .offset:         46
        .size:           2
        .value_kind:     hidden_group_size_y
      - .offset:         48
        .size:           2
        .value_kind:     hidden_group_size_z
      - .offset:         50
        .size:           2
        .value_kind:     hidden_remainder_x
      - .offset:         52
        .size:           2
        .value_kind:     hidden_remainder_y
      - .offset:         54
        .size:           2
        .value_kind:     hidden_remainder_z
      - .offset:         72
        .size:           8
        .value_kind:     hidden_global_offset_x
      - .offset:         80
        .size:           8
        .value_kind:     hidden_global_offset_y
      - .offset:         88
        .size:           8
        .value_kind:     hidden_global_offset_z
      - .offset:         96
        .size:           2
        .value_kind:     hidden_grid_dims
      - .offset:         152
        .size:           4
        .value_kind:     hidden_dynamic_lds_size
    .group_segment_fixed_size: 0
    .kernarg_segment_align: 8
    .kernarg_segment_size: 288
    .language:       OpenCL C
    .language_version:
      - 2
      - 0
    .max_flat_workgroup_size: 64
    .name:           _ZL26flash_attn_combine_resultsILi64EEvPKfPK15HIP_vector_typeIfLj2EEPfi
    .private_segment_fixed_size: 0
    .sgpr_count:     32
    .sgpr_spill_count: 0
    .symbol:         _ZL26flash_attn_combine_resultsILi64EEvPKfPK15HIP_vector_typeIfLj2EEPfi.kd
    .uniform_work_group_size: 1
    .uses_dynamic_stack: false
    .vgpr_count:     59
    .vgpr_spill_count: 0
    .wavefront_size: 64
  - .agpr_count:     0
    .args:
      - .address_space:  global
        .offset:         0
        .size:           8
        .value_kind:     global_buffer
      - .address_space:  global
        .offset:         8
        .size:           8
        .value_kind:     global_buffer
      - .address_space:  global
        .offset:         16
        .size:           8
        .value_kind:     global_buffer
      - .address_space:  global
        .offset:         24
        .size:           8
        .value_kind:     global_buffer
      - .address_space:  global
        .offset:         32
        .size:           8
        .value_kind:     global_buffer
      - .address_space:  global
        .offset:         40
        .size:           8
        .value_kind:     global_buffer
      - .address_space:  global
        .offset:         48
        .size:           8
        .value_kind:     global_buffer
      - .address_space:  global
        .offset:         56
        .size:           8
        .value_kind:     global_buffer
      - .offset:         64
        .size:           4
        .value_kind:     by_value
      - .offset:         68
        .size:           4
        .value_kind:     by_value
      - .offset:         72
        .size:           4
        .value_kind:     by_value
      - .offset:         76
        .size:           4
        .value_kind:     by_value
      - .offset:         80
        .size:           4
        .value_kind:     by_value
      - .offset:         84
        .size:           4
        .value_kind:     by_value
      - .offset:         88
        .size:           4
        .value_kind:     by_value
      - .offset:         92
        .size:           12
        .value_kind:     by_value
      - .offset:         104
        .size:           4
        .value_kind:     by_value
      - .offset:         108
        .size:           4
        .value_kind:     by_value
      - .offset:         112
        .size:           4
        .value_kind:     by_value
      - .offset:         116
        .size:           4
        .value_kind:     by_value
      - .offset:         120
        .size:           4
        .value_kind:     by_value
      - .offset:         124
        .size:           4
        .value_kind:     by_value
      - .offset:         128
        .size:           4
        .value_kind:     by_value
      - .offset:         132
        .size:           4
        .value_kind:     by_value
      - .offset:         136
        .size:           4
        .value_kind:     by_value
      - .offset:         140
        .size:           4
        .value_kind:     by_value
      - .offset:         144
        .size:           4
        .value_kind:     by_value
      - .offset:         152
        .size:           8
        .value_kind:     by_value
      - .offset:         160
        .size:           4
        .value_kind:     by_value
      - .offset:         164
        .size:           4
        .value_kind:     by_value
      - .offset:         168
        .size:           8
        .value_kind:     by_value
      - .offset:         176
        .size:           4
        .value_kind:     by_value
      - .offset:         180
        .size:           4
        .value_kind:     by_value
      - .offset:         184
        .size:           4
        .value_kind:     by_value
      - .offset:         188
        .size:           4
        .value_kind:     by_value
      - .offset:         192
        .size:           4
        .value_kind:     by_value
      - .offset:         200
        .size:           8
        .value_kind:     by_value
      - .offset:         208
        .size:           4
        .value_kind:     hidden_block_count_x
      - .offset:         212
        .size:           4
        .value_kind:     hidden_block_count_y
      - .offset:         216
        .size:           4
        .value_kind:     hidden_block_count_z
      - .offset:         220
        .size:           2
        .value_kind:     hidden_group_size_x
      - .offset:         222
        .size:           2
        .value_kind:     hidden_group_size_y
      - .offset:         224
        .size:           2
        .value_kind:     hidden_group_size_z
      - .offset:         226
        .size:           2
        .value_kind:     hidden_remainder_x
      - .offset:         228
        .size:           2
        .value_kind:     hidden_remainder_y
      - .offset:         230
        .size:           2
        .value_kind:     hidden_remainder_z
      - .offset:         248
        .size:           8
        .value_kind:     hidden_global_offset_x
      - .offset:         256
        .size:           8
        .value_kind:     hidden_global_offset_y
      - .offset:         264
        .size:           8
        .value_kind:     hidden_global_offset_z
      - .offset:         272
        .size:           2
        .value_kind:     hidden_grid_dims
      - .offset:         328
        .size:           4
        .value_kind:     hidden_dynamic_lds_size
    .group_segment_fixed_size: 0
    .kernarg_segment_align: 8
    .kernarg_segment_size: 464
    .language:       OpenCL C
    .language_version:
      - 2
      - 0
    .max_flat_workgroup_size: 256
    .name:           _ZL18flash_attn_ext_f16ILi80ELi80ELi16ELi1ELb0ELb0EEvPKcS1_S1_S1_S1_PKiPfP15HIP_vector_typeIfLj2EEffffjfiS5_IjLj3EEiiiiiiiiiiiliiliiiiil
    .private_segment_fixed_size: 32
    .sgpr_count:     106
    .sgpr_spill_count: 63
    .symbol:         _ZL18flash_attn_ext_f16ILi80ELi80ELi16ELi1ELb0ELb0EEvPKcS1_S1_S1_S1_PKiPfP15HIP_vector_typeIfLj2EEffffjfiS5_IjLj3EEiiiiiiiiiiiliiliiiiil.kd
    .uniform_work_group_size: 1
    .uses_dynamic_stack: false
    .vgpr_count:     173
    .vgpr_spill_count: 0
    .wavefront_size: 64
  - .agpr_count:     0
    .args:
      - .address_space:  global
        .offset:         0
        .size:           8
        .value_kind:     global_buffer
      - .address_space:  global
        .offset:         8
        .size:           8
        .value_kind:     global_buffer
      - .address_space:  global
        .offset:         16
        .size:           8
        .value_kind:     global_buffer
      - .address_space:  global
        .offset:         24
        .size:           8
        .value_kind:     global_buffer
      - .address_space:  global
        .offset:         32
        .size:           8
        .value_kind:     global_buffer
      - .address_space:  global
        .offset:         40
        .size:           8
        .value_kind:     global_buffer
      - .address_space:  global
        .offset:         48
        .size:           8
        .value_kind:     global_buffer
      - .address_space:  global
        .offset:         56
        .size:           8
        .value_kind:     global_buffer
      - .offset:         64
        .size:           4
        .value_kind:     by_value
      - .offset:         68
        .size:           4
        .value_kind:     by_value
      - .offset:         72
        .size:           4
        .value_kind:     by_value
      - .offset:         76
        .size:           4
        .value_kind:     by_value
      - .offset:         80
        .size:           4
        .value_kind:     by_value
      - .offset:         84
        .size:           4
        .value_kind:     by_value
      - .offset:         88
        .size:           4
        .value_kind:     by_value
      - .offset:         92
        .size:           12
        .value_kind:     by_value
      - .offset:         104
        .size:           4
        .value_kind:     by_value
      - .offset:         108
        .size:           4
        .value_kind:     by_value
      - .offset:         112
        .size:           4
        .value_kind:     by_value
      - .offset:         116
        .size:           4
        .value_kind:     by_value
      - .offset:         120
        .size:           4
        .value_kind:     by_value
      - .offset:         124
        .size:           4
        .value_kind:     by_value
      - .offset:         128
        .size:           4
        .value_kind:     by_value
      - .offset:         132
        .size:           4
        .value_kind:     by_value
      - .offset:         136
        .size:           4
        .value_kind:     by_value
      - .offset:         140
        .size:           4
        .value_kind:     by_value
      - .offset:         144
        .size:           4
        .value_kind:     by_value
      - .offset:         152
        .size:           8
        .value_kind:     by_value
      - .offset:         160
        .size:           4
        .value_kind:     by_value
      - .offset:         164
        .size:           4
        .value_kind:     by_value
      - .offset:         168
        .size:           8
        .value_kind:     by_value
      - .offset:         176
        .size:           4
        .value_kind:     by_value
      - .offset:         180
        .size:           4
        .value_kind:     by_value
      - .offset:         184
        .size:           4
        .value_kind:     by_value
      - .offset:         188
        .size:           4
        .value_kind:     by_value
      - .offset:         192
        .size:           4
        .value_kind:     by_value
      - .offset:         200
        .size:           8
        .value_kind:     by_value
      - .offset:         208
        .size:           4
        .value_kind:     hidden_block_count_x
      - .offset:         212
        .size:           4
        .value_kind:     hidden_block_count_y
      - .offset:         216
        .size:           4
        .value_kind:     hidden_block_count_z
      - .offset:         220
        .size:           2
        .value_kind:     hidden_group_size_x
      - .offset:         222
        .size:           2
        .value_kind:     hidden_group_size_y
      - .offset:         224
        .size:           2
        .value_kind:     hidden_group_size_z
      - .offset:         226
        .size:           2
        .value_kind:     hidden_remainder_x
      - .offset:         228
        .size:           2
        .value_kind:     hidden_remainder_y
      - .offset:         230
        .size:           2
        .value_kind:     hidden_remainder_z
      - .offset:         248
        .size:           8
        .value_kind:     hidden_global_offset_x
      - .offset:         256
        .size:           8
        .value_kind:     hidden_global_offset_y
      - .offset:         264
        .size:           8
        .value_kind:     hidden_global_offset_z
      - .offset:         272
        .size:           2
        .value_kind:     hidden_grid_dims
      - .offset:         288
        .size:           8
        .value_kind:     hidden_hostcall_buffer
    .group_segment_fixed_size: 0
    .kernarg_segment_align: 8
    .kernarg_segment_size: 464
    .language:       OpenCL C
    .language_version:
      - 2
      - 0
    .max_flat_workgroup_size: 256
    .name:           _ZL18flash_attn_ext_f16ILi80ELi80ELi16ELi1ELb1ELb0EEvPKcS1_S1_S1_S1_PKiPfP15HIP_vector_typeIfLj2EEffffjfiS5_IjLj3EEiiiiiiiiiiiliiliiiiil
    .private_segment_fixed_size: 16
    .sgpr_count:     40
    .sgpr_spill_count: 0
    .symbol:         _ZL18flash_attn_ext_f16ILi80ELi80ELi16ELi1ELb1ELb0EEvPKcS1_S1_S1_S1_PKiPfP15HIP_vector_typeIfLj2EEffffjfiS5_IjLj3EEiiiiiiiiiiiliiliiiiil.kd
    .uniform_work_group_size: 1
    .uses_dynamic_stack: false
    .vgpr_count:     50
    .vgpr_spill_count: 0
    .wavefront_size: 64
  - .agpr_count:     0
    .args:
      - .address_space:  global
        .offset:         0
        .size:           8
        .value_kind:     global_buffer
      - .address_space:  global
        .offset:         8
        .size:           8
        .value_kind:     global_buffer
      - .offset:         16
        .size:           4
        .value_kind:     by_value
      - .offset:         20
        .size:           4
        .value_kind:     by_value
      - .offset:         24
        .size:           4
        .value_kind:     by_value
      - .offset:         28
        .size:           4
        .value_kind:     by_value
      - .offset:         32
        .size:           4
        .value_kind:     by_value
      - .offset:         36
        .size:           4
        .value_kind:     by_value
      - .offset:         40
        .size:           12
        .value_kind:     by_value
      - .offset:         52
        .size:           12
        .value_kind:     by_value
      - .offset:         64
        .size:           12
        .value_kind:     by_value
    .group_segment_fixed_size: 0
    .kernarg_segment_align: 8
    .kernarg_segment_size: 76
    .language:       OpenCL C
    .language_version:
      - 2
      - 0
    .max_flat_workgroup_size: 80
    .name:           _ZL33flash_attn_stream_k_fixup_uniformILi80ELi16ELi1EEvPfPK15HIP_vector_typeIfLj2EEiiiiiiS1_IjLj3EES5_S5_
    .private_segment_fixed_size: 0
    .sgpr_count:     26
    .sgpr_spill_count: 0
    .symbol:         _ZL33flash_attn_stream_k_fixup_uniformILi80ELi16ELi1EEvPfPK15HIP_vector_typeIfLj2EEiiiiiiS1_IjLj3EES5_S5_.kd
    .uniform_work_group_size: 1
    .uses_dynamic_stack: false
    .vgpr_count:     17
    .vgpr_spill_count: 0
    .wavefront_size: 64
  - .agpr_count:     0
    .args:
      - .address_space:  global
        .offset:         0
        .size:           8
        .value_kind:     global_buffer
      - .address_space:  global
        .offset:         8
        .size:           8
        .value_kind:     global_buffer
      - .offset:         16
        .size:           4
        .value_kind:     by_value
      - .offset:         20
        .size:           4
        .value_kind:     by_value
      - .offset:         24
        .size:           4
        .value_kind:     by_value
      - .offset:         28
        .size:           4
        .value_kind:     by_value
      - .offset:         32
        .size:           12
        .value_kind:     by_value
      - .offset:         44
        .size:           12
        .value_kind:     by_value
      - .offset:         56
        .size:           12
        .value_kind:     by_value
      - .offset:         68
        .size:           12
        .value_kind:     by_value
      - .offset:         80
        .size:           4
        .value_kind:     hidden_block_count_x
      - .offset:         84
        .size:           4
        .value_kind:     hidden_block_count_y
      - .offset:         88
        .size:           4
        .value_kind:     hidden_block_count_z
      - .offset:         92
        .size:           2
        .value_kind:     hidden_group_size_x
      - .offset:         94
        .size:           2
        .value_kind:     hidden_group_size_y
      - .offset:         96
        .size:           2
        .value_kind:     hidden_group_size_z
      - .offset:         98
        .size:           2
        .value_kind:     hidden_remainder_x
      - .offset:         100
        .size:           2
        .value_kind:     hidden_remainder_y
      - .offset:         102
        .size:           2
        .value_kind:     hidden_remainder_z
      - .offset:         120
        .size:           8
        .value_kind:     hidden_global_offset_x
      - .offset:         128
        .size:           8
        .value_kind:     hidden_global_offset_y
      - .offset:         136
        .size:           8
        .value_kind:     hidden_global_offset_z
      - .offset:         144
        .size:           2
        .value_kind:     hidden_grid_dims
    .group_segment_fixed_size: 0
    .kernarg_segment_align: 8
    .kernarg_segment_size: 336
    .language:       OpenCL C
    .language_version:
      - 2
      - 0
    .max_flat_workgroup_size: 80
    .name:           _ZL33flash_attn_stream_k_fixup_generalILi80ELi16ELi1EEvPfPK15HIP_vector_typeIfLj2EEiiiiS1_IjLj3EES5_S5_S5_
    .private_segment_fixed_size: 0
    .sgpr_count:     42
    .sgpr_spill_count: 0
    .symbol:         _ZL33flash_attn_stream_k_fixup_generalILi80ELi16ELi1EEvPfPK15HIP_vector_typeIfLj2EEiiiiS1_IjLj3EES5_S5_S5_.kd
    .uniform_work_group_size: 1
    .uses_dynamic_stack: false
    .vgpr_count:     18
    .vgpr_spill_count: 0
    .wavefront_size: 64
  - .agpr_count:     0
    .args:
      - .address_space:  global
        .offset:         0
        .size:           8
        .value_kind:     global_buffer
      - .address_space:  global
        .offset:         8
        .size:           8
        .value_kind:     global_buffer
      - .address_space:  global
        .offset:         16
        .size:           8
        .value_kind:     global_buffer
      - .offset:         24
        .size:           4
        .value_kind:     by_value
      - .offset:         32
        .size:           4
        .value_kind:     hidden_block_count_x
      - .offset:         36
        .size:           4
        .value_kind:     hidden_block_count_y
      - .offset:         40
        .size:           4
        .value_kind:     hidden_block_count_z
      - .offset:         44
        .size:           2
        .value_kind:     hidden_group_size_x
      - .offset:         46
        .size:           2
        .value_kind:     hidden_group_size_y
      - .offset:         48
        .size:           2
        .value_kind:     hidden_group_size_z
      - .offset:         50
        .size:           2
        .value_kind:     hidden_remainder_x
      - .offset:         52
        .size:           2
        .value_kind:     hidden_remainder_y
      - .offset:         54
        .size:           2
        .value_kind:     hidden_remainder_z
      - .offset:         72
        .size:           8
        .value_kind:     hidden_global_offset_x
      - .offset:         80
        .size:           8
        .value_kind:     hidden_global_offset_y
      - .offset:         88
        .size:           8
        .value_kind:     hidden_global_offset_z
      - .offset:         96
        .size:           2
        .value_kind:     hidden_grid_dims
      - .offset:         152
        .size:           4
        .value_kind:     hidden_dynamic_lds_size
    .group_segment_fixed_size: 0
    .kernarg_segment_align: 8
    .kernarg_segment_size: 288
    .language:       OpenCL C
    .language_version:
      - 2
      - 0
    .max_flat_workgroup_size: 80
    .name:           _ZL26flash_attn_combine_resultsILi80EEvPKfPK15HIP_vector_typeIfLj2EEPfi
    .private_segment_fixed_size: 0
    .sgpr_count:     36
    .sgpr_spill_count: 0
    .symbol:         _ZL26flash_attn_combine_resultsILi80EEvPKfPK15HIP_vector_typeIfLj2EEPfi.kd
    .uniform_work_group_size: 1
    .uses_dynamic_stack: false
    .vgpr_count:     57
    .vgpr_spill_count: 0
    .wavefront_size: 64
  - .agpr_count:     0
    .args:
      - .address_space:  global
        .offset:         0
        .size:           8
        .value_kind:     global_buffer
      - .address_space:  global
        .offset:         8
        .size:           8
        .value_kind:     global_buffer
      - .address_space:  global
        .offset:         16
        .size:           8
        .value_kind:     global_buffer
      - .address_space:  global
        .offset:         24
        .size:           8
        .value_kind:     global_buffer
      - .address_space:  global
        .offset:         32
        .size:           8
        .value_kind:     global_buffer
      - .address_space:  global
        .offset:         40
        .size:           8
        .value_kind:     global_buffer
      - .address_space:  global
        .offset:         48
        .size:           8
        .value_kind:     global_buffer
      - .address_space:  global
        .offset:         56
        .size:           8
        .value_kind:     global_buffer
      - .offset:         64
        .size:           4
        .value_kind:     by_value
      - .offset:         68
        .size:           4
        .value_kind:     by_value
      - .offset:         72
        .size:           4
        .value_kind:     by_value
      - .offset:         76
        .size:           4
        .value_kind:     by_value
      - .offset:         80
        .size:           4
        .value_kind:     by_value
      - .offset:         84
        .size:           4
        .value_kind:     by_value
      - .offset:         88
        .size:           4
        .value_kind:     by_value
      - .offset:         92
        .size:           12
        .value_kind:     by_value
      - .offset:         104
        .size:           4
        .value_kind:     by_value
      - .offset:         108
        .size:           4
        .value_kind:     by_value
      - .offset:         112
        .size:           4
        .value_kind:     by_value
      - .offset:         116
        .size:           4
        .value_kind:     by_value
      - .offset:         120
        .size:           4
        .value_kind:     by_value
      - .offset:         124
        .size:           4
        .value_kind:     by_value
      - .offset:         128
        .size:           4
        .value_kind:     by_value
      - .offset:         132
        .size:           4
        .value_kind:     by_value
      - .offset:         136
        .size:           4
        .value_kind:     by_value
      - .offset:         140
        .size:           4
        .value_kind:     by_value
      - .offset:         144
        .size:           4
        .value_kind:     by_value
      - .offset:         152
        .size:           8
        .value_kind:     by_value
      - .offset:         160
        .size:           4
        .value_kind:     by_value
      - .offset:         164
        .size:           4
        .value_kind:     by_value
      - .offset:         168
        .size:           8
        .value_kind:     by_value
      - .offset:         176
        .size:           4
        .value_kind:     by_value
      - .offset:         180
        .size:           4
        .value_kind:     by_value
      - .offset:         184
        .size:           4
        .value_kind:     by_value
      - .offset:         188
        .size:           4
        .value_kind:     by_value
      - .offset:         192
        .size:           4
        .value_kind:     by_value
      - .offset:         200
        .size:           8
        .value_kind:     by_value
      - .offset:         208
        .size:           4
        .value_kind:     hidden_block_count_x
      - .offset:         212
        .size:           4
        .value_kind:     hidden_block_count_y
      - .offset:         216
        .size:           4
        .value_kind:     hidden_block_count_z
      - .offset:         220
        .size:           2
        .value_kind:     hidden_group_size_x
      - .offset:         222
        .size:           2
        .value_kind:     hidden_group_size_y
      - .offset:         224
        .size:           2
        .value_kind:     hidden_group_size_z
      - .offset:         226
        .size:           2
        .value_kind:     hidden_remainder_x
      - .offset:         228
        .size:           2
        .value_kind:     hidden_remainder_y
      - .offset:         230
        .size:           2
        .value_kind:     hidden_remainder_z
      - .offset:         248
        .size:           8
        .value_kind:     hidden_global_offset_x
      - .offset:         256
        .size:           8
        .value_kind:     hidden_global_offset_y
      - .offset:         264
        .size:           8
        .value_kind:     hidden_global_offset_z
      - .offset:         272
        .size:           2
        .value_kind:     hidden_grid_dims
      - .offset:         328
        .size:           4
        .value_kind:     hidden_dynamic_lds_size
    .group_segment_fixed_size: 0
    .kernarg_segment_align: 8
    .kernarg_segment_size: 464
    .language:       OpenCL C
    .language_version:
      - 2
      - 0
    .max_flat_workgroup_size: 256
    .name:           _ZL18flash_attn_ext_f16ILi96ELi96ELi16ELi1ELb0ELb0EEvPKcS1_S1_S1_S1_PKiPfP15HIP_vector_typeIfLj2EEffffjfiS5_IjLj3EEiiiiiiiiiiiliiliiiiil
    .private_segment_fixed_size: 32
    .sgpr_count:     106
    .sgpr_spill_count: 57
    .symbol:         _ZL18flash_attn_ext_f16ILi96ELi96ELi16ELi1ELb0ELb0EEvPKcS1_S1_S1_S1_PKiPfP15HIP_vector_typeIfLj2EEffffjfiS5_IjLj3EEiiiiiiiiiiiliiliiiiil.kd
    .uniform_work_group_size: 1
    .uses_dynamic_stack: false
    .vgpr_count:     187
    .vgpr_spill_count: 0
    .wavefront_size: 64
  - .agpr_count:     0
    .args:
      - .address_space:  global
        .offset:         0
        .size:           8
        .value_kind:     global_buffer
      - .address_space:  global
        .offset:         8
        .size:           8
        .value_kind:     global_buffer
      - .address_space:  global
        .offset:         16
        .size:           8
        .value_kind:     global_buffer
      - .address_space:  global
        .offset:         24
        .size:           8
        .value_kind:     global_buffer
      - .address_space:  global
        .offset:         32
        .size:           8
        .value_kind:     global_buffer
      - .address_space:  global
        .offset:         40
        .size:           8
        .value_kind:     global_buffer
      - .address_space:  global
        .offset:         48
        .size:           8
        .value_kind:     global_buffer
      - .address_space:  global
        .offset:         56
        .size:           8
        .value_kind:     global_buffer
      - .offset:         64
        .size:           4
        .value_kind:     by_value
      - .offset:         68
        .size:           4
        .value_kind:     by_value
      - .offset:         72
        .size:           4
        .value_kind:     by_value
      - .offset:         76
        .size:           4
        .value_kind:     by_value
      - .offset:         80
        .size:           4
        .value_kind:     by_value
      - .offset:         84
        .size:           4
        .value_kind:     by_value
      - .offset:         88
        .size:           4
        .value_kind:     by_value
      - .offset:         92
        .size:           12
        .value_kind:     by_value
      - .offset:         104
        .size:           4
        .value_kind:     by_value
      - .offset:         108
        .size:           4
        .value_kind:     by_value
      - .offset:         112
        .size:           4
        .value_kind:     by_value
      - .offset:         116
        .size:           4
        .value_kind:     by_value
      - .offset:         120
        .size:           4
        .value_kind:     by_value
      - .offset:         124
        .size:           4
        .value_kind:     by_value
      - .offset:         128
        .size:           4
        .value_kind:     by_value
      - .offset:         132
        .size:           4
        .value_kind:     by_value
      - .offset:         136
        .size:           4
        .value_kind:     by_value
      - .offset:         140
        .size:           4
        .value_kind:     by_value
      - .offset:         144
        .size:           4
        .value_kind:     by_value
      - .offset:         152
        .size:           8
        .value_kind:     by_value
      - .offset:         160
        .size:           4
        .value_kind:     by_value
      - .offset:         164
        .size:           4
        .value_kind:     by_value
      - .offset:         168
        .size:           8
        .value_kind:     by_value
      - .offset:         176
        .size:           4
        .value_kind:     by_value
      - .offset:         180
        .size:           4
        .value_kind:     by_value
      - .offset:         184
        .size:           4
        .value_kind:     by_value
      - .offset:         188
        .size:           4
        .value_kind:     by_value
      - .offset:         192
        .size:           4
        .value_kind:     by_value
      - .offset:         200
        .size:           8
        .value_kind:     by_value
      - .offset:         208
        .size:           4
        .value_kind:     hidden_block_count_x
      - .offset:         212
        .size:           4
        .value_kind:     hidden_block_count_y
      - .offset:         216
        .size:           4
        .value_kind:     hidden_block_count_z
      - .offset:         220
        .size:           2
        .value_kind:     hidden_group_size_x
      - .offset:         222
        .size:           2
        .value_kind:     hidden_group_size_y
      - .offset:         224
        .size:           2
        .value_kind:     hidden_group_size_z
      - .offset:         226
        .size:           2
        .value_kind:     hidden_remainder_x
      - .offset:         228
        .size:           2
        .value_kind:     hidden_remainder_y
      - .offset:         230
        .size:           2
        .value_kind:     hidden_remainder_z
      - .offset:         248
        .size:           8
        .value_kind:     hidden_global_offset_x
      - .offset:         256
        .size:           8
        .value_kind:     hidden_global_offset_y
      - .offset:         264
        .size:           8
        .value_kind:     hidden_global_offset_z
      - .offset:         272
        .size:           2
        .value_kind:     hidden_grid_dims
      - .offset:         288
        .size:           8
        .value_kind:     hidden_hostcall_buffer
    .group_segment_fixed_size: 0
    .kernarg_segment_align: 8
    .kernarg_segment_size: 464
    .language:       OpenCL C
    .language_version:
      - 2
      - 0
    .max_flat_workgroup_size: 256
    .name:           _ZL18flash_attn_ext_f16ILi96ELi96ELi16ELi1ELb1ELb0EEvPKcS1_S1_S1_S1_PKiPfP15HIP_vector_typeIfLj2EEffffjfiS5_IjLj3EEiiiiiiiiiiiliiliiiiil
    .private_segment_fixed_size: 16
    .sgpr_count:     40
    .sgpr_spill_count: 0
    .symbol:         _ZL18flash_attn_ext_f16ILi96ELi96ELi16ELi1ELb1ELb0EEvPKcS1_S1_S1_S1_PKiPfP15HIP_vector_typeIfLj2EEffffjfiS5_IjLj3EEiiiiiiiiiiiliiliiiiil.kd
    .uniform_work_group_size: 1
    .uses_dynamic_stack: false
    .vgpr_count:     50
    .vgpr_spill_count: 0
    .wavefront_size: 64
  - .agpr_count:     0
    .args:
      - .address_space:  global
        .offset:         0
        .size:           8
        .value_kind:     global_buffer
      - .address_space:  global
        .offset:         8
        .size:           8
        .value_kind:     global_buffer
      - .offset:         16
        .size:           4
        .value_kind:     by_value
      - .offset:         20
        .size:           4
        .value_kind:     by_value
      - .offset:         24
        .size:           4
        .value_kind:     by_value
      - .offset:         28
        .size:           4
        .value_kind:     by_value
      - .offset:         32
        .size:           4
        .value_kind:     by_value
      - .offset:         36
        .size:           4
        .value_kind:     by_value
      - .offset:         40
        .size:           12
        .value_kind:     by_value
      - .offset:         52
        .size:           12
        .value_kind:     by_value
      - .offset:         64
        .size:           12
        .value_kind:     by_value
    .group_segment_fixed_size: 0
    .kernarg_segment_align: 8
    .kernarg_segment_size: 76
    .language:       OpenCL C
    .language_version:
      - 2
      - 0
    .max_flat_workgroup_size: 96
    .name:           _ZL33flash_attn_stream_k_fixup_uniformILi96ELi16ELi1EEvPfPK15HIP_vector_typeIfLj2EEiiiiiiS1_IjLj3EES5_S5_
    .private_segment_fixed_size: 0
    .sgpr_count:     26
    .sgpr_spill_count: 0
    .symbol:         _ZL33flash_attn_stream_k_fixup_uniformILi96ELi16ELi1EEvPfPK15HIP_vector_typeIfLj2EEiiiiiiS1_IjLj3EES5_S5_.kd
    .uniform_work_group_size: 1
    .uses_dynamic_stack: false
    .vgpr_count:     17
    .vgpr_spill_count: 0
    .wavefront_size: 64
  - .agpr_count:     0
    .args:
      - .address_space:  global
        .offset:         0
        .size:           8
        .value_kind:     global_buffer
      - .address_space:  global
        .offset:         8
        .size:           8
        .value_kind:     global_buffer
      - .offset:         16
        .size:           4
        .value_kind:     by_value
      - .offset:         20
        .size:           4
        .value_kind:     by_value
      - .offset:         24
        .size:           4
        .value_kind:     by_value
      - .offset:         28
        .size:           4
        .value_kind:     by_value
      - .offset:         32
        .size:           12
        .value_kind:     by_value
      - .offset:         44
        .size:           12
        .value_kind:     by_value
      - .offset:         56
        .size:           12
        .value_kind:     by_value
      - .offset:         68
        .size:           12
        .value_kind:     by_value
      - .offset:         80
        .size:           4
        .value_kind:     hidden_block_count_x
      - .offset:         84
        .size:           4
        .value_kind:     hidden_block_count_y
      - .offset:         88
        .size:           4
        .value_kind:     hidden_block_count_z
      - .offset:         92
        .size:           2
        .value_kind:     hidden_group_size_x
      - .offset:         94
        .size:           2
        .value_kind:     hidden_group_size_y
      - .offset:         96
        .size:           2
        .value_kind:     hidden_group_size_z
      - .offset:         98
        .size:           2
        .value_kind:     hidden_remainder_x
      - .offset:         100
        .size:           2
        .value_kind:     hidden_remainder_y
      - .offset:         102
        .size:           2
        .value_kind:     hidden_remainder_z
      - .offset:         120
        .size:           8
        .value_kind:     hidden_global_offset_x
      - .offset:         128
        .size:           8
        .value_kind:     hidden_global_offset_y
      - .offset:         136
        .size:           8
        .value_kind:     hidden_global_offset_z
      - .offset:         144
        .size:           2
        .value_kind:     hidden_grid_dims
    .group_segment_fixed_size: 0
    .kernarg_segment_align: 8
    .kernarg_segment_size: 336
    .language:       OpenCL C
    .language_version:
      - 2
      - 0
    .max_flat_workgroup_size: 96
    .name:           _ZL33flash_attn_stream_k_fixup_generalILi96ELi16ELi1EEvPfPK15HIP_vector_typeIfLj2EEiiiiS1_IjLj3EES5_S5_S5_
    .private_segment_fixed_size: 0
    .sgpr_count:     42
    .sgpr_spill_count: 0
    .symbol:         _ZL33flash_attn_stream_k_fixup_generalILi96ELi16ELi1EEvPfPK15HIP_vector_typeIfLj2EEiiiiS1_IjLj3EES5_S5_S5_.kd
    .uniform_work_group_size: 1
    .uses_dynamic_stack: false
    .vgpr_count:     18
    .vgpr_spill_count: 0
    .wavefront_size: 64
  - .agpr_count:     0
    .args:
      - .address_space:  global
        .offset:         0
        .size:           8
        .value_kind:     global_buffer
      - .address_space:  global
        .offset:         8
        .size:           8
        .value_kind:     global_buffer
      - .address_space:  global
        .offset:         16
        .size:           8
        .value_kind:     global_buffer
      - .offset:         24
        .size:           4
        .value_kind:     by_value
      - .offset:         32
        .size:           4
        .value_kind:     hidden_block_count_x
      - .offset:         36
        .size:           4
        .value_kind:     hidden_block_count_y
      - .offset:         40
        .size:           4
        .value_kind:     hidden_block_count_z
      - .offset:         44
        .size:           2
        .value_kind:     hidden_group_size_x
      - .offset:         46
        .size:           2
        .value_kind:     hidden_group_size_y
      - .offset:         48
        .size:           2
        .value_kind:     hidden_group_size_z
      - .offset:         50
        .size:           2
        .value_kind:     hidden_remainder_x
      - .offset:         52
        .size:           2
        .value_kind:     hidden_remainder_y
      - .offset:         54
        .size:           2
        .value_kind:     hidden_remainder_z
      - .offset:         72
        .size:           8
        .value_kind:     hidden_global_offset_x
      - .offset:         80
        .size:           8
        .value_kind:     hidden_global_offset_y
      - .offset:         88
        .size:           8
        .value_kind:     hidden_global_offset_z
      - .offset:         96
        .size:           2
        .value_kind:     hidden_grid_dims
      - .offset:         152
        .size:           4
        .value_kind:     hidden_dynamic_lds_size
    .group_segment_fixed_size: 0
    .kernarg_segment_align: 8
    .kernarg_segment_size: 288
    .language:       OpenCL C
    .language_version:
      - 2
      - 0
    .max_flat_workgroup_size: 96
    .name:           _ZL26flash_attn_combine_resultsILi96EEvPKfPK15HIP_vector_typeIfLj2EEPfi
    .private_segment_fixed_size: 0
    .sgpr_count:     38
    .sgpr_spill_count: 0
    .symbol:         _ZL26flash_attn_combine_resultsILi96EEvPKfPK15HIP_vector_typeIfLj2EEPfi.kd
    .uniform_work_group_size: 1
    .uses_dynamic_stack: false
    .vgpr_count:     57
    .vgpr_spill_count: 0
    .wavefront_size: 64
  - .agpr_count:     0
    .args:
      - .address_space:  global
        .offset:         0
        .size:           8
        .value_kind:     global_buffer
      - .address_space:  global
        .offset:         8
        .size:           8
        .value_kind:     global_buffer
      - .address_space:  global
        .offset:         16
        .size:           8
        .value_kind:     global_buffer
      - .address_space:  global
        .offset:         24
        .size:           8
        .value_kind:     global_buffer
      - .address_space:  global
        .offset:         32
        .size:           8
        .value_kind:     global_buffer
      - .address_space:  global
        .offset:         40
        .size:           8
        .value_kind:     global_buffer
      - .address_space:  global
        .offset:         48
        .size:           8
        .value_kind:     global_buffer
      - .address_space:  global
        .offset:         56
        .size:           8
        .value_kind:     global_buffer
      - .offset:         64
        .size:           4
        .value_kind:     by_value
      - .offset:         68
        .size:           4
        .value_kind:     by_value
      - .offset:         72
        .size:           4
        .value_kind:     by_value
      - .offset:         76
        .size:           4
        .value_kind:     by_value
      - .offset:         80
        .size:           4
        .value_kind:     by_value
      - .offset:         84
        .size:           4
        .value_kind:     by_value
      - .offset:         88
        .size:           4
        .value_kind:     by_value
      - .offset:         92
        .size:           12
        .value_kind:     by_value
      - .offset:         104
        .size:           4
        .value_kind:     by_value
      - .offset:         108
        .size:           4
        .value_kind:     by_value
      - .offset:         112
        .size:           4
        .value_kind:     by_value
      - .offset:         116
        .size:           4
        .value_kind:     by_value
      - .offset:         120
        .size:           4
        .value_kind:     by_value
      - .offset:         124
        .size:           4
        .value_kind:     by_value
      - .offset:         128
        .size:           4
        .value_kind:     by_value
      - .offset:         132
        .size:           4
        .value_kind:     by_value
      - .offset:         136
        .size:           4
        .value_kind:     by_value
      - .offset:         140
        .size:           4
        .value_kind:     by_value
      - .offset:         144
        .size:           4
        .value_kind:     by_value
      - .offset:         152
        .size:           8
        .value_kind:     by_value
      - .offset:         160
        .size:           4
        .value_kind:     by_value
      - .offset:         164
        .size:           4
        .value_kind:     by_value
      - .offset:         168
        .size:           8
        .value_kind:     by_value
      - .offset:         176
        .size:           4
        .value_kind:     by_value
      - .offset:         180
        .size:           4
        .value_kind:     by_value
      - .offset:         184
        .size:           4
        .value_kind:     by_value
      - .offset:         188
        .size:           4
        .value_kind:     by_value
      - .offset:         192
        .size:           4
        .value_kind:     by_value
      - .offset:         200
        .size:           8
        .value_kind:     by_value
      - .offset:         208
        .size:           4
        .value_kind:     hidden_block_count_x
      - .offset:         212
        .size:           4
        .value_kind:     hidden_block_count_y
      - .offset:         216
        .size:           4
        .value_kind:     hidden_block_count_z
      - .offset:         220
        .size:           2
        .value_kind:     hidden_group_size_x
      - .offset:         222
        .size:           2
        .value_kind:     hidden_group_size_y
      - .offset:         224
        .size:           2
        .value_kind:     hidden_group_size_z
      - .offset:         226
        .size:           2
        .value_kind:     hidden_remainder_x
      - .offset:         228
        .size:           2
        .value_kind:     hidden_remainder_y
      - .offset:         230
        .size:           2
        .value_kind:     hidden_remainder_z
      - .offset:         248
        .size:           8
        .value_kind:     hidden_global_offset_x
      - .offset:         256
        .size:           8
        .value_kind:     hidden_global_offset_y
      - .offset:         264
        .size:           8
        .value_kind:     hidden_global_offset_z
      - .offset:         272
        .size:           2
        .value_kind:     hidden_grid_dims
      - .offset:         328
        .size:           4
        .value_kind:     hidden_dynamic_lds_size
    .group_segment_fixed_size: 0
    .kernarg_segment_align: 8
    .kernarg_segment_size: 464
    .language:       OpenCL C
    .language_version:
      - 2
      - 0
    .max_flat_workgroup_size: 256
    .name:           _ZL18flash_attn_ext_f16ILi112ELi112ELi16ELi1ELb0ELb0EEvPKcS1_S1_S1_S1_PKiPfP15HIP_vector_typeIfLj2EEffffjfiS5_IjLj3EEiiiiiiiiiiiliiliiiiil
    .private_segment_fixed_size: 32
    .sgpr_count:     106
    .sgpr_spill_count: 69
    .symbol:         _ZL18flash_attn_ext_f16ILi112ELi112ELi16ELi1ELb0ELb0EEvPKcS1_S1_S1_S1_PKiPfP15HIP_vector_typeIfLj2EEffffjfiS5_IjLj3EEiiiiiiiiiiiliiliiiiil.kd
    .uniform_work_group_size: 1
    .uses_dynamic_stack: false
    .vgpr_count:     223
    .vgpr_spill_count: 0
    .wavefront_size: 64
  - .agpr_count:     0
    .args:
      - .address_space:  global
        .offset:         0
        .size:           8
        .value_kind:     global_buffer
      - .address_space:  global
        .offset:         8
        .size:           8
        .value_kind:     global_buffer
      - .address_space:  global
        .offset:         16
        .size:           8
        .value_kind:     global_buffer
      - .address_space:  global
        .offset:         24
        .size:           8
        .value_kind:     global_buffer
      - .address_space:  global
        .offset:         32
        .size:           8
        .value_kind:     global_buffer
      - .address_space:  global
        .offset:         40
        .size:           8
        .value_kind:     global_buffer
      - .address_space:  global
        .offset:         48
        .size:           8
        .value_kind:     global_buffer
      - .address_space:  global
        .offset:         56
        .size:           8
        .value_kind:     global_buffer
      - .offset:         64
        .size:           4
        .value_kind:     by_value
      - .offset:         68
        .size:           4
        .value_kind:     by_value
      - .offset:         72
        .size:           4
        .value_kind:     by_value
      - .offset:         76
        .size:           4
        .value_kind:     by_value
      - .offset:         80
        .size:           4
        .value_kind:     by_value
      - .offset:         84
        .size:           4
        .value_kind:     by_value
      - .offset:         88
        .size:           4
        .value_kind:     by_value
      - .offset:         92
        .size:           12
        .value_kind:     by_value
      - .offset:         104
        .size:           4
        .value_kind:     by_value
      - .offset:         108
        .size:           4
        .value_kind:     by_value
      - .offset:         112
        .size:           4
        .value_kind:     by_value
      - .offset:         116
        .size:           4
        .value_kind:     by_value
      - .offset:         120
        .size:           4
        .value_kind:     by_value
      - .offset:         124
        .size:           4
        .value_kind:     by_value
      - .offset:         128
        .size:           4
        .value_kind:     by_value
      - .offset:         132
        .size:           4
        .value_kind:     by_value
      - .offset:         136
        .size:           4
        .value_kind:     by_value
      - .offset:         140
        .size:           4
        .value_kind:     by_value
      - .offset:         144
        .size:           4
        .value_kind:     by_value
      - .offset:         152
        .size:           8
        .value_kind:     by_value
      - .offset:         160
        .size:           4
        .value_kind:     by_value
      - .offset:         164
        .size:           4
        .value_kind:     by_value
      - .offset:         168
        .size:           8
        .value_kind:     by_value
      - .offset:         176
        .size:           4
        .value_kind:     by_value
      - .offset:         180
        .size:           4
        .value_kind:     by_value
      - .offset:         184
        .size:           4
        .value_kind:     by_value
      - .offset:         188
        .size:           4
        .value_kind:     by_value
      - .offset:         192
        .size:           4
        .value_kind:     by_value
      - .offset:         200
        .size:           8
        .value_kind:     by_value
      - .offset:         208
        .size:           4
        .value_kind:     hidden_block_count_x
      - .offset:         212
        .size:           4
        .value_kind:     hidden_block_count_y
      - .offset:         216
        .size:           4
        .value_kind:     hidden_block_count_z
      - .offset:         220
        .size:           2
        .value_kind:     hidden_group_size_x
      - .offset:         222
        .size:           2
        .value_kind:     hidden_group_size_y
      - .offset:         224
        .size:           2
        .value_kind:     hidden_group_size_z
      - .offset:         226
        .size:           2
        .value_kind:     hidden_remainder_x
      - .offset:         228
        .size:           2
        .value_kind:     hidden_remainder_y
      - .offset:         230
        .size:           2
        .value_kind:     hidden_remainder_z
      - .offset:         248
        .size:           8
        .value_kind:     hidden_global_offset_x
      - .offset:         256
        .size:           8
        .value_kind:     hidden_global_offset_y
      - .offset:         264
        .size:           8
        .value_kind:     hidden_global_offset_z
      - .offset:         272
        .size:           2
        .value_kind:     hidden_grid_dims
      - .offset:         288
        .size:           8
        .value_kind:     hidden_hostcall_buffer
    .group_segment_fixed_size: 0
    .kernarg_segment_align: 8
    .kernarg_segment_size: 464
    .language:       OpenCL C
    .language_version:
      - 2
      - 0
    .max_flat_workgroup_size: 256
    .name:           _ZL18flash_attn_ext_f16ILi112ELi112ELi16ELi1ELb1ELb0EEvPKcS1_S1_S1_S1_PKiPfP15HIP_vector_typeIfLj2EEffffjfiS5_IjLj3EEiiiiiiiiiiiliiliiiiil
    .private_segment_fixed_size: 16
    .sgpr_count:     40
    .sgpr_spill_count: 0
    .symbol:         _ZL18flash_attn_ext_f16ILi112ELi112ELi16ELi1ELb1ELb0EEvPKcS1_S1_S1_S1_PKiPfP15HIP_vector_typeIfLj2EEffffjfiS5_IjLj3EEiiiiiiiiiiiliiliiiiil.kd
    .uniform_work_group_size: 1
    .uses_dynamic_stack: false
    .vgpr_count:     50
    .vgpr_spill_count: 0
    .wavefront_size: 64
  - .agpr_count:     0
    .args:
      - .address_space:  global
        .offset:         0
        .size:           8
        .value_kind:     global_buffer
      - .address_space:  global
        .offset:         8
        .size:           8
        .value_kind:     global_buffer
      - .offset:         16
        .size:           4
        .value_kind:     by_value
      - .offset:         20
        .size:           4
        .value_kind:     by_value
      - .offset:         24
        .size:           4
        .value_kind:     by_value
      - .offset:         28
        .size:           4
        .value_kind:     by_value
      - .offset:         32
        .size:           4
        .value_kind:     by_value
      - .offset:         36
        .size:           4
        .value_kind:     by_value
      - .offset:         40
        .size:           12
        .value_kind:     by_value
      - .offset:         52
        .size:           12
        .value_kind:     by_value
      - .offset:         64
        .size:           12
        .value_kind:     by_value
    .group_segment_fixed_size: 0
    .kernarg_segment_align: 8
    .kernarg_segment_size: 76
    .language:       OpenCL C
    .language_version:
      - 2
      - 0
    .max_flat_workgroup_size: 112
    .name:           _ZL33flash_attn_stream_k_fixup_uniformILi112ELi16ELi1EEvPfPK15HIP_vector_typeIfLj2EEiiiiiiS1_IjLj3EES5_S5_
    .private_segment_fixed_size: 0
    .sgpr_count:     26
    .sgpr_spill_count: 0
    .symbol:         _ZL33flash_attn_stream_k_fixup_uniformILi112ELi16ELi1EEvPfPK15HIP_vector_typeIfLj2EEiiiiiiS1_IjLj3EES5_S5_.kd
    .uniform_work_group_size: 1
    .uses_dynamic_stack: false
    .vgpr_count:     17
    .vgpr_spill_count: 0
    .wavefront_size: 64
  - .agpr_count:     0
    .args:
      - .address_space:  global
        .offset:         0
        .size:           8
        .value_kind:     global_buffer
      - .address_space:  global
        .offset:         8
        .size:           8
        .value_kind:     global_buffer
      - .offset:         16
        .size:           4
        .value_kind:     by_value
      - .offset:         20
        .size:           4
        .value_kind:     by_value
      - .offset:         24
        .size:           4
        .value_kind:     by_value
      - .offset:         28
        .size:           4
        .value_kind:     by_value
      - .offset:         32
        .size:           12
        .value_kind:     by_value
      - .offset:         44
        .size:           12
        .value_kind:     by_value
      - .offset:         56
        .size:           12
        .value_kind:     by_value
      - .offset:         68
        .size:           12
        .value_kind:     by_value
      - .offset:         80
        .size:           4
        .value_kind:     hidden_block_count_x
      - .offset:         84
        .size:           4
        .value_kind:     hidden_block_count_y
      - .offset:         88
        .size:           4
        .value_kind:     hidden_block_count_z
      - .offset:         92
        .size:           2
        .value_kind:     hidden_group_size_x
      - .offset:         94
        .size:           2
        .value_kind:     hidden_group_size_y
      - .offset:         96
        .size:           2
        .value_kind:     hidden_group_size_z
      - .offset:         98
        .size:           2
        .value_kind:     hidden_remainder_x
      - .offset:         100
        .size:           2
        .value_kind:     hidden_remainder_y
      - .offset:         102
        .size:           2
        .value_kind:     hidden_remainder_z
      - .offset:         120
        .size:           8
        .value_kind:     hidden_global_offset_x
      - .offset:         128
        .size:           8
        .value_kind:     hidden_global_offset_y
      - .offset:         136
        .size:           8
        .value_kind:     hidden_global_offset_z
      - .offset:         144
        .size:           2
        .value_kind:     hidden_grid_dims
    .group_segment_fixed_size: 0
    .kernarg_segment_align: 8
    .kernarg_segment_size: 336
    .language:       OpenCL C
    .language_version:
      - 2
      - 0
    .max_flat_workgroup_size: 112
    .name:           _ZL33flash_attn_stream_k_fixup_generalILi112ELi16ELi1EEvPfPK15HIP_vector_typeIfLj2EEiiiiS1_IjLj3EES5_S5_S5_
    .private_segment_fixed_size: 0
    .sgpr_count:     42
    .sgpr_spill_count: 0
    .symbol:         _ZL33flash_attn_stream_k_fixup_generalILi112ELi16ELi1EEvPfPK15HIP_vector_typeIfLj2EEiiiiS1_IjLj3EES5_S5_S5_.kd
    .uniform_work_group_size: 1
    .uses_dynamic_stack: false
    .vgpr_count:     18
    .vgpr_spill_count: 0
    .wavefront_size: 64
  - .agpr_count:     0
    .args:
      - .address_space:  global
        .offset:         0
        .size:           8
        .value_kind:     global_buffer
      - .address_space:  global
        .offset:         8
        .size:           8
        .value_kind:     global_buffer
      - .address_space:  global
        .offset:         16
        .size:           8
        .value_kind:     global_buffer
      - .offset:         24
        .size:           4
        .value_kind:     by_value
      - .offset:         32
        .size:           4
        .value_kind:     hidden_block_count_x
      - .offset:         36
        .size:           4
        .value_kind:     hidden_block_count_y
      - .offset:         40
        .size:           4
        .value_kind:     hidden_block_count_z
      - .offset:         44
        .size:           2
        .value_kind:     hidden_group_size_x
      - .offset:         46
        .size:           2
        .value_kind:     hidden_group_size_y
      - .offset:         48
        .size:           2
        .value_kind:     hidden_group_size_z
      - .offset:         50
        .size:           2
        .value_kind:     hidden_remainder_x
      - .offset:         52
        .size:           2
        .value_kind:     hidden_remainder_y
      - .offset:         54
        .size:           2
        .value_kind:     hidden_remainder_z
      - .offset:         72
        .size:           8
        .value_kind:     hidden_global_offset_x
      - .offset:         80
        .size:           8
        .value_kind:     hidden_global_offset_y
      - .offset:         88
        .size:           8
        .value_kind:     hidden_global_offset_z
      - .offset:         96
        .size:           2
        .value_kind:     hidden_grid_dims
      - .offset:         152
        .size:           4
        .value_kind:     hidden_dynamic_lds_size
    .group_segment_fixed_size: 0
    .kernarg_segment_align: 8
    .kernarg_segment_size: 288
    .language:       OpenCL C
    .language_version:
      - 2
      - 0
    .max_flat_workgroup_size: 112
    .name:           _ZL26flash_attn_combine_resultsILi112EEvPKfPK15HIP_vector_typeIfLj2EEPfi
    .private_segment_fixed_size: 0
    .sgpr_count:     36
    .sgpr_spill_count: 0
    .symbol:         _ZL26flash_attn_combine_resultsILi112EEvPKfPK15HIP_vector_typeIfLj2EEPfi.kd
    .uniform_work_group_size: 1
    .uses_dynamic_stack: false
    .vgpr_count:     57
    .vgpr_spill_count: 0
    .wavefront_size: 64
  - .agpr_count:     0
    .args:
      - .address_space:  global
        .offset:         0
        .size:           8
        .value_kind:     global_buffer
      - .address_space:  global
        .offset:         8
        .size:           8
        .value_kind:     global_buffer
      - .address_space:  global
        .offset:         16
        .size:           8
        .value_kind:     global_buffer
      - .address_space:  global
        .offset:         24
        .size:           8
        .value_kind:     global_buffer
      - .address_space:  global
        .offset:         32
        .size:           8
        .value_kind:     global_buffer
      - .address_space:  global
        .offset:         40
        .size:           8
        .value_kind:     global_buffer
      - .address_space:  global
        .offset:         48
        .size:           8
        .value_kind:     global_buffer
      - .address_space:  global
        .offset:         56
        .size:           8
        .value_kind:     global_buffer
      - .offset:         64
        .size:           4
        .value_kind:     by_value
      - .offset:         68
        .size:           4
        .value_kind:     by_value
      - .offset:         72
        .size:           4
        .value_kind:     by_value
      - .offset:         76
        .size:           4
        .value_kind:     by_value
      - .offset:         80
        .size:           4
        .value_kind:     by_value
      - .offset:         84
        .size:           4
        .value_kind:     by_value
      - .offset:         88
        .size:           4
        .value_kind:     by_value
      - .offset:         92
        .size:           12
        .value_kind:     by_value
      - .offset:         104
        .size:           4
        .value_kind:     by_value
      - .offset:         108
        .size:           4
        .value_kind:     by_value
      - .offset:         112
        .size:           4
        .value_kind:     by_value
      - .offset:         116
        .size:           4
        .value_kind:     by_value
      - .offset:         120
        .size:           4
        .value_kind:     by_value
      - .offset:         124
        .size:           4
        .value_kind:     by_value
      - .offset:         128
        .size:           4
        .value_kind:     by_value
      - .offset:         132
        .size:           4
        .value_kind:     by_value
      - .offset:         136
        .size:           4
        .value_kind:     by_value
      - .offset:         140
        .size:           4
        .value_kind:     by_value
      - .offset:         144
        .size:           4
        .value_kind:     by_value
      - .offset:         152
        .size:           8
        .value_kind:     by_value
      - .offset:         160
        .size:           4
        .value_kind:     by_value
      - .offset:         164
        .size:           4
        .value_kind:     by_value
      - .offset:         168
        .size:           8
        .value_kind:     by_value
      - .offset:         176
        .size:           4
        .value_kind:     by_value
      - .offset:         180
        .size:           4
        .value_kind:     by_value
      - .offset:         184
        .size:           4
        .value_kind:     by_value
      - .offset:         188
        .size:           4
        .value_kind:     by_value
      - .offset:         192
        .size:           4
        .value_kind:     by_value
      - .offset:         200
        .size:           8
        .value_kind:     by_value
      - .offset:         208
        .size:           4
        .value_kind:     hidden_block_count_x
      - .offset:         212
        .size:           4
        .value_kind:     hidden_block_count_y
      - .offset:         216
        .size:           4
        .value_kind:     hidden_block_count_z
      - .offset:         220
        .size:           2
        .value_kind:     hidden_group_size_x
      - .offset:         222
        .size:           2
        .value_kind:     hidden_group_size_y
      - .offset:         224
        .size:           2
        .value_kind:     hidden_group_size_z
      - .offset:         226
        .size:           2
        .value_kind:     hidden_remainder_x
      - .offset:         228
        .size:           2
        .value_kind:     hidden_remainder_y
      - .offset:         230
        .size:           2
        .value_kind:     hidden_remainder_z
      - .offset:         248
        .size:           8
        .value_kind:     hidden_global_offset_x
      - .offset:         256
        .size:           8
        .value_kind:     hidden_global_offset_y
      - .offset:         264
        .size:           8
        .value_kind:     hidden_global_offset_z
      - .offset:         272
        .size:           2
        .value_kind:     hidden_grid_dims
      - .offset:         328
        .size:           4
        .value_kind:     hidden_dynamic_lds_size
    .group_segment_fixed_size: 0
    .kernarg_segment_align: 8
    .kernarg_segment_size: 464
    .language:       OpenCL C
    .language_version:
      - 2
      - 0
    .max_flat_workgroup_size: 256
    .name:           _ZL18flash_attn_ext_f16ILi128ELi128ELi16ELi1ELb0ELb0EEvPKcS1_S1_S1_S1_PKiPfP15HIP_vector_typeIfLj2EEffffjfiS5_IjLj3EEiiiiiiiiiiiliiliiiiil
    .private_segment_fixed_size: 32
    .sgpr_count:     106
    .sgpr_spill_count: 59
    .symbol:         _ZL18flash_attn_ext_f16ILi128ELi128ELi16ELi1ELb0ELb0EEvPKcS1_S1_S1_S1_PKiPfP15HIP_vector_typeIfLj2EEffffjfiS5_IjLj3EEiiiiiiiiiiiliiliiiiil.kd
    .uniform_work_group_size: 1
    .uses_dynamic_stack: false
    .vgpr_count:     221
    .vgpr_spill_count: 0
    .wavefront_size: 64
  - .agpr_count:     0
    .args:
      - .address_space:  global
        .offset:         0
        .size:           8
        .value_kind:     global_buffer
      - .address_space:  global
        .offset:         8
        .size:           8
        .value_kind:     global_buffer
      - .address_space:  global
        .offset:         16
        .size:           8
        .value_kind:     global_buffer
      - .address_space:  global
        .offset:         24
        .size:           8
        .value_kind:     global_buffer
      - .address_space:  global
        .offset:         32
        .size:           8
        .value_kind:     global_buffer
      - .address_space:  global
        .offset:         40
        .size:           8
        .value_kind:     global_buffer
      - .address_space:  global
        .offset:         48
        .size:           8
        .value_kind:     global_buffer
      - .address_space:  global
        .offset:         56
        .size:           8
        .value_kind:     global_buffer
      - .offset:         64
        .size:           4
        .value_kind:     by_value
      - .offset:         68
        .size:           4
        .value_kind:     by_value
      - .offset:         72
        .size:           4
        .value_kind:     by_value
      - .offset:         76
        .size:           4
        .value_kind:     by_value
      - .offset:         80
        .size:           4
        .value_kind:     by_value
      - .offset:         84
        .size:           4
        .value_kind:     by_value
      - .offset:         88
        .size:           4
        .value_kind:     by_value
      - .offset:         92
        .size:           12
        .value_kind:     by_value
      - .offset:         104
        .size:           4
        .value_kind:     by_value
      - .offset:         108
        .size:           4
        .value_kind:     by_value
      - .offset:         112
        .size:           4
        .value_kind:     by_value
      - .offset:         116
        .size:           4
        .value_kind:     by_value
      - .offset:         120
        .size:           4
        .value_kind:     by_value
      - .offset:         124
        .size:           4
        .value_kind:     by_value
      - .offset:         128
        .size:           4
        .value_kind:     by_value
      - .offset:         132
        .size:           4
        .value_kind:     by_value
      - .offset:         136
        .size:           4
        .value_kind:     by_value
      - .offset:         140
        .size:           4
        .value_kind:     by_value
      - .offset:         144
        .size:           4
        .value_kind:     by_value
      - .offset:         152
        .size:           8
        .value_kind:     by_value
      - .offset:         160
        .size:           4
        .value_kind:     by_value
      - .offset:         164
        .size:           4
        .value_kind:     by_value
      - .offset:         168
        .size:           8
        .value_kind:     by_value
      - .offset:         176
        .size:           4
        .value_kind:     by_value
      - .offset:         180
        .size:           4
        .value_kind:     by_value
      - .offset:         184
        .size:           4
        .value_kind:     by_value
      - .offset:         188
        .size:           4
        .value_kind:     by_value
      - .offset:         192
        .size:           4
        .value_kind:     by_value
      - .offset:         200
        .size:           8
        .value_kind:     by_value
      - .offset:         208
        .size:           4
        .value_kind:     hidden_block_count_x
      - .offset:         212
        .size:           4
        .value_kind:     hidden_block_count_y
      - .offset:         216
        .size:           4
        .value_kind:     hidden_block_count_z
      - .offset:         220
        .size:           2
        .value_kind:     hidden_group_size_x
      - .offset:         222
        .size:           2
        .value_kind:     hidden_group_size_y
      - .offset:         224
        .size:           2
        .value_kind:     hidden_group_size_z
      - .offset:         226
        .size:           2
        .value_kind:     hidden_remainder_x
      - .offset:         228
        .size:           2
        .value_kind:     hidden_remainder_y
      - .offset:         230
        .size:           2
        .value_kind:     hidden_remainder_z
      - .offset:         248
        .size:           8
        .value_kind:     hidden_global_offset_x
      - .offset:         256
        .size:           8
        .value_kind:     hidden_global_offset_y
      - .offset:         264
        .size:           8
        .value_kind:     hidden_global_offset_z
      - .offset:         272
        .size:           2
        .value_kind:     hidden_grid_dims
      - .offset:         328
        .size:           4
        .value_kind:     hidden_dynamic_lds_size
    .group_segment_fixed_size: 0
    .kernarg_segment_align: 8
    .kernarg_segment_size: 464
    .language:       OpenCL C
    .language_version:
      - 2
      - 0
    .max_flat_workgroup_size: 256
    .name:           _ZL18flash_attn_ext_f16ILi128ELi128ELi16ELi1ELb1ELb0EEvPKcS1_S1_S1_S1_PKiPfP15HIP_vector_typeIfLj2EEffffjfiS5_IjLj3EEiiiiiiiiiiiliiliiiiil
    .private_segment_fixed_size: 32
    .sgpr_count:     106
    .sgpr_spill_count: 66
    .symbol:         _ZL18flash_attn_ext_f16ILi128ELi128ELi16ELi1ELb1ELb0EEvPKcS1_S1_S1_S1_PKiPfP15HIP_vector_typeIfLj2EEffffjfiS5_IjLj3EEiiiiiiiiiiiliiliiiiil.kd
    .uniform_work_group_size: 1
    .uses_dynamic_stack: false
    .vgpr_count:     219
    .vgpr_spill_count: 0
    .wavefront_size: 64
  - .agpr_count:     0
    .args:
      - .address_space:  global
        .offset:         0
        .size:           8
        .value_kind:     global_buffer
      - .address_space:  global
        .offset:         8
        .size:           8
        .value_kind:     global_buffer
      - .offset:         16
        .size:           4
        .value_kind:     by_value
      - .offset:         20
        .size:           4
        .value_kind:     by_value
      - .offset:         24
        .size:           4
        .value_kind:     by_value
      - .offset:         28
        .size:           4
        .value_kind:     by_value
      - .offset:         32
        .size:           4
        .value_kind:     by_value
      - .offset:         36
        .size:           4
        .value_kind:     by_value
      - .offset:         40
        .size:           12
        .value_kind:     by_value
      - .offset:         52
        .size:           12
        .value_kind:     by_value
      - .offset:         64
        .size:           12
        .value_kind:     by_value
    .group_segment_fixed_size: 0
    .kernarg_segment_align: 8
    .kernarg_segment_size: 76
    .language:       OpenCL C
    .language_version:
      - 2
      - 0
    .max_flat_workgroup_size: 128
    .name:           _ZL33flash_attn_stream_k_fixup_uniformILi128ELi16ELi1EEvPfPK15HIP_vector_typeIfLj2EEiiiiiiS1_IjLj3EES5_S5_
    .private_segment_fixed_size: 0
    .sgpr_count:     30
    .sgpr_spill_count: 0
    .symbol:         _ZL33flash_attn_stream_k_fixup_uniformILi128ELi16ELi1EEvPfPK15HIP_vector_typeIfLj2EEiiiiiiS1_IjLj3EES5_S5_.kd
    .uniform_work_group_size: 1
    .uses_dynamic_stack: false
    .vgpr_count:     17
    .vgpr_spill_count: 0
    .wavefront_size: 64
  - .agpr_count:     0
    .args:
      - .address_space:  global
        .offset:         0
        .size:           8
        .value_kind:     global_buffer
      - .address_space:  global
        .offset:         8
        .size:           8
        .value_kind:     global_buffer
      - .offset:         16
        .size:           4
        .value_kind:     by_value
      - .offset:         20
        .size:           4
        .value_kind:     by_value
      - .offset:         24
        .size:           4
        .value_kind:     by_value
      - .offset:         28
        .size:           4
        .value_kind:     by_value
      - .offset:         32
        .size:           12
        .value_kind:     by_value
      - .offset:         44
        .size:           12
        .value_kind:     by_value
      - .offset:         56
        .size:           12
        .value_kind:     by_value
      - .offset:         68
        .size:           12
        .value_kind:     by_value
      - .offset:         80
        .size:           4
        .value_kind:     hidden_block_count_x
      - .offset:         84
        .size:           4
        .value_kind:     hidden_block_count_y
      - .offset:         88
        .size:           4
        .value_kind:     hidden_block_count_z
      - .offset:         92
        .size:           2
        .value_kind:     hidden_group_size_x
      - .offset:         94
        .size:           2
        .value_kind:     hidden_group_size_y
      - .offset:         96
        .size:           2
        .value_kind:     hidden_group_size_z
      - .offset:         98
        .size:           2
        .value_kind:     hidden_remainder_x
      - .offset:         100
        .size:           2
        .value_kind:     hidden_remainder_y
      - .offset:         102
        .size:           2
        .value_kind:     hidden_remainder_z
      - .offset:         120
        .size:           8
        .value_kind:     hidden_global_offset_x
      - .offset:         128
        .size:           8
        .value_kind:     hidden_global_offset_y
      - .offset:         136
        .size:           8
        .value_kind:     hidden_global_offset_z
      - .offset:         144
        .size:           2
        .value_kind:     hidden_grid_dims
    .group_segment_fixed_size: 0
    .kernarg_segment_align: 8
    .kernarg_segment_size: 336
    .language:       OpenCL C
    .language_version:
      - 2
      - 0
    .max_flat_workgroup_size: 128
    .name:           _ZL33flash_attn_stream_k_fixup_generalILi128ELi16ELi1EEvPfPK15HIP_vector_typeIfLj2EEiiiiS1_IjLj3EES5_S5_S5_
    .private_segment_fixed_size: 0
    .sgpr_count:     42
    .sgpr_spill_count: 0
    .symbol:         _ZL33flash_attn_stream_k_fixup_generalILi128ELi16ELi1EEvPfPK15HIP_vector_typeIfLj2EEiiiiS1_IjLj3EES5_S5_S5_.kd
    .uniform_work_group_size: 1
    .uses_dynamic_stack: false
    .vgpr_count:     18
    .vgpr_spill_count: 0
    .wavefront_size: 64
  - .agpr_count:     0
    .args:
      - .address_space:  global
        .offset:         0
        .size:           8
        .value_kind:     global_buffer
      - .address_space:  global
        .offset:         8
        .size:           8
        .value_kind:     global_buffer
      - .address_space:  global
        .offset:         16
        .size:           8
        .value_kind:     global_buffer
      - .offset:         24
        .size:           4
        .value_kind:     by_value
      - .offset:         32
        .size:           4
        .value_kind:     hidden_block_count_x
      - .offset:         36
        .size:           4
        .value_kind:     hidden_block_count_y
      - .offset:         40
        .size:           4
        .value_kind:     hidden_block_count_z
      - .offset:         44
        .size:           2
        .value_kind:     hidden_group_size_x
      - .offset:         46
        .size:           2
        .value_kind:     hidden_group_size_y
      - .offset:         48
        .size:           2
        .value_kind:     hidden_group_size_z
      - .offset:         50
        .size:           2
        .value_kind:     hidden_remainder_x
      - .offset:         52
        .size:           2
        .value_kind:     hidden_remainder_y
      - .offset:         54
        .size:           2
        .value_kind:     hidden_remainder_z
      - .offset:         72
        .size:           8
        .value_kind:     hidden_global_offset_x
      - .offset:         80
        .size:           8
        .value_kind:     hidden_global_offset_y
      - .offset:         88
        .size:           8
        .value_kind:     hidden_global_offset_z
      - .offset:         96
        .size:           2
        .value_kind:     hidden_grid_dims
      - .offset:         152
        .size:           4
        .value_kind:     hidden_dynamic_lds_size
    .group_segment_fixed_size: 0
    .kernarg_segment_align: 8
    .kernarg_segment_size: 288
    .language:       OpenCL C
    .language_version:
      - 2
      - 0
    .max_flat_workgroup_size: 128
    .name:           _ZL26flash_attn_combine_resultsILi128EEvPKfPK15HIP_vector_typeIfLj2EEPfi
    .private_segment_fixed_size: 0
    .sgpr_count:     32
    .sgpr_spill_count: 0
    .symbol:         _ZL26flash_attn_combine_resultsILi128EEvPKfPK15HIP_vector_typeIfLj2EEPfi.kd
    .uniform_work_group_size: 1
    .uses_dynamic_stack: false
    .vgpr_count:     59
    .vgpr_spill_count: 0
    .wavefront_size: 64
  - .agpr_count:     94
    .args:
      - .address_space:  global
        .offset:         0
        .size:           8
        .value_kind:     global_buffer
      - .address_space:  global
        .offset:         8
        .size:           8
        .value_kind:     global_buffer
      - .address_space:  global
        .offset:         16
        .size:           8
        .value_kind:     global_buffer
      - .address_space:  global
        .offset:         24
        .size:           8
        .value_kind:     global_buffer
      - .address_space:  global
        .offset:         32
        .size:           8
        .value_kind:     global_buffer
      - .address_space:  global
        .offset:         40
        .size:           8
        .value_kind:     global_buffer
      - .address_space:  global
        .offset:         48
        .size:           8
        .value_kind:     global_buffer
      - .address_space:  global
        .offset:         56
        .size:           8
        .value_kind:     global_buffer
      - .offset:         64
        .size:           4
        .value_kind:     by_value
      - .offset:         68
        .size:           4
        .value_kind:     by_value
      - .offset:         72
        .size:           4
        .value_kind:     by_value
      - .offset:         76
        .size:           4
        .value_kind:     by_value
      - .offset:         80
        .size:           4
        .value_kind:     by_value
      - .offset:         84
        .size:           4
        .value_kind:     by_value
      - .offset:         88
        .size:           4
        .value_kind:     by_value
      - .offset:         92
        .size:           12
        .value_kind:     by_value
      - .offset:         104
        .size:           4
        .value_kind:     by_value
      - .offset:         108
        .size:           4
        .value_kind:     by_value
      - .offset:         112
        .size:           4
        .value_kind:     by_value
      - .offset:         116
        .size:           4
        .value_kind:     by_value
      - .offset:         120
        .size:           4
        .value_kind:     by_value
      - .offset:         124
        .size:           4
        .value_kind:     by_value
      - .offset:         128
        .size:           4
        .value_kind:     by_value
      - .offset:         132
        .size:           4
        .value_kind:     by_value
      - .offset:         136
        .size:           4
        .value_kind:     by_value
      - .offset:         140
        .size:           4
        .value_kind:     by_value
      - .offset:         144
        .size:           4
        .value_kind:     by_value
      - .offset:         152
        .size:           8
        .value_kind:     by_value
      - .offset:         160
        .size:           4
        .value_kind:     by_value
      - .offset:         164
        .size:           4
        .value_kind:     by_value
      - .offset:         168
        .size:           8
        .value_kind:     by_value
      - .offset:         176
        .size:           4
        .value_kind:     by_value
      - .offset:         180
        .size:           4
        .value_kind:     by_value
      - .offset:         184
        .size:           4
        .value_kind:     by_value
      - .offset:         188
        .size:           4
        .value_kind:     by_value
      - .offset:         192
        .size:           4
        .value_kind:     by_value
      - .offset:         200
        .size:           8
        .value_kind:     by_value
      - .offset:         208
        .size:           4
        .value_kind:     hidden_block_count_x
      - .offset:         212
        .size:           4
        .value_kind:     hidden_block_count_y
      - .offset:         216
        .size:           4
        .value_kind:     hidden_block_count_z
      - .offset:         220
        .size:           2
        .value_kind:     hidden_group_size_x
      - .offset:         222
        .size:           2
        .value_kind:     hidden_group_size_y
      - .offset:         224
        .size:           2
        .value_kind:     hidden_group_size_z
      - .offset:         226
        .size:           2
        .value_kind:     hidden_remainder_x
      - .offset:         228
        .size:           2
        .value_kind:     hidden_remainder_y
      - .offset:         230
        .size:           2
        .value_kind:     hidden_remainder_z
      - .offset:         248
        .size:           8
        .value_kind:     hidden_global_offset_x
      - .offset:         256
        .size:           8
        .value_kind:     hidden_global_offset_y
      - .offset:         264
        .size:           8
        .value_kind:     hidden_global_offset_z
      - .offset:         272
        .size:           2
        .value_kind:     hidden_grid_dims
      - .offset:         328
        .size:           4
        .value_kind:     hidden_dynamic_lds_size
    .group_segment_fixed_size: 0
    .kernarg_segment_align: 8
    .kernarg_segment_size: 464
    .language:       OpenCL C
    .language_version:
      - 2
      - 0
    .max_flat_workgroup_size: 256
    .name:           _ZL18flash_attn_ext_f16ILi256ELi256ELi16ELi1ELb0ELb0EEvPKcS1_S1_S1_S1_PKiPfP15HIP_vector_typeIfLj2EEffffjfiS5_IjLj3EEiiiiiiiiiiiliiliiiiil
    .private_segment_fixed_size: 32
    .sgpr_count:     106
    .sgpr_spill_count: 50
    .symbol:         _ZL18flash_attn_ext_f16ILi256ELi256ELi16ELi1ELb0ELb0EEvPKcS1_S1_S1_S1_PKiPfP15HIP_vector_typeIfLj2EEffffjfiS5_IjLj3EEiiiiiiiiiiiliiliiiiil.kd
    .uniform_work_group_size: 1
    .uses_dynamic_stack: false
    .vgpr_count:     350
    .vgpr_spill_count: 0
    .wavefront_size: 64
  - .agpr_count:     98
    .args:
      - .address_space:  global
        .offset:         0
        .size:           8
        .value_kind:     global_buffer
      - .address_space:  global
        .offset:         8
        .size:           8
        .value_kind:     global_buffer
      - .address_space:  global
        .offset:         16
        .size:           8
        .value_kind:     global_buffer
      - .address_space:  global
        .offset:         24
        .size:           8
        .value_kind:     global_buffer
      - .address_space:  global
        .offset:         32
        .size:           8
        .value_kind:     global_buffer
      - .address_space:  global
        .offset:         40
        .size:           8
        .value_kind:     global_buffer
      - .address_space:  global
        .offset:         48
        .size:           8
        .value_kind:     global_buffer
      - .address_space:  global
        .offset:         56
        .size:           8
        .value_kind:     global_buffer
      - .offset:         64
        .size:           4
        .value_kind:     by_value
      - .offset:         68
        .size:           4
        .value_kind:     by_value
      - .offset:         72
        .size:           4
        .value_kind:     by_value
      - .offset:         76
        .size:           4
        .value_kind:     by_value
      - .offset:         80
        .size:           4
        .value_kind:     by_value
      - .offset:         84
        .size:           4
        .value_kind:     by_value
      - .offset:         88
        .size:           4
        .value_kind:     by_value
      - .offset:         92
        .size:           12
        .value_kind:     by_value
      - .offset:         104
        .size:           4
        .value_kind:     by_value
      - .offset:         108
        .size:           4
        .value_kind:     by_value
      - .offset:         112
        .size:           4
        .value_kind:     by_value
      - .offset:         116
        .size:           4
        .value_kind:     by_value
      - .offset:         120
        .size:           4
        .value_kind:     by_value
      - .offset:         124
        .size:           4
        .value_kind:     by_value
      - .offset:         128
        .size:           4
        .value_kind:     by_value
      - .offset:         132
        .size:           4
        .value_kind:     by_value
      - .offset:         136
        .size:           4
        .value_kind:     by_value
      - .offset:         140
        .size:           4
        .value_kind:     by_value
      - .offset:         144
        .size:           4
        .value_kind:     by_value
      - .offset:         152
        .size:           8
        .value_kind:     by_value
      - .offset:         160
        .size:           4
        .value_kind:     by_value
      - .offset:         164
        .size:           4
        .value_kind:     by_value
      - .offset:         168
        .size:           8
        .value_kind:     by_value
      - .offset:         176
        .size:           4
        .value_kind:     by_value
      - .offset:         180
        .size:           4
        .value_kind:     by_value
      - .offset:         184
        .size:           4
        .value_kind:     by_value
      - .offset:         188
        .size:           4
        .value_kind:     by_value
      - .offset:         192
        .size:           4
        .value_kind:     by_value
      - .offset:         200
        .size:           8
        .value_kind:     by_value
      - .offset:         208
        .size:           4
        .value_kind:     hidden_block_count_x
      - .offset:         212
        .size:           4
        .value_kind:     hidden_block_count_y
      - .offset:         216
        .size:           4
        .value_kind:     hidden_block_count_z
      - .offset:         220
        .size:           2
        .value_kind:     hidden_group_size_x
      - .offset:         222
        .size:           2
        .value_kind:     hidden_group_size_y
      - .offset:         224
        .size:           2
        .value_kind:     hidden_group_size_z
      - .offset:         226
        .size:           2
        .value_kind:     hidden_remainder_x
      - .offset:         228
        .size:           2
        .value_kind:     hidden_remainder_y
      - .offset:         230
        .size:           2
        .value_kind:     hidden_remainder_z
      - .offset:         248
        .size:           8
        .value_kind:     hidden_global_offset_x
      - .offset:         256
        .size:           8
        .value_kind:     hidden_global_offset_y
      - .offset:         264
        .size:           8
        .value_kind:     hidden_global_offset_z
      - .offset:         272
        .size:           2
        .value_kind:     hidden_grid_dims
      - .offset:         328
        .size:           4
        .value_kind:     hidden_dynamic_lds_size
    .group_segment_fixed_size: 0
    .kernarg_segment_align: 8
    .kernarg_segment_size: 464
    .language:       OpenCL C
    .language_version:
      - 2
      - 0
    .max_flat_workgroup_size: 256
    .name:           _ZL18flash_attn_ext_f16ILi256ELi256ELi16ELi1ELb1ELb0EEvPKcS1_S1_S1_S1_PKiPfP15HIP_vector_typeIfLj2EEffffjfiS5_IjLj3EEiiiiiiiiiiiliiliiiiil
    .private_segment_fixed_size: 32
    .sgpr_count:     106
    .sgpr_spill_count: 52
    .symbol:         _ZL18flash_attn_ext_f16ILi256ELi256ELi16ELi1ELb1ELb0EEvPKcS1_S1_S1_S1_PKiPfP15HIP_vector_typeIfLj2EEffffjfiS5_IjLj3EEiiiiiiiiiiiliiliiiiil.kd
    .uniform_work_group_size: 1
    .uses_dynamic_stack: false
    .vgpr_count:     354
    .vgpr_spill_count: 0
    .wavefront_size: 64
  - .agpr_count:     0
    .args:
      - .address_space:  global
        .offset:         0
        .size:           8
        .value_kind:     global_buffer
      - .address_space:  global
        .offset:         8
        .size:           8
        .value_kind:     global_buffer
      - .offset:         16
        .size:           4
        .value_kind:     by_value
      - .offset:         20
        .size:           4
        .value_kind:     by_value
      - .offset:         24
        .size:           4
        .value_kind:     by_value
      - .offset:         28
        .size:           4
        .value_kind:     by_value
      - .offset:         32
        .size:           4
        .value_kind:     by_value
      - .offset:         36
        .size:           4
        .value_kind:     by_value
      - .offset:         40
        .size:           12
        .value_kind:     by_value
      - .offset:         52
        .size:           12
        .value_kind:     by_value
      - .offset:         64
        .size:           12
        .value_kind:     by_value
    .group_segment_fixed_size: 0
    .kernarg_segment_align: 8
    .kernarg_segment_size: 76
    .language:       OpenCL C
    .language_version:
      - 2
      - 0
    .max_flat_workgroup_size: 256
    .name:           _ZL33flash_attn_stream_k_fixup_uniformILi256ELi16ELi1EEvPfPK15HIP_vector_typeIfLj2EEiiiiiiS1_IjLj3EES5_S5_
    .private_segment_fixed_size: 0
    .sgpr_count:     30
    .sgpr_spill_count: 0
    .symbol:         _ZL33flash_attn_stream_k_fixup_uniformILi256ELi16ELi1EEvPfPK15HIP_vector_typeIfLj2EEiiiiiiS1_IjLj3EES5_S5_.kd
    .uniform_work_group_size: 1
    .uses_dynamic_stack: false
    .vgpr_count:     17
    .vgpr_spill_count: 0
    .wavefront_size: 64
  - .agpr_count:     0
    .args:
      - .address_space:  global
        .offset:         0
        .size:           8
        .value_kind:     global_buffer
      - .address_space:  global
        .offset:         8
        .size:           8
        .value_kind:     global_buffer
      - .offset:         16
        .size:           4
        .value_kind:     by_value
      - .offset:         20
        .size:           4
        .value_kind:     by_value
      - .offset:         24
        .size:           4
        .value_kind:     by_value
      - .offset:         28
        .size:           4
        .value_kind:     by_value
      - .offset:         32
        .size:           12
        .value_kind:     by_value
      - .offset:         44
        .size:           12
        .value_kind:     by_value
      - .offset:         56
        .size:           12
        .value_kind:     by_value
      - .offset:         68
        .size:           12
        .value_kind:     by_value
      - .offset:         80
        .size:           4
        .value_kind:     hidden_block_count_x
      - .offset:         84
        .size:           4
        .value_kind:     hidden_block_count_y
      - .offset:         88
        .size:           4
        .value_kind:     hidden_block_count_z
      - .offset:         92
        .size:           2
        .value_kind:     hidden_group_size_x
      - .offset:         94
        .size:           2
        .value_kind:     hidden_group_size_y
      - .offset:         96
        .size:           2
        .value_kind:     hidden_group_size_z
      - .offset:         98
        .size:           2
        .value_kind:     hidden_remainder_x
      - .offset:         100
        .size:           2
        .value_kind:     hidden_remainder_y
      - .offset:         102
        .size:           2
        .value_kind:     hidden_remainder_z
      - .offset:         120
        .size:           8
        .value_kind:     hidden_global_offset_x
      - .offset:         128
        .size:           8
        .value_kind:     hidden_global_offset_y
      - .offset:         136
        .size:           8
        .value_kind:     hidden_global_offset_z
      - .offset:         144
        .size:           2
        .value_kind:     hidden_grid_dims
    .group_segment_fixed_size: 0
    .kernarg_segment_align: 8
    .kernarg_segment_size: 336
    .language:       OpenCL C
    .language_version:
      - 2
      - 0
    .max_flat_workgroup_size: 256
    .name:           _ZL33flash_attn_stream_k_fixup_generalILi256ELi16ELi1EEvPfPK15HIP_vector_typeIfLj2EEiiiiS1_IjLj3EES5_S5_S5_
    .private_segment_fixed_size: 0
    .sgpr_count:     42
    .sgpr_spill_count: 0
    .symbol:         _ZL33flash_attn_stream_k_fixup_generalILi256ELi16ELi1EEvPfPK15HIP_vector_typeIfLj2EEiiiiS1_IjLj3EES5_S5_S5_.kd
    .uniform_work_group_size: 1
    .uses_dynamic_stack: false
    .vgpr_count:     18
    .vgpr_spill_count: 0
    .wavefront_size: 64
  - .agpr_count:     0
    .args:
      - .address_space:  global
        .offset:         0
        .size:           8
        .value_kind:     global_buffer
      - .address_space:  global
        .offset:         8
        .size:           8
        .value_kind:     global_buffer
      - .address_space:  global
        .offset:         16
        .size:           8
        .value_kind:     global_buffer
      - .offset:         24
        .size:           4
        .value_kind:     by_value
      - .offset:         32
        .size:           4
        .value_kind:     hidden_block_count_x
      - .offset:         36
        .size:           4
        .value_kind:     hidden_block_count_y
      - .offset:         40
        .size:           4
        .value_kind:     hidden_block_count_z
      - .offset:         44
        .size:           2
        .value_kind:     hidden_group_size_x
      - .offset:         46
        .size:           2
        .value_kind:     hidden_group_size_y
      - .offset:         48
        .size:           2
        .value_kind:     hidden_group_size_z
      - .offset:         50
        .size:           2
        .value_kind:     hidden_remainder_x
      - .offset:         52
        .size:           2
        .value_kind:     hidden_remainder_y
      - .offset:         54
        .size:           2
        .value_kind:     hidden_remainder_z
      - .offset:         72
        .size:           8
        .value_kind:     hidden_global_offset_x
      - .offset:         80
        .size:           8
        .value_kind:     hidden_global_offset_y
      - .offset:         88
        .size:           8
        .value_kind:     hidden_global_offset_z
      - .offset:         96
        .size:           2
        .value_kind:     hidden_grid_dims
      - .offset:         152
        .size:           4
        .value_kind:     hidden_dynamic_lds_size
    .group_segment_fixed_size: 0
    .kernarg_segment_align: 8
    .kernarg_segment_size: 288
    .language:       OpenCL C
    .language_version:
      - 2
      - 0
    .max_flat_workgroup_size: 256
    .name:           _ZL26flash_attn_combine_resultsILi256EEvPKfPK15HIP_vector_typeIfLj2EEPfi
    .private_segment_fixed_size: 0
    .sgpr_count:     32
    .sgpr_spill_count: 0
    .symbol:         _ZL26flash_attn_combine_resultsILi256EEvPKfPK15HIP_vector_typeIfLj2EEPfi.kd
    .uniform_work_group_size: 1
    .uses_dynamic_stack: false
    .vgpr_count:     59
    .vgpr_spill_count: 0
    .wavefront_size: 64
amdhsa.target:   amdgcn-amd-amdhsa--gfx950
amdhsa.version:
  - 1
  - 2
...

	.end_amdgpu_metadata
